;; amdgpu-corpus repo=ggml-org/llama.cpp kind=compiled arch=gfx950 opt=O3
	.amdgcn_target "amdgcn-amd-amdhsa--gfx950"
	.amdhsa_code_object_version 6
	.section	.text._ZL18flash_attn_ext_f16ILi64ELi64ELi32ELi1ELb0ELb0EEvPKcS1_S1_S1_S1_PKiPfP15HIP_vector_typeIfLj2EEffffjfiS5_IjLj3EEiiiiiiiiiiiliiliiiiil,"axG",@progbits,_ZL18flash_attn_ext_f16ILi64ELi64ELi32ELi1ELb0ELb0EEvPKcS1_S1_S1_S1_PKiPfP15HIP_vector_typeIfLj2EEffffjfiS5_IjLj3EEiiiiiiiiiiiliiliiiiil,comdat
	.globl	_ZL18flash_attn_ext_f16ILi64ELi64ELi32ELi1ELb0ELb0EEvPKcS1_S1_S1_S1_PKiPfP15HIP_vector_typeIfLj2EEffffjfiS5_IjLj3EEiiiiiiiiiiiliiliiiiil ; -- Begin function _ZL18flash_attn_ext_f16ILi64ELi64ELi32ELi1ELb0ELb0EEvPKcS1_S1_S1_S1_PKiPfP15HIP_vector_typeIfLj2EEffffjfiS5_IjLj3EEiiiiiiiiiiiliiliiiiil
	.p2align	8
	.type	_ZL18flash_attn_ext_f16ILi64ELi64ELi32ELi1ELb0ELb0EEvPKcS1_S1_S1_S1_PKiPfP15HIP_vector_typeIfLj2EEffffjfiS5_IjLj3EEiiiiiiiiiiiliiliiiiil,@function
_ZL18flash_attn_ext_f16ILi64ELi64ELi32ELi1ELb0ELb0EEvPKcS1_S1_S1_S1_PKiPfP15HIP_vector_typeIfLj2EEffffjfiS5_IjLj3EEiiiiiiiiiiiliiliiiiil: ; @_ZL18flash_attn_ext_f16ILi64ELi64ELi32ELi1ELb0ELb0EEvPKcS1_S1_S1_S1_PKiPfP15HIP_vector_typeIfLj2EEffffjfiS5_IjLj3EEiiiiiiiiiiiliiliiiiil
; %bb.0:
	s_load_dwordx2 s[10:11], s[0:1], 0x80
	s_load_dwordx4 s[72:75], s[0:1], 0x64
	s_mov_b32 s52, s2
                                        ; implicit-def: $vgpr173 : SGPR spill to VGPR lane
	s_load_dword s49, s[0:1], 0xd0
	s_mov_b32 s4, 0
	s_waitcnt lgkmcnt(0)
	s_abs_i32 s2, s11
	v_cvt_f32_u32_e32 v1, s2
	s_sub_i32 s6, 0, s2
	s_abs_i32 s5, s73
	s_xor_b32 s3, s73, s11
	v_rcp_iflag_f32_e32 v1, v1
	s_ashr_i32 s3, s3, 31
	v_mul_f32_e32 v1, 0x4f7ffffe, v1
	v_cvt_u32_f32_e32 v1, v1
	s_nop 0
	v_readfirstlane_b32 s7, v1
	s_mul_i32 s6, s6, s7
	s_mul_hi_u32 s6, s7, s6
	s_add_i32 s7, s7, s6
	s_mul_hi_u32 s6, s5, s7
	s_mul_i32 s7, s6, s2
	s_sub_i32 s5, s5, s7
	s_add_i32 s8, s6, 1
	s_sub_i32 s7, s5, s2
	s_cmp_ge_u32 s5, s2
	s_cselect_b32 s6, s8, s6
	s_cselect_b32 s5, s7, s5
	s_add_i32 s7, s6, 1
	s_cmp_ge_u32 s5, s2
	s_cselect_b32 s2, s7, s6
	s_add_i32 s5, s10, 63
	s_xor_b32 s2, s2, s3
	s_ashr_i32 s6, s5, 31
	s_sub_i32 s3, s2, s3
	s_lshr_b32 s2, s6, 26
	s_add_i32 s5, s5, s2
	s_add_i32 s2, s72, 31
	s_lshr_b32 s2, s2, 5
	s_ashr_i32 s5, s5, 6
	v_writelane_b32 v173, s2, 0
	v_writelane_b32 v173, s5, 1
	s_mul_i32 s2, s2, s5
	v_writelane_b32 v173, s3, 2
	v_writelane_b32 v173, s2, 3
	s_mul_i32 s3, s2, s3
	s_mov_b32 s2, s10
	v_writelane_b32 v173, s2, 4
	s_nop 1
	v_writelane_b32 v173, s3, 5
	s_mul_i32 s2, s3, s11
	s_mul_i32 s8, s2, s74
	v_writelane_b32 v173, s3, 6
	s_ashr_i32 s9, s8, 31
	v_writelane_b32 v173, s2, 7
	s_mul_i32 s2, s9, s52
	s_mul_hi_u32 s3, s8, s52
	s_add_i32 s5, s3, s2
	s_cmp_lg_u64 s[4:5], 0
	s_mul_i32 s4, s8, s52
	s_cbranch_scc0 .LBB0_2
; %bb.1:
	s_add_u32 s2, s49, 0
	s_addc_u32 s3, 0, 0
	s_xor_b64 s[6:7], s[2:3], 0
	v_cvt_f32_u32_e32 v1, s6
	v_cvt_f32_u32_e32 v2, s7
	s_sub_u32 s12, 0, s6
	s_subb_u32 s13, 0, s7
	s_mov_b64 s[2:3], 0
	v_fmamk_f32 v1, v2, 0x4f800000, v1
	v_rcp_f32_e32 v1, v1
	s_nop 0
	v_mul_f32_e32 v1, 0x5f7ffffc, v1
	v_mul_f32_e32 v2, 0x2f800000, v1
	v_trunc_f32_e32 v2, v2
	v_fmamk_f32 v1, v2, 0xcf800000, v1
	v_cvt_u32_f32_e32 v2, v2
	v_cvt_u32_f32_e32 v1, v1
	v_readfirstlane_b32 s14, v2
	v_readfirstlane_b32 s10, v1
	s_mul_i32 s11, s12, s14
	s_mul_hi_u32 s16, s12, s10
	s_mul_i32 s15, s13, s10
	s_add_i32 s11, s16, s11
	s_add_i32 s11, s11, s15
	s_mul_i32 s17, s12, s10
	s_mul_i32 s16, s10, s11
	s_mul_hi_u32 s18, s10, s17
	s_mul_hi_u32 s15, s10, s11
	s_add_u32 s16, s18, s16
	s_addc_u32 s15, 0, s15
	s_mul_hi_u32 s19, s14, s17
	s_mul_i32 s17, s14, s17
	s_add_u32 s16, s16, s17
	s_mul_hi_u32 s18, s14, s11
	s_addc_u32 s15, s15, s19
	s_addc_u32 s16, s18, 0
	s_mul_i32 s11, s14, s11
	s_add_u32 s11, s15, s11
	s_addc_u32 s15, 0, s16
	s_add_u32 s16, s10, s11
	s_cselect_b64 s[10:11], -1, 0
	s_cmp_lg_u64 s[10:11], 0
	s_addc_u32 s14, s14, s15
	s_mul_i32 s10, s12, s14
	s_mul_hi_u32 s11, s12, s16
	s_add_i32 s10, s11, s10
	s_mul_i32 s13, s13, s16
	s_add_i32 s10, s10, s13
	s_mul_i32 s12, s12, s16
	s_mul_hi_u32 s13, s14, s12
	s_mul_i32 s15, s14, s12
	s_mul_i32 s18, s16, s10
	s_mul_hi_u32 s12, s16, s12
	s_mul_hi_u32 s17, s16, s10
	s_add_u32 s12, s12, s18
	s_addc_u32 s17, 0, s17
	s_add_u32 s12, s12, s15
	s_mul_hi_u32 s11, s14, s10
	s_addc_u32 s12, s17, s13
	s_addc_u32 s11, s11, 0
	s_mul_i32 s10, s14, s10
	s_add_u32 s10, s12, s10
	s_addc_u32 s12, 0, s11
	s_add_u32 s15, s16, s10
	s_cselect_b64 s[10:11], -1, 0
	s_cmp_lg_u64 s[10:11], 0
	s_addc_u32 s14, s14, s12
	s_ashr_i32 s10, s5, 31
	s_add_u32 s12, s4, s10
	s_mov_b32 s11, s10
	s_addc_u32 s13, s5, s10
	s_xor_b64 s[12:13], s[12:13], s[10:11]
	s_mul_i32 s16, s12, s14
	s_mul_hi_u32 s17, s12, s15
	s_mul_hi_u32 s5, s12, s14
	s_add_u32 s16, s17, s16
	s_addc_u32 s5, 0, s5
	s_mul_hi_u32 s18, s13, s15
	s_mul_i32 s15, s13, s15
	s_add_u32 s15, s16, s15
	s_mul_hi_u32 s17, s13, s14
	s_addc_u32 s5, s5, s18
	s_addc_u32 s15, s17, 0
	s_mul_i32 s14, s13, s14
	s_add_u32 s5, s5, s14
	s_addc_u32 s18, 0, s15
	s_mul_i32 s14, s6, s18
	s_mul_hi_u32 s15, s6, s5
	s_add_i32 s14, s15, s14
	s_mul_i32 s15, s7, s5
	s_add_i32 s19, s14, s15
	s_sub_i32 s16, s13, s19
	s_mul_i32 s14, s6, s5
	s_sub_u32 s12, s12, s14
	s_cselect_b64 s[14:15], -1, 0
	s_cmp_lg_u64 s[14:15], 0
	s_subb_u32 s20, s16, s7
	s_sub_u32 s21, s12, s6
	s_cselect_b64 s[16:17], -1, 0
	s_cmp_lg_u64 s[16:17], 0
	s_subb_u32 s16, s20, 0
	s_cmp_ge_u32 s16, s7
	s_cselect_b32 s17, -1, 0
	s_cmp_ge_u32 s21, s6
	s_cselect_b32 s20, -1, 0
	s_cmp_eq_u32 s16, s7
	s_cselect_b32 s16, s20, s17
	s_add_u32 s17, s5, 1
	s_addc_u32 s20, s18, 0
	s_add_u32 s21, s5, 2
	s_addc_u32 s22, s18, 0
	s_cmp_lg_u32 s16, 0
	s_cselect_b32 s16, s21, s17
	s_cselect_b32 s17, s22, s20
	s_cmp_lg_u64 s[14:15], 0
	s_subb_u32 s13, s13, s19
	s_cmp_ge_u32 s13, s7
	s_cselect_b32 s14, -1, 0
	s_cmp_ge_u32 s12, s6
	s_cselect_b32 s6, -1, 0
	s_cmp_eq_u32 s13, s7
	s_cselect_b32 s6, s6, s14
	s_cmp_lg_u32 s6, 0
	s_cselect_b32 s7, s17, s18
	s_cselect_b32 s6, s16, s5
	s_xor_b64 s[10:11], s[10:11], 0
	s_xor_b64 s[6:7], s[6:7], s[10:11]
	s_sub_u32 s96, s6, s10
	s_branch .LBB0_3
.LBB0_2:
	s_mov_b64 s[2:3], -1
                                        ; implicit-def: $sgpr96_sgpr97
.LBB0_3:
	s_load_dwordx2 s[6:7], s[0:1], 0x74
	v_cvt_f32_u32_e32 v1, s49
	s_andn2_b64 vcc, exec, s[2:3]
	s_waitcnt lgkmcnt(0)
	v_writelane_b32 v173, s6, 8
	s_nop 1
	v_writelane_b32 v173, s7, 9
	s_cbranch_vccnz .LBB0_5
; %bb.4:
	v_rcp_iflag_f32_e32 v2, v1
	s_sub_i32 s2, 0, s49
	v_mul_f32_e32 v2, 0x4f7ffffe, v2
	v_cvt_u32_f32_e32 v2, v2
	s_nop 0
	v_readfirstlane_b32 s3, v2
	s_mul_i32 s2, s2, s3
	s_mul_hi_u32 s2, s3, s2
	s_add_i32 s3, s3, s2
	s_mul_hi_u32 s2, s4, s3
	s_mul_i32 s5, s2, s49
	s_sub_i32 s4, s4, s5
	s_add_i32 s3, s2, 1
	s_sub_i32 s5, s4, s49
	s_cmp_ge_u32 s4, s49
	s_cselect_b32 s2, s3, s2
	s_cselect_b32 s4, s5, s4
	s_add_i32 s3, s2, 1
	s_cmp_ge_u32 s4, s49
	s_cselect_b32 s96, s3, s2
.LBB0_5:
	s_add_i32 s2, s52, 1
	s_mul_i32 s3, s9, s2
	s_mul_hi_u32 s4, s8, s2
	s_add_i32 s7, s4, s3
	s_mov_b32 s6, 0
	s_cmp_lg_u64 s[6:7], 0
	s_mul_i32 s6, s8, s2
	s_cbranch_scc0 .LBB0_238
; %bb.6:
	s_add_u32 s2, s49, 0
	s_addc_u32 s3, 0, 0
	s_xor_b64 s[4:5], s[2:3], 0
	v_cvt_f32_u32_e32 v2, s4
	v_cvt_f32_u32_e32 v3, s5
	s_sub_u32 s10, 0, s4
	s_subb_u32 s11, 0, s5
	v_fmamk_f32 v2, v3, 0x4f800000, v2
	v_rcp_f32_e32 v2, v2
	s_nop 0
	v_mul_f32_e32 v2, 0x5f7ffffc, v2
	v_mul_f32_e32 v3, 0x2f800000, v2
	v_trunc_f32_e32 v3, v3
	v_fmamk_f32 v2, v3, 0xcf800000, v2
	v_cvt_u32_f32_e32 v3, v3
	v_cvt_u32_f32_e32 v2, v2
	v_readfirstlane_b32 s12, v3
	v_readfirstlane_b32 s8, v2
	s_mul_i32 s9, s10, s12
	s_mul_hi_u32 s14, s10, s8
	s_mul_i32 s13, s11, s8
	s_add_i32 s9, s14, s9
	s_add_i32 s9, s9, s13
	s_mul_i32 s15, s10, s8
	s_mul_i32 s14, s8, s9
	s_mul_hi_u32 s16, s8, s15
	s_mul_hi_u32 s13, s8, s9
	s_add_u32 s14, s16, s14
	s_addc_u32 s13, 0, s13
	s_mul_hi_u32 s17, s12, s15
	s_mul_i32 s15, s12, s15
	s_add_u32 s14, s14, s15
	s_mul_hi_u32 s16, s12, s9
	s_addc_u32 s13, s13, s17
	s_addc_u32 s14, s16, 0
	s_mul_i32 s9, s12, s9
	s_add_u32 s9, s13, s9
	s_addc_u32 s13, 0, s14
	s_add_u32 s14, s8, s9
	s_cselect_b64 s[8:9], -1, 0
	s_cmp_lg_u64 s[8:9], 0
	s_addc_u32 s12, s12, s13
	s_mul_i32 s8, s10, s12
	s_mul_hi_u32 s9, s10, s14
	s_add_i32 s8, s9, s8
	s_mul_i32 s11, s11, s14
	s_add_i32 s8, s8, s11
	s_mul_i32 s10, s10, s14
	s_mul_hi_u32 s11, s12, s10
	s_mul_i32 s13, s12, s10
	s_mul_i32 s16, s14, s8
	s_mul_hi_u32 s10, s14, s10
	s_mul_hi_u32 s15, s14, s8
	s_add_u32 s10, s10, s16
	s_addc_u32 s15, 0, s15
	s_add_u32 s10, s10, s13
	s_mul_hi_u32 s9, s12, s8
	s_addc_u32 s10, s15, s11
	s_addc_u32 s9, s9, 0
	s_mul_i32 s8, s12, s8
	s_add_u32 s8, s10, s8
	s_addc_u32 s10, 0, s9
	s_add_u32 s13, s14, s8
	s_cselect_b64 s[8:9], -1, 0
	s_cmp_lg_u64 s[8:9], 0
	s_addc_u32 s12, s12, s10
	s_ashr_i32 s8, s7, 31
	s_add_u32 s10, s6, s8
	s_mov_b32 s9, s8
	s_addc_u32 s11, s7, s8
	s_xor_b64 s[10:11], s[10:11], s[8:9]
	s_mul_i32 s14, s10, s12
	s_mul_hi_u32 s15, s10, s13
	s_mul_hi_u32 s7, s10, s12
	s_add_u32 s14, s15, s14
	s_addc_u32 s7, 0, s7
	s_mul_hi_u32 s16, s11, s13
	s_mul_i32 s13, s11, s13
	s_add_u32 s13, s14, s13
	s_mul_hi_u32 s15, s11, s12
	s_addc_u32 s7, s7, s16
	s_addc_u32 s13, s15, 0
	s_mul_i32 s12, s11, s12
	s_add_u32 s7, s7, s12
	s_addc_u32 s16, 0, s13
	s_mul_i32 s12, s4, s16
	s_mul_hi_u32 s13, s4, s7
	s_add_i32 s12, s13, s12
	s_mul_i32 s13, s5, s7
	s_add_i32 s17, s12, s13
	s_sub_i32 s14, s11, s17
	s_mul_i32 s12, s4, s7
	s_sub_u32 s10, s10, s12
	s_cselect_b64 s[12:13], -1, 0
	s_cmp_lg_u64 s[12:13], 0
	s_subb_u32 s18, s14, s5
	s_sub_u32 s19, s10, s4
	s_cselect_b64 s[14:15], -1, 0
	s_cmp_lg_u64 s[14:15], 0
	s_subb_u32 s14, s18, 0
	s_cmp_ge_u32 s14, s5
	s_cselect_b32 s15, -1, 0
	s_cmp_ge_u32 s19, s4
	s_cselect_b32 s18, -1, 0
	s_cmp_eq_u32 s14, s5
	s_cselect_b32 s14, s18, s15
	s_add_u32 s15, s7, 1
	s_addc_u32 s18, s16, 0
	s_add_u32 s19, s7, 2
	s_addc_u32 s20, s16, 0
	s_cmp_lg_u32 s14, 0
	s_cselect_b32 s14, s19, s15
	s_cselect_b32 s15, s20, s18
	s_cmp_lg_u64 s[12:13], 0
	s_subb_u32 s11, s11, s17
	s_cmp_ge_u32 s11, s5
	s_cselect_b32 s12, -1, 0
	s_cmp_ge_u32 s10, s4
	s_cselect_b32 s4, -1, 0
	s_cmp_eq_u32 s11, s5
	s_cselect_b32 s4, s4, s12
	s_cmp_lg_u32 s4, 0
	s_cselect_b32 s5, s15, s16
	s_cselect_b32 s4, s14, s7
	s_xor_b64 s[8:9], s[8:9], 0
	s_xor_b64 s[4:5], s[4:5], s[8:9]
	s_sub_u32 s4, s4, s8
	v_writelane_b32 v173, s4, 10
	s_nop 1
	v_writelane_b32 v173, s5, 11
	s_load_dwordx2 s[86:87], s[0:1], 0x5c
	s_cbranch_execnz .LBB0_8
.LBB0_7:
	v_rcp_iflag_f32_e32 v1, v1
	s_sub_i32 s2, 0, s49
	v_mul_f32_e32 v1, 0x4f7ffffe, v1
	v_cvt_u32_f32_e32 v1, v1
	s_nop 0
	v_readfirstlane_b32 s3, v1
	s_mul_i32 s2, s2, s3
	s_mul_hi_u32 s2, s3, s2
	s_add_i32 s3, s3, s2
	s_mul_hi_u32 s2, s6, s3
	s_mul_i32 s4, s2, s49
	s_sub_i32 s4, s6, s4
	s_add_i32 s3, s2, 1
	s_sub_i32 s5, s4, s49
	s_cmp_ge_u32 s4, s49
	s_cselect_b32 s2, s3, s2
	s_cselect_b32 s4, s5, s4
	s_add_i32 s3, s2, 1
	s_cmp_ge_u32 s4, s49
	s_cselect_b32 s2, s3, s2
	v_writelane_b32 v173, s2, 10
	s_nop 1
	v_writelane_b32 v173, s3, 11
.LBB0_8:
	s_load_dwordx16 s[56:71], s[0:1], 0x0
	s_load_dwordx4 s[12:15], s[0:1], 0x40
	s_load_dword s2, s[0:1], 0x50
	s_ashr_i32 s44, s75, 3
	v_bfe_u32 v23, v0, 10, 10
	v_bfe_u32 v84, v0, 5, 5
	s_waitcnt lgkmcnt(0)
	v_cvt_f16_f32_e32 v31, s12
	v_writelane_b32 v173, s2, 12
	s_load_dwordx2 s[2:3], s[0:1], 0x8c
	s_load_dwordx4 s[4:7], s[0:1], 0x98
	s_load_dwordx2 s[8:9], s[0:1], 0xa8
	s_load_dwordx2 s[16:17], s[0:1], 0xb8
	s_nop 0
	s_load_dwordx2 s[0:1], s[0:1], 0xc8
	v_lshl_add_u32 v25, v23, 1, v84
	s_waitcnt lgkmcnt(0)
	s_ashr_i32 s74, s2, 2
	s_ashr_i32 s54, s6, 2
	v_writelane_b32 v173, s8, 13
	s_ashr_i32 s48, s17, 1
	v_and_b32_e32 v22, 31, v0
	v_writelane_b32 v173, s9, 14
	v_writelane_b32 v173, s0, 15
	v_lshlrev_b32_e32 v86, 3, v23
	v_lshlrev_b32_e32 v85, 4, v23
	v_writelane_b32 v173, s1, 16
	s_mov_b32 s1, s3
	v_readlane_b32 s8, v173, 1
	s_abs_i32 s33, s8
	v_cvt_f32_u32_e32 v1, s33
	v_writelane_b32 v173, s0, 17
	s_mov_b32 s3, s7
	v_mbcnt_lo_u32_b32 v87, -1, 0
	v_rcp_iflag_f32_e32 v1, v1
	v_writelane_b32 v173, s1, 18
	s_mov_b64 s[0:1], s[4:5]
	v_writelane_b32 v173, s0, 19
	v_mul_f32_e32 v1, 0x4f7ffffe, v1
	v_cvt_u32_f32_e32 v1, v1
	v_writelane_b32 v173, s1, 20
	v_writelane_b32 v173, s2, 21
	;; [unrolled: 1-line block ×3, first 2 shown]
	s_sub_i32 s2, 0, s33
	v_readfirstlane_b32 s4, v1
	s_mul_i32 s2, s2, s4
	s_ashr_i32 s1, s8, 31
	s_mul_hi_u32 s2, s4, s2
	v_writelane_b32 v173, s1, 23
	s_abs_i32 s1, s96
	s_add_i32 s40, s4, s2
	s_mul_hi_u32 s2, s1, s40
	s_mul_i32 s2, s2, s33
	s_sub_i32 s1, s1, s2
	s_ashr_i32 s0, s96, 31
	s_sub_i32 s2, s1, s33
	s_cmp_ge_u32 s1, s33
	s_cselect_b32 s1, s2, s1
	s_sub_i32 s2, s1, s33
	s_cmp_ge_u32 s1, s33
	s_cselect_b32 s1, s2, s1
	s_xor_b32 s1, s1, s0
	s_sub_i32 s38, s1, s0
	v_readlane_b32 s0, v173, 10
	s_mov_b32 s4, s0
	s_sub_i32 s0, s0, s96
	s_add_i32 s2, s0, s38
	s_min_i32 s78, s8, s2
	s_cmp_gt_i32 s4, s96
	v_readlane_b32 s1, v173, 11
	s_cselect_b64 s[6:7], -1, 0
	s_cmp_le_i32 s4, s96
	s_cselect_b64 s[0:1], -1, 0
	s_cmp_gt_i32 s8, s2
	s_cselect_b64 s[4:5], -1, 0
	s_or_b64 s[0:1], s[4:5], s[0:1]
	s_mov_b32 s3, 0
	s_and_b64 vcc, exec, s[0:1]
	s_cbranch_vccz .LBB0_11
; %bb.9:
	s_andn2_b64 vcc, exec, s[6:7]
	s_cbranch_vccz .LBB0_204
.LBB0_10:
	s_endpgm
.LBB0_11:
	s_cmp_lg_u64 s[62:63], 0
	v_writelane_b32 v173, s49, 24
	s_cselect_b64 s[0:1], -1, 0
	v_writelane_b32 v173, s0, 25
	v_and_b32_e32 v24, 0x3ff, v0
	s_cmp_eq_u64 s[64:65], 0
	v_writelane_b32 v173, s1, 26
	s_mul_i32 s0, s72, s73
	v_bfe_u32 v4, v0, 3, 7
	v_lshlrev_b32_e32 v8, 2, v24
	v_writelane_b32 v173, s0, 27
	s_cselect_b64 s[0:1], -1, 0
	v_and_b32_e32 v2, 15, v0
	v_lshrrev_b32_e32 v5, 1, v0
	v_add_u32_e32 v97, v4, v86
	v_and_b32_e32 v30, 28, v8
	v_writelane_b32 v173, s0, 28
	v_mul_u32_u24_e32 v3, 0x90, v2
	v_and_b32_e32 v5, 0x78, v5
	v_mul_u32_u24_e32 v7, 0x90, v97
	v_lshlrev_b32_e32 v8, 2, v30
	v_writelane_b32 v173, s1, 29
	s_mov_b64 s[6:7], s[14:15]
	s_mov_b32 s5, s13
	v_add3_u32 v90, 0, v3, v5
	v_mul_u32_u24_e32 v3, 0x90, v23
	v_lshlrev_b32_e32 v28, 1, v24
	v_add3_u32 v98, 0, v7, v8
	v_lshrrev_b32_e32 v7, 2, v0
	v_writelane_b32 v173, s4, 30
	v_and_b32_e32 v1, 0x7f0, v86
	s_movk_i32 s2, 0x90
	v_add3_u32 v92, 0, v3, v28
	v_and_b32_e32 v3, 16, v85
	v_and_b32_e32 v7, 60, v7
	v_writelane_b32 v173, s5, 31
	v_mad_u32_u24 v91, v1, s2, v90
	v_mul_u32_u24_e32 v96, 0x90, v3
	v_add_u32_e32 v99, v7, v3
	v_or_b32_e32 v1, v1, v2
	v_add_u16_e32 v3, v7, v3
	v_writelane_b32 v173, s6, 32
	v_mad_u32_u24 v1, v1, s2, 0
	v_lshrrev_b16_e32 v3, 1, v3
	v_writelane_b32 v173, s7, 33
	v_cmp_nle_f32_e64 s[0:1], s13, 0
	v_lshl_add_u32 v100, v3, 2, v1
	v_lshlrev_b32_e32 v3, 1, v4
	v_writelane_b32 v173, s0, 34
	s_cmp_lg_u64 s[66:67], 0
	v_and_b32_e32 v6, 8, v86
	s_movk_i32 s4, 0x120
	v_and_b32_e32 v4, 60, v3
	v_or_b32_e32 v7, 2, v3
	v_or_b32_e32 v3, 3, v3
	v_writelane_b32 v173, s1, 35
	s_cselect_b64 s[0:1], -1, 0
	v_mad_u32_u24 v6, v6, s4, 0
	v_mul_u32_u24_e32 v3, 0x90, v3
	v_lshlrev_b32_e32 v8, 1, v2
	v_writelane_b32 v173, s0, 36
	v_add3_u32 v103, v6, v3, v8
	v_bfe_u32 v3, v0, 10, 1
	v_writelane_b32 v173, s1, 37
	v_cmp_eq_u32_e64 s[6:7], 0, v3
	v_and_b32_e32 v3, 0x400, v0
	v_or_b32_e32 v2, v85, v2
	v_writelane_b32 v173, s6, 38
	s_lshl_b32 s2, s52, 5
	v_mul_u32_u24_e32 v2, 0x90, v2
	v_writelane_b32 v173, s7, 39
	v_cmp_ne_u32_e64 s[6:7], 0, v3
	v_or_b32_e32 v3, v86, v24
	v_add_u32_e32 v105, v84, v23
	v_writelane_b32 v173, s6, 40
	s_ashr_i32 s49, s48, 31
	s_ashr_i32 s75, s74, 31
	v_writelane_b32 v173, s7, 41
	s_ashr_i32 s55, s54, 31
	v_mul_u32_u24_e32 v4, 0x90, v4
	v_writelane_b32 v173, s52, 42
	s_lshl_b64 s[6:7], s[2:3], 3
	v_lshlrev_b32_e32 v26, 3, v3
	v_add3_u32 v104, 0, v2, v5
	v_lshlrev_b32_e32 v2, 1, v105
	v_and_b32_e32 v3, 15, v105
	s_movk_i32 s2, 0x3e0
	v_add_u32_e32 v106, 4, v105
	v_mul_u32_u24_e32 v7, 0x90, v7
	v_add3_u32 v101, v6, v4, v8
	s_add_u32 s6, s70, s6
	v_and_or_b32 v2, v2, s2, v3
	v_lshlrev_b32_e32 v4, 1, v106
	v_and_b32_e32 v5, 15, v106
	s_movk_i32 s2, 0x7e0
	v_add_u32_e32 v107, 8, v105
	v_readlane_b32 s20, v173, 7
	v_add3_u32 v102, v6, v7, v8
	s_addc_u32 s7, s71, s7
	v_and_or_b32 v4, v4, s2, v5
	v_lshlrev_b32_e32 v5, 1, v107
	v_and_b32_e32 v6, 15, v107
	v_add_u32_e32 v108, 12, v105
	s_abs_i32 s17, s20
	v_and_or_b32 v5, v5, s2, v6
	v_lshlrev_b32_e32 v6, 1, v108
	v_and_b32_e32 v7, 15, v108
	v_add_u32_e32 v109, 16, v105
	v_cvt_f32_u32_e32 v9, s17
	v_and_or_b32 v6, v6, s2, v7
	v_lshlrev_b32_e32 v7, 1, v109
	v_add_u32_e32 v110, 20, v105
	v_and_or_b32 v3, v7, s2, v3
	v_lshlrev_b32_e32 v7, 1, v110
	v_and_b32_e32 v8, 15, v110
	v_add_u32_e32 v111, 24, v105
	v_and_or_b32 v7, v7, s2, v8
	v_lshlrev_b32_e32 v8, 1, v111
	v_and_b32_e32 v10, 15, v111
	v_add_u32_e32 v112, 28, v105
	v_readlane_b32 s19, v173, 6
	v_and_or_b32 v8, v8, s2, v10
	v_rcp_iflag_f32_e32 v9, v9
	v_lshlrev_b32_e32 v10, 1, v112
	v_and_b32_e32 v11, 15, v112
	s_abs_i32 s21, s19
	v_readlane_b32 s18, v173, 3
	v_and_or_b32 v10, v10, s2, v11
	v_cvt_f32_u32_e32 v11, s21
	s_abs_i32 s22, s18
	v_cvt_f32_u32_e32 v12, s22
	v_mul_f32_e32 v9, 0x4f7ffffe, v9
	v_cvt_u32_f32_e32 v9, v9
	v_rcp_iflag_f32_e32 v11, v11
	v_rcp_iflag_f32_e32 v12, v12
	s_mov_b32 s8, s16
	v_readfirstlane_b32 s2, v9
	v_mul_f32_e32 v9, 0x4f7ffffe, v11
	v_writelane_b32 v173, s8, 43
	s_abs_i32 s23, s16
	v_cvt_u32_f32_e32 v9, v9
	v_mul_f32_e32 v11, 0x4f7ffffe, v12
	v_writelane_b32 v173, s9, 44
	v_cvt_f32_u32_e32 v12, s23
	v_writelane_b32 v173, s17, 45
	s_sub_i32 s17, 0, s17
	s_mul_i32 s17, s17, s2
	s_mul_hi_u32 s17, s2, s17
	v_readfirstlane_b32 s8, v9
	v_rcp_iflag_f32_e32 v9, v12
	s_add_i32 s2, s2, s17
	v_cvt_u32_f32_e32 v11, v11
	v_writelane_b32 v173, s2, 46
	s_sub_i32 s2, 0, s21
	s_mul_i32 s2, s2, s8
	v_add_u32_e32 v113, 32, v99
	v_add_u32_e32 v115, 34, v99
	s_mul_hi_u32 s2, s8, s2
	v_lshl_add_u32 v114, v113, 1, v1
	v_lshl_add_u32 v116, v115, 1, v1
	v_mul_f32_e32 v1, 0x4f7ffffe, v9
	v_writelane_b32 v173, s21, 47
	s_add_i32 s2, s8, s2
	v_readfirstlane_b32 s9, v11
	v_cvt_u32_f32_e32 v1, v1
	v_writelane_b32 v173, s2, 48
	s_sub_i32 s2, 0, s22
	s_mul_i32 s2, s2, s9
	s_mul_hi_u32 s2, s9, s2
	v_writelane_b32 v173, s22, 49
	s_add_i32 s2, s9, s2
	v_readfirstlane_b32 s16, v1
	v_writelane_b32 v173, s2, 50
	s_sub_i32 s2, 0, s23
	s_mul_i32 s2, s2, s16
	s_mul_hi_u32 s2, s16, s2
	v_writelane_b32 v173, s23, 51
	s_add_i32 s2, s16, s2
	v_writelane_b32 v173, s2, 52
	s_lshl_b32 s2, s73, 5
	v_writelane_b32 v173, s2, 53
	s_ashr_i32 s2, s20, 31
	v_writelane_b32 v173, s2, 54
	s_ashr_i32 s2, s19, 31
	v_mov_b32_e32 v27, 0
	v_writelane_b32 v173, s2, 55
	s_ashr_i32 s2, s18, 31
	v_writelane_b32 v173, s2, 56
	v_lshl_add_u64 v[42:43], s[6:7], 0, v[26:27]
	v_cmp_gt_u32_e64 s[6:7], 16, v24
	s_mov_b32 s2, s48
	v_mul_lo_u32 v32, s74, v97
	v_writelane_b32 v173, s6, 57
	v_mul_lo_u32 v36, s54, v97
	v_lshl_add_u32 v34, s74, 5, v32
	v_writelane_b32 v173, s7, 58
	v_cmp_gt_u32_e64 s[6:7], 32, v24
	v_add_u32_e32 v1, v85, v24
	v_lshl_add_u32 v38, s54, 5, v36
	v_writelane_b32 v173, s6, 59
                                        ; implicit-def: $vgpr172 : SGPR spill to VGPR lane
	s_mov_b32 s0, 0x10001
	v_ashrrev_i32_e32 v33, 31, v32
	v_writelane_b32 v173, s7, 60
	v_writelane_b32 v173, s2, 61
	s_lshl_b64 s[6:7], s[48:49], 1
	v_ashrrev_i32_e32 v35, 31, v34
	v_writelane_b32 v173, s3, 62
	v_add_u32_e32 v9, v85, v22
	v_ashrrev_i32_e32 v37, 31, v36
	v_ashrrev_i32_e32 v39, 31, v38
	v_mul_u32_u24_e32 v117, 0x90, v1
	v_and_b32_e32 v1, 7, v0
	v_writelane_b32 v173, s6, 63
	s_mov_b64 s[92:93], src_private_base
	v_mul_lo_u32 v88, v31, s0
	v_writelane_b32 v172, s7, 0
	v_lshl_add_u32 v89, v22, 2, 0
	v_cmp_lt_u32_e64 s[0:1], 63, v24
	v_add_u32_e32 v93, 4, v23
	v_add_u32_e32 v94, 0x240, v92
	;; [unrolled: 1-line block ×3, first 2 shown]
	v_cmp_gt_u32_e64 s[50:51], 64, v97
	v_cmp_gt_u32_e64 s[4:5], 32, v97
	;; [unrolled: 1-line block ×5, first 2 shown]
	v_mul_u32_u24_e32 v118, 0x90, v9
	v_add_u32_e32 v119, 0x480, v92
	v_mul_u32_u24_e32 v120, 0x90, v2
	v_mul_u32_u24_e32 v121, 0x90, v4
	;; [unrolled: 1-line block ×8, first 2 shown]
	v_add_u32_e32 v128, 12, v23
	v_lshlrev_b32_e32 v40, 4, v1
	v_mov_b32_e32 v29, v27
	v_mov_b32_e32 v41, v27
	v_add_u32_e32 v129, 0x6c0, v92
	v_add_u32_e32 v130, 16, v23
	;; [unrolled: 1-line block ×5, first 2 shown]
	s_mov_b32 s73, 0x42b17218
	v_add_u32_e32 v134, 24, v23
	s_mov_b32 s97, 0x3fb8aa3b
	v_add_u32_e32 v135, 0xd80, v92
	s_mov_b32 s98, 0xc2ce8ed0
	v_add_u32_e32 v136, 28, v23
	v_add_u32_e32 v137, 0xfc0, v92
	s_mov_b32 s26, 0xc1a00000
	v_add_u32_e32 v138, 32, v97
	s_mov_b32 s27, 0x5040100
	v_mov_b32_e32 v164, v27
	v_mov_b32_e32 v165, v27
	;; [unrolled: 1-line block ×4, first 2 shown]
	v_add_u32_e32 v139, 0x1200, v98
	v_or_b32_e32 v140, 1, v99
	v_or_b32_e32 v141, 2, v99
	;; [unrolled: 1-line block ×3, first 2 shown]
	v_add_u32_e32 v143, 33, v99
	v_add_u32_e32 v144, 35, v99
	v_mul_u32_u24_e32 v145, 0x90, v25
	v_add_u32_e32 v146, 8, v25
	v_add_u32_e32 v147, 16, v25
	;; [unrolled: 1-line block ×3, first 2 shown]
	v_mov_b32_e32 v149, 0x3e91f4c4
	v_mov_b32_e32 v150, 0x37000000
	;; [unrolled: 1-line block ×4, first 2 shown]
	v_mbcnt_hi_u32_b32 v153, -1, v87
	v_mov_b32_e32 v154, 0
	v_lshl_add_u64 v[44:45], v[36:37], 2, s[60:61]
	v_lshl_add_u64 v[46:47], v[38:39], 2, s[60:61]
	;; [unrolled: 1-line block ×4, first 2 shown]
	v_cmp_gt_u32_e64 s[16:17], 61, v99
	v_cmp_gt_u32_e64 s[18:19], 32, v99
	;; [unrolled: 1-line block ×5, first 2 shown]
	s_lshl_b64 s[80:81], s[54:55], 8
	s_lshl_b64 s[82:83], s[74:75], 8
	s_mov_b64 s[84:85], 0x80
	v_writelane_b32 v172, s44, 1
                                        ; implicit-def: $vgpr1
	v_writelane_b32 v172, s40, 2
	s_branch .LBB0_14
.LBB0_12:                               ;   in Loop: Header=BB0_14 Depth=1
	s_or_b64 exec, exec, s[6:7]
	s_barrier
.LBB0_13:                               ;   in Loop: Header=BB0_14 Depth=1
	v_readlane_b32 s9, v173, 1
	s_add_i32 s2, s96, s9
	s_abs_i32 s7, s2
	v_readlane_b32 s40, v172, 2
	s_mul_hi_u32 s8, s7, s40
	s_mul_i32 s8, s8, s33
	s_sub_i32 s7, s7, s8
	s_ashr_i32 s6, s2, 31
	s_sub_i32 s8, s7, s33
	s_cmp_ge_u32 s7, s33
	s_cselect_b32 s7, s8, s7
	s_sub_i32 s8, s7, s33
	s_cmp_ge_u32 s7, s33
	s_cselect_b32 s7, s8, s7
	s_xor_b32 s7, s7, s6
	s_sub_i32 s6, s6, s7
	s_add_i32 s96, s2, s6
	v_readlane_b32 s6, v173, 10
	s_sub_i32 s2, s6, s96
	s_min_i32 s78, s9, s2
	v_readlane_b32 s7, v173, 11
	s_cmp_gt_i32 s6, s96
	s_cselect_b64 s[6:7], -1, 0
	s_cmp_le_i32 s9, s2
	s_cselect_b64 s[8:9], -1, 0
	s_and_b64 s[8:9], s[8:9], s[6:7]
	s_mov_b32 s38, 0
	s_and_b64 vcc, exec, s[8:9]
	s_cbranch_vccz .LBB0_203
.LBB0_14:                               ; =>This Loop Header: Depth=1
                                        ;     Child Loop BB0_137 Depth 2
                                        ;     Child Loop BB0_39 Depth 2
	s_ashr_i32 s2, s96, 31
	v_readlane_b32 s6, v173, 54
	s_xor_b32 s2, s2, s6
	s_abs_i32 s6, s96
	v_readlane_b32 s7, v173, 46
	s_mul_hi_u32 s7, s6, s7
	v_readlane_b32 s28, v173, 45
	s_mul_i32 s8, s7, s28
	s_sub_i32 s6, s6, s8
	s_add_i32 s8, s7, 1
	s_sub_i32 s9, s6, s28
	s_cmp_ge_u32 s6, s28
	s_cselect_b32 s7, s8, s7
	s_cselect_b32 s6, s9, s6
	s_add_i32 s8, s7, 1
	s_cmp_ge_u32 s6, s28
	s_cselect_b32 s6, s8, s7
	s_xor_b32 s6, s6, s2
	s_sub_i32 s36, s6, s2
	v_readlane_b32 s6, v173, 25
	v_readlane_b32 s7, v173, 26
	s_ashr_i32 s37, s36, 31
	s_andn2_b64 vcc, exec, s[6:7]
	s_mov_b64 s[8:9], 0
	s_cbranch_vccnz .LBB0_16
; %bb.15:                               ;   in Loop: Header=BB0_14 Depth=1
	s_abs_i32 s2, s36
	v_readlane_b32 s6, v173, 52
	s_mul_hi_u32 s6, s2, s6
	v_readlane_b32 s7, v173, 51
	s_mul_i32 s6, s6, s7
	s_sub_i32 s2, s2, s6
	s_sub_i32 s6, s2, s7
	s_cmp_ge_u32 s2, s7
	s_cselect_b32 s2, s6, s2
	s_sub_i32 s6, s2, s7
	s_cmp_ge_u32 s2, s7
	s_cselect_b32 s2, s6, s2
	s_xor_b32 s2, s2, s37
	s_sub_i32 s2, s2, s37
	s_ashr_i32 s6, s2, 31
	v_readlane_b32 s8, v173, 15
	v_readlane_b32 s9, v173, 16
	s_mul_i32 s6, s8, s6
	s_mul_hi_u32 s7, s8, s2
	s_add_i32 s6, s7, s6
	s_mul_i32 s7, s9, s2
	s_add_i32 s6, s6, s7
	s_mul_i32 s2, s8, s2
	s_add_u32 s8, s62, s2
	s_addc_u32 s9, s63, s6
.LBB0_16:                               ;   in Loop: Header=BB0_14 Depth=1
	v_readlane_b32 s2, v173, 7
	s_mul_i32 s2, s36, s2
	s_sub_i32 s2, s96, s2
	s_ashr_i32 s6, s2, 31
	v_readlane_b32 s7, v173, 55
	s_xor_b32 s6, s6, s7
	s_abs_i32 s7, s2
	v_readlane_b32 s28, v173, 48
	s_mul_hi_u32 s28, s7, s28
	v_readlane_b32 s31, v173, 47
	s_mul_i32 s29, s28, s31
	s_sub_i32 s7, s7, s29
	s_add_i32 s29, s28, 1
	s_sub_i32 s30, s7, s31
	s_cmp_ge_u32 s7, s31
	s_cselect_b32 s28, s29, s28
	s_cselect_b32 s7, s30, s7
	s_add_i32 s29, s28, 1
	s_cmp_ge_u32 s7, s31
	s_cselect_b32 s7, s29, s28
	s_xor_b32 s7, s7, s6
	s_sub_i32 s39, s7, s6
	v_readlane_b32 s6, v173, 6
	s_mul_i32 s6, s39, s6
	s_sub_i32 s2, s2, s6
	s_ashr_i32 s6, s2, 31
	v_readlane_b32 s7, v173, 56
	s_xor_b32 s6, s6, s7
	s_abs_i32 s7, s2
	v_readlane_b32 s28, v173, 50
	s_mul_hi_u32 s28, s7, s28
	v_readlane_b32 s31, v173, 49
	s_mul_i32 s29, s28, s31
	s_sub_i32 s7, s7, s29
	s_add_i32 s29, s28, 1
	s_sub_i32 s30, s7, s31
	s_cmp_ge_u32 s7, s31
	s_cselect_b32 s28, s29, s28
	s_cselect_b32 s7, s30, s7
	s_add_i32 s29, s28, 1
	s_cmp_ge_u32 s7, s31
	s_cselect_b32 s7, s29, s28
	s_xor_b32 s7, s7, s6
	s_sub_i32 s7, s7, s6
	v_readlane_b32 s6, v173, 2
	v_readlane_b32 s28, v173, 34
	s_mul_i32 s6, s39, s6
	v_readlane_b32 s29, v173, 35
	s_add_i32 s6, s6, s7
	s_andn2_b64 vcc, exec, s[28:29]
	v_mov_b32_e32 v52, 1.0
	s_cbranch_vccnz .LBB0_18
; %bb.17:                               ;   in Loop: Header=BB0_14 Depth=1
	v_readlane_b32 s28, v173, 12
	s_brev_b32 s41, -2
	s_nop 0
	v_mov_b32_e32 v1, s28
	v_readlane_b32 s28, v173, 30
	v_sub_co_u32_e32 v1, vcc, s6, v1
	s_add_i32 s28, s6, 1
	v_lshlrev_b32_e32 v1, 1, v1
	v_mov_b32_e32 v3, s28
	v_or_b32_e32 v1, 1, v1
	v_cndmask_b32_e32 v1, v1, v3, vcc
	v_readlane_b32 s30, v173, 32
	v_readlane_b32 s31, v173, 33
	v_cvt_f32_i32_e32 v1, v1
	v_mov_b32_e32 v3, s30
	v_mov_b32_e32 v2, s31
	v_cndmask_b32_e32 v2, v2, v3, vcc
	v_cmp_neq_f32_e32 vcc, 1.0, v2
	s_mov_b32 s28, 0x3f2aaaab
	v_readlane_b32 s29, v173, 31
	v_cndmask_b32_e32 v1, 1.0, v1, vcc
	v_cmp_neq_f32_e32 vcc, 0, v1
	s_movk_i32 s29, 0x204
	v_cmp_gt_f32_e64 s[34:35], 0, v1
	v_cndmask_b32_e32 v18, 1.0, v2, vcc
	v_frexp_mant_f32_e64 v2, |v18|
	v_cmp_gt_f32_e32 vcc, s28, v2
	s_mov_b32 s28, 0x3f317218
	s_nop 0
	v_cndmask_b32_e64 v3, 1.0, 2.0, vcc
	v_mul_f32_e32 v2, v2, v3
	v_add_f32_e32 v5, 1.0, v2
	v_rcp_f32_e32 v10, v5
	v_add_f32_e32 v3, -1.0, v5
	v_sub_f32_e32 v7, v2, v3
	v_add_f32_e32 v3, -1.0, v2
	v_mul_f32_e32 v11, v3, v10
	v_mul_f32_e32 v4, v5, v11
	v_fma_f32 v6, v11, v5, -v4
	v_fmac_f32_e32 v6, v11, v7
	v_add_f32_e32 v2, v4, v6
	v_sub_f32_e32 v5, v3, v2
	v_pk_add_f32 v[8:9], v[2:3], v[4:5] neg_lo:[0,1] neg_hi:[0,1]
	v_mov_b32_e32 v7, v2
	v_pk_add_f32 v[2:3], v[8:9], v[6:7] neg_lo:[0,1] neg_hi:[0,1]
	s_nop 0
	v_add_f32_e32 v2, v2, v3
	v_add_f32_e32 v2, v5, v2
	v_mul_f32_e32 v3, v10, v2
	v_add_f32_e32 v2, v11, v3
	v_sub_f32_e32 v4, v2, v11
	v_sub_f32_e32 v12, v3, v4
	v_mul_f32_e32 v3, v2, v2
	v_fma_f32 v5, v2, v2, -v3
	v_add_f32_e32 v4, v12, v12
	v_fmac_f32_e32 v5, v2, v4
	v_add_f32_e32 v4, v3, v5
	v_fmamk_f32 v6, v4, 0x3e76c4e1, v149
	v_fmaak_f32 v6, v4, v6, 0x3ecccdef
	v_sub_f32_e32 v3, v4, v3
	v_sub_f32_e32 v13, v5, v3
	v_mul_f32_e32 v3, v4, v6
	v_fma_f32 v5, v4, v6, -v3
	v_fmac_f32_e32 v5, v13, v6
	v_add_f32_e32 v6, v3, v5
	v_add_f32_e32 v7, 0x3f2aaaaa, v6
	v_sub_f32_e32 v3, v6, v3
	v_sub_f32_e32 v3, v5, v3
	v_add_f32_e32 v5, 0xbf2aaaaa, v7
	v_add_f32_e32 v3, 0x31739010, v3
	v_sub_f32_e32 v5, v6, v5
	v_pk_mul_f32 v[8:9], v[2:3], v[4:5]
	v_pk_add_f32 v[10:11], v[2:3], v[4:5]
	v_fma_f32 v6, v4, v2, -v8
	v_fmac_f32_e32 v6, v4, v12
	v_mov_b32_e32 v9, v11
	v_fmac_f32_e32 v6, v13, v2
	v_pk_add_f32 v[4:5], v[8:9], v[6:7]
	v_ldexp_f32 v14, v12, 1
	v_sub_f32_e32 v3, v4, v8
	v_sub_f32_e32 v3, v6, v3
	;; [unrolled: 1-line block ×3, first 2 shown]
	v_add_f32_e32 v10, v11, v6
	v_pk_mul_f32 v[6:7], v[4:5], v[4:5] op_sel:[0,1] op_sel_hi:[1,0]
	v_cvt_f64_f32_e64 v[8:9], |v18|
	v_frexp_exp_i32_f64_e32 v7, v[8:9]
	v_subbrev_co_u32_e32 v7, vcc, 0, v7, vcc
	v_cvt_f32_i32_e32 v7, v7
	v_fma_f32 v8, v4, v5, -v6
	v_fmac_f32_e32 v8, v4, v10
	v_fmac_f32_e32 v8, v3, v5
	v_mul_f32_e32 v4, 0x3f317218, v7
	v_fma_f32 v10, v7, s28, -v4
	v_fmac_f32_e32 v10, 0xb102e308, v7
	v_ldexp_f32 v11, v2, 1
	v_add_f32_e32 v5, v6, v8
	v_pk_add_f32 v[2:3], v[4:5], v[10:11]
	v_mov_b32_e32 v12, v5
	v_mov_b32_e32 v13, v3
	;; [unrolled: 1-line block ×3, first 2 shown]
	v_pk_add_f32 v[6:7], v[12:13], v[6:7] neg_lo:[0,1] neg_hi:[0,1]
	v_mov_b32_e32 v9, v5
	v_pk_add_f32 v[6:7], v[8:9], v[6:7] neg_lo:[0,1] neg_hi:[0,1]
	v_mov_b32_e32 v11, v2
	v_add_f32_e32 v5, v14, v6
	v_add_f32_e32 v5, v5, v7
	v_pk_add_f32 v[6:7], v[2:3], v[4:5] neg_lo:[0,1] neg_hi:[0,1]
	v_pk_add_f32 v[8:9], v[2:3], v[4:5]
	v_mov_b32_e32 v16, v3
	v_mov_b32_e32 v7, v9
	v_pk_add_f32 v[12:13], v[10:11], v[6:7] neg_lo:[0,1] neg_hi:[0,1]
	v_pk_add_f32 v[6:7], v[10:11], v[6:7]
	v_mov_b32_e32 v4, v5
	v_pk_add_f32 v[10:11], v[6:7], v[2:3] op_sel:[1,0] op_sel_hi:[0,1] neg_lo:[0,1] neg_hi:[0,1]
	v_pk_add_f32 v[14:15], v[8:9], v[10:11] op_sel_hi:[1,0] neg_lo:[0,1] neg_hi:[0,1]
	v_mov_b32_e32 v8, v9
	v_mov_b32_e32 v9, v7
	;; [unrolled: 1-line block ×3, first 2 shown]
	v_pk_add_f32 v[8:9], v[8:9], v[16:17] neg_lo:[0,1] neg_hi:[0,1]
	v_mov_b32_e32 v5, v2
	v_pk_add_f32 v[2:3], v[4:5], v[8:9] neg_lo:[0,1] neg_hi:[0,1]
	v_mov_b32_e32 v14, v12
	v_pk_add_f32 v[4:5], v[14:15], v[2:3]
	v_mov_b32_e32 v13, v7
	v_pk_add_f32 v[8:9], v[4:5], v[4:5] op_sel:[0,1] op_sel_hi:[1,0]
	s_mov_b32 s28, 0x7f800000
	v_pk_add_f32 v[6:7], v[6:7], v[8:9] op_sel:[1,0] op_sel_hi:[0,1]
	v_mov_b32_e32 v5, v6
	v_pk_add_f32 v[10:11], v[4:5], v[12:13] neg_lo:[0,1] neg_hi:[0,1]
	v_mov_b32_e32 v3, v8
	v_sub_f32_e32 v4, v4, v10
	v_pk_add_f32 v[2:3], v[2:3], v[10:11] neg_lo:[0,1] neg_hi:[0,1]
	v_sub_f32_e32 v4, v12, v4
	v_add_f32_e32 v2, v2, v4
	v_add_f32_e32 v2, v2, v3
	;; [unrolled: 1-line block ×3, first 2 shown]
	v_sub_f32_e32 v4, v3, v6
	v_sub_f32_e32 v2, v2, v4
	v_mul_f32_e32 v4, v1, v3
	v_fma_f32 v3, v1, v3, -v4
	v_fmac_f32_e32 v3, v1, v2
	v_add_f32_e32 v2, v4, v3
	v_cmp_class_f32_e64 vcc, v4, s29
	v_sub_f32_e32 v5, v2, v4
	v_sub_f32_e32 v3, v3, v5
	v_cndmask_b32_e32 v2, v2, v4, vcc
	v_cmp_eq_f32_e32 vcc, s73, v2
	s_nop 1
	v_cndmask_b32_e32 v4, 0, v150, vcc
	v_sub_f32_e32 v5, v2, v4
	v_mul_f32_e32 v6, 0x3fb8aa3b, v5
	v_fma_f32 v7, v5, s97, -v6
	v_rndne_f32_e32 v8, v6
	v_fmac_f32_e32 v7, 0x32a5705f, v5
	v_sub_f32_e32 v6, v6, v8
	v_add_f32_e32 v6, v6, v7
	v_exp_f32_e32 v6, v6
	v_cvt_i32_f32_e32 v7, v8
	v_cmp_neq_f32_e64 vcc, |v2|, s28
	s_nop 1
	v_cndmask_b32_e32 v2, 0, v3, vcc
	v_ldexp_f32 v3, v6, v7
	v_cmp_ngt_f32_e32 vcc, s98, v5
	v_add_f32_e32 v2, v4, v2
	s_nop 0
	v_cndmask_b32_e32 v3, 0, v3, vcc
	v_cmp_nlt_f32_e32 vcc, s73, v5
	s_nop 1
	v_cndmask_b32_e32 v3, v151, v3, vcc
	v_fma_f32 v2, v3, v2, v3
	v_cmp_class_f32_e64 vcc, v3, s29
	v_cmp_class_f32_e64 s[28:29], v18, s29
	s_nop 0
	v_cndmask_b32_e32 v2, v2, v3, vcc
	v_trunc_f32_e32 v3, v1
	v_cmp_eq_f32_e32 vcc, v3, v1
	v_mul_f32_e32 v3, 0.5, v1
	v_trunc_f32_e32 v4, v3
	v_cmp_neq_f32_e64 s[30:31], v4, v3
	s_and_b64 s[30:31], vcc, s[30:31]
	s_nop 0
	v_cndmask_b32_e64 v3, 1.0, v18, s[30:31]
	v_bfi_b32 v2, s41, v2, v3
	v_cndmask_b32_e32 v3, v152, v2, vcc
	v_cmp_gt_f32_e32 vcc, 0, v18
	s_nop 1
	v_cndmask_b32_e32 v2, v2, v3, vcc
	v_cmp_eq_f32_e32 vcc, 0, v18
	s_xor_b64 s[34:35], s[34:35], vcc
	v_cndmask_b32_e64 v1, v151, 0, s[34:35]
	v_cndmask_b32_e64 v3, 0, v18, s[30:31]
	v_bfi_b32 v1, s41, v1, v3
	s_or_b64 vcc, vcc, s[28:29]
	v_cndmask_b32_e32 v1, v2, v1, vcc
	v_cmp_o_f32_e32 vcc, v18, v18
	s_nop 1
	v_cndmask_b32_e32 v52, v152, v1, vcc
.LBB0_18:                               ;   in Loop: Header=BB0_14 Depth=1
	v_readlane_b32 s28, v173, 3
	s_mul_i32 s7, s7, s28
	s_sub_i32 s2, s2, s7
	s_ashr_i32 s7, s2, 31
	v_readlane_b32 s28, v173, 23
	s_abs_i32 s2, s2
	s_xor_b32 s7, s7, s28
	s_mul_hi_u32 s28, s2, s40
	s_mul_i32 s29, s28, s33
	s_sub_i32 s2, s2, s29
	s_add_i32 s29, s28, 1
	s_sub_i32 s30, s2, s33
	s_cmp_ge_u32 s2, s33
	s_cselect_b32 s28, s29, s28
	s_cselect_b32 s2, s30, s2
	s_add_i32 s29, s28, 1
	s_cmp_ge_u32 s2, s33
	s_cselect_b32 s2, s29, s28
	v_readlane_b32 s28, v173, 36
	s_xor_b32 s2, s2, s7
	v_readlane_b32 s29, v173, 37
	s_andn2_b64 vcc, exec, s[28:29]
	s_sub_i32 s99, s2, s7
	s_cbranch_vccnz .LBB0_20
; %bb.19:                               ;   in Loop: Header=BB0_14 Depth=1
	v_readlane_b32 s2, v173, 0
	s_mul_i32 s2, s36, s2
	s_add_i32 s28, s99, s2
	s_ashr_i32 s29, s28, 31
	s_lshl_b64 s[28:29], s[28:29], 2
	s_add_u32 s28, s66, s28
	s_addc_u32 s29, s67, s29
	global_load_dword v1, v27, s[28:29]
	s_waitcnt vmcnt(0)
	v_readfirstlane_b32 s2, v1
	s_ashr_i32 s7, s2, 31
	s_lshr_b32 s7, s7, 26
	s_add_i32 s2, s2, s7
	s_ashr_i32 s2, s2, 6
	s_min_i32 s78, s78, s2
.LBB0_20:                               ;   in Loop: Header=BB0_14 Depth=1
	v_readlane_b32 s2, v173, 27
	s_mul_i32 s2, s2, s36
	s_add_i32 s2, s6, s2
	s_lshl_b32 s2, s2, 5
	s_lshl_b64 s[28:29], s[2:3], 3
	s_add_u32 s28, s68, s28
	s_addc_u32 s29, s69, s29
	v_writelane_b32 v172, s28, 3
	v_readlane_b32 s40, v173, 19
	v_readlane_b32 s43, v173, 22
	v_writelane_b32 v172, s29, 4
	v_readlane_b32 s28, v173, 13
	v_readlane_b32 s29, v173, 14
	s_mul_i32 s2, s28, s37
	s_mul_hi_u32 s7, s28, s36
	s_add_i32 s2, s7, s2
	s_mul_i32 s7, s29, s36
	s_add_i32 s2, s2, s7
	s_mul_i32 s7, s28, s36
	v_writelane_b32 v172, s7, 5
	s_add_u32 s7, s60, s7
	v_writelane_b32 v172, s2, 6
	s_addc_u32 s28, s61, s2
	s_mul_i32 s2, s39, s43
	s_ashr_i32 s29, s2, 31
	s_add_u32 s89, s7, s2
	s_addc_u32 s94, s28, s29
	s_ashr_i32 s7, s6, 31
	v_writelane_b32 v172, s29, 7
	s_lshl_b64 s[28:29], s[6:7], 2
	s_add_u32 s7, s64, s28
	s_addc_u32 s30, s65, s29
	v_readlane_b32 s28, v173, 28
	v_readlane_b32 s29, v173, 29
	s_and_b64 s[28:29], s[28:29], exec
	s_cselect_b32 s91, 0, s30
	v_readlane_b32 s30, v173, 8
	v_readlane_b32 s31, v173, 9
	s_cselect_b32 s90, 0, s7
	s_mul_i32 s7, s36, s31
	s_ashr_i32 s28, s7, 31
	s_add_u32 s7, s56, s7
	s_mul_i32 s6, s6, s30
	s_addc_u32 s29, s57, s28
	s_ashr_i32 s30, s6, 31
	v_readlane_b32 s41, v173, 20
	s_add_u32 s28, s7, s6
	s_mul_i32 s6, s40, s37
	s_mul_hi_u32 s7, s40, s36
	s_addc_u32 s29, s29, s30
	s_add_i32 s6, s7, s6
	s_mul_i32 s7, s41, s36
	v_readlane_b32 s30, v173, 17
	s_add_i32 s7, s6, s7
	s_mul_i32 s6, s40, s36
	v_readlane_b32 s31, v173, 18
	v_writelane_b32 v172, s6, 8
	s_add_u32 s6, s58, s6
	s_mul_i32 s88, s39, s31
	s_mov_b32 s77, s7
	s_addc_u32 s7, s59, s7
	s_ashr_i32 s30, s88, 31
	s_add_u32 s95, s6, s88
	s_addc_u32 s92, s7, s30
	s_mov_b32 s79, s30
	s_cmp_lg_u32 s38, 0
	v_readlane_b32 s42, v173, 21
	s_cbranch_scc0 .LBB0_49
; %bb.21:                               ;   in Loop: Header=BB0_14 Depth=1
	s_lshl_b32 s76, s99, 5
	v_add_u32_e32 v1, s76, v25
	v_cmp_le_i32_e32 vcc, s72, v1
	s_and_saveexec_b64 s[6:7], vcc
	s_xor_b64 s[6:7], exec, s[6:7]
; %bb.22:                               ;   in Loop: Header=BB0_14 Depth=1
	v_add_u32_e32 v1, v89, v145
	ds_write_b32 v1, v27
                                        ; implicit-def: $vgpr1
; %bb.23:                               ;   in Loop: Header=BB0_14 Depth=1
	s_andn2_saveexec_b64 s[6:7], s[6:7]
	s_cbranch_execz .LBB0_25
; %bb.24:                               ;   in Loop: Header=BB0_14 Depth=1
	v_mad_u64_u32 v[2:3], s[30:31], v1, s44, v[22:23]
	v_ashrrev_i32_e32 v3, 31, v2
	v_lshl_add_u64 v[2:3], v[2:3], 3, s[28:29]
	global_load_dwordx2 v[2:3], v[2:3], off
	s_waitcnt vmcnt(0)
	v_cvt_pk_f16_f32 v1, v2, v3
	v_pk_mul_f16 v1, v1, v88
	v_add_u32_e32 v2, v89, v145
	ds_write_b32 v2, v1
.LBB0_25:                               ;   in Loop: Header=BB0_14 Depth=1
	s_or_b64 exec, exec, s[6:7]
	v_add_u32_e32 v1, s76, v146
	v_cmp_le_i32_e32 vcc, s72, v1
	s_and_saveexec_b64 s[6:7], vcc
	s_xor_b64 s[6:7], exec, s[6:7]
; %bb.26:                               ;   in Loop: Header=BB0_14 Depth=1
	v_add_u32_e32 v1, v89, v145
	ds_write_b32 v1, v27 offset:1152
                                        ; implicit-def: $vgpr1
; %bb.27:                               ;   in Loop: Header=BB0_14 Depth=1
	s_andn2_saveexec_b64 s[6:7], s[6:7]
	s_cbranch_execz .LBB0_29
; %bb.28:                               ;   in Loop: Header=BB0_14 Depth=1
	v_mad_u64_u32 v[2:3], s[30:31], v1, s44, v[22:23]
	v_ashrrev_i32_e32 v3, 31, v2
	v_lshl_add_u64 v[2:3], v[2:3], 3, s[28:29]
	global_load_dwordx2 v[2:3], v[2:3], off
	s_waitcnt vmcnt(0)
	v_cvt_pk_f16_f32 v1, v2, v3
	v_pk_mul_f16 v1, v1, v88
	v_add_u32_e32 v2, v89, v145
	ds_write_b32 v2, v1 offset:1152
.LBB0_29:                               ;   in Loop: Header=BB0_14 Depth=1
	s_or_b64 exec, exec, s[6:7]
	v_add_u32_e32 v1, s76, v147
	v_cmp_le_i32_e32 vcc, s72, v1
	s_and_saveexec_b64 s[6:7], vcc
	s_xor_b64 s[6:7], exec, s[6:7]
; %bb.30:                               ;   in Loop: Header=BB0_14 Depth=1
	v_add_u32_e32 v1, v89, v145
	ds_write_b32 v1, v27 offset:2304
                                        ; implicit-def: $vgpr1
; %bb.31:                               ;   in Loop: Header=BB0_14 Depth=1
	s_andn2_saveexec_b64 s[6:7], s[6:7]
	s_cbranch_execz .LBB0_33
; %bb.32:                               ;   in Loop: Header=BB0_14 Depth=1
	v_mad_u64_u32 v[2:3], s[30:31], v1, s44, v[22:23]
	v_ashrrev_i32_e32 v3, 31, v2
	v_lshl_add_u64 v[2:3], v[2:3], 3, s[28:29]
	global_load_dwordx2 v[2:3], v[2:3], off
	s_waitcnt vmcnt(0)
	v_cvt_pk_f16_f32 v1, v2, v3
	v_pk_mul_f16 v1, v1, v88
	v_add_u32_e32 v2, v89, v145
	ds_write_b32 v2, v1 offset:2304
.LBB0_33:                               ;   in Loop: Header=BB0_14 Depth=1
	;; [unrolled: 23-line block ×3, first 2 shown]
	s_or_b64 exec, exec, s[6:7]
	s_waitcnt lgkmcnt(0)
	s_barrier
	ds_read2_b64 v[6:9], v91 offset1:4
	ds_read2_b64 v[2:5], v91 offset0:8 offset1:12
	s_add_i32 s39, s78, -1
	s_cmp_ge_i32 s38, s39
	s_waitcnt lgkmcnt(0)
	s_barrier
	s_cbranch_scc1 .LBB0_50
; %bb.38:                               ;   in Loop: Header=BB0_14 Depth=1
	v_add_u32_e32 v1, s76, v23
	v_mul_hi_u32 v10, s86, v1
	v_add_u32_e32 v10, v1, v10
	v_lshrrev_b32_e32 v10, s87, v10
	v_mul_lo_u32 v10, v10, s72
	v_readlane_b32 s6, v173, 61
	v_sub_u32_e32 v1, v1, v10
	v_readlane_b32 s7, v173, 62
	s_mov_b32 s30, s6
	v_mad_i64_i32 v[56:57], s[6:7], v1, s30, 0
	v_add_u32_e32 v1, s76, v93
	v_mul_hi_u32 v10, s86, v1
	v_add_u32_e32 v10, v1, v10
	v_lshrrev_b32_e32 v10, s87, v10
	v_mul_lo_u32 v10, v10, s72
	v_sub_u32_e32 v1, v1, v10
	v_mad_i64_i32 v[58:59], s[6:7], v1, s30, 0
	v_add_u32_e32 v1, s76, v95
	v_mul_hi_u32 v10, s86, v1
	v_add_u32_e32 v10, v1, v10
	v_lshrrev_b32_e32 v10, s87, v10
	v_mul_lo_u32 v10, v10, s72
	v_sub_u32_e32 v1, v1, v10
	;; [unrolled: 7-line block ×7, first 2 shown]
	v_mad_i64_i32 v[70:71], s[6:7], v1, s30, 0
	v_and_b32_e32 v1, 64, v153
	v_add_u32_e32 v1, 64, v1
	v_xor_b32_e32 v10, 32, v153
	v_cmp_lt_i32_e32 vcc, v10, v1
	s_cmp_lg_u64 s[8:9], 0
	v_lshlrev_b32_e32 v26, 1, v24
	v_cndmask_b32_e32 v10, v153, v10, vcc
	v_lshlrev_b32_e32 v79, 2, v10
	v_xor_b32_e32 v10, 16, v153
	v_cmp_lt_i32_e32 vcc, v10, v1
	s_cselect_b64 s[34:35], -1, 0
	v_lshl_add_u64 v[54:55], s[8:9], 0, v[26:27]
	v_cndmask_b32_e32 v1, v153, v10, vcc
	v_lshlrev_b32_e32 v80, 2, v1
	v_mov_b32_e32 v72, v52
	v_mov_b32_e32 v73, v52
	s_lshl_b32 s36, s38, 6
	v_mov_b32_e32 v75, 0
	v_mov_b32_e32 v156, 0xfeffffff
	;; [unrolled: 1-line block ×10, first 2 shown]
.LBB0_39:                               ;   Parent Loop BB0_14 Depth=1
                                        ; =>  This Inner Loop Header: Depth=2
	v_cndmask_b32_e64 v1, 0, 1, s[34:35]
	v_cmp_ne_u32_e64 s[30:31], 1, v1
	s_andn2_b64 vcc, exec, s[34:35]
	s_ashr_i32 s37, s36, 31
	s_cbranch_vccnz .LBB0_45
; %bb.40:                               ;   in Loop: Header=BB0_39 Depth=2
	s_and_saveexec_b64 s[6:7], s[0:1]
	s_xor_b64 s[6:7], exec, s[6:7]
	s_cbranch_execz .LBB0_42
; %bb.41:                               ;   in Loop: Header=BB0_39 Depth=2
	ds_write_b16 v92, v27 offset:9216
	ds_write_b16 v94, v27 offset:9216
	;; [unrolled: 1-line block ×4, first 2 shown]
.LBB0_42:                               ;   in Loop: Header=BB0_39 Depth=2
	s_or_saveexec_b64 s[6:7], s[6:7]
	v_mov_b32_e32 v1, 0
	v_mov_b32_e32 v10, 0
	;; [unrolled: 1-line block ×4, first 2 shown]
	s_xor_b64 exec, exec, s[6:7]
	s_cbranch_execz .LBB0_44
; %bb.43:                               ;   in Loop: Header=BB0_39 Depth=2
	v_lshl_add_u64 v[12:13], s[36:37], 1, v[54:55]
	v_lshl_add_u64 v[10:11], v[56:57], 1, v[12:13]
	global_load_ushort v1, v[10:11], off
	v_lshl_add_u64 v[10:11], v[58:59], 1, v[12:13]
	global_load_ushort v14, v[10:11], off
	;; [unrolled: 2-line block ×4, first 2 shown]
	s_waitcnt vmcnt(3)
	ds_write_b16 v92, v1 offset:9216
	s_waitcnt vmcnt(2)
	ds_write_b16 v94, v14 offset:9216
	;; [unrolled: 2-line block ×4, first 2 shown]
	v_lshl_add_u64 v[10:11], v[64:65], 1, v[12:13]
	global_load_ushort v1, v[10:11], off
	v_lshl_add_u64 v[10:11], v[66:67], 1, v[12:13]
	v_lshl_add_u64 v[14:15], v[68:69], 1, v[12:13]
	;; [unrolled: 1-line block ×3, first 2 shown]
	global_load_ushort v10, v[10:11], off
	s_nop 0
	global_load_ushort v12, v[12:13], off
	s_nop 0
	global_load_ushort v11, v[14:15], off
.LBB0_44:                               ;   in Loop: Header=BB0_39 Depth=2
	s_or_b64 exec, exec, s[6:7]
	s_waitcnt vmcnt(3)
	ds_write_b16 v131, v1 offset:9216
	s_waitcnt vmcnt(2)
	ds_write_b16 v133, v10 offset:9216
	;; [unrolled: 2-line block ×3, first 2 shown]
	ds_write_b16 v137, v12 offset:9216
.LBB0_45:                               ;   in Loop: Header=BB0_39 Depth=2
	s_mul_hi_i32 s7, s36, s74
	s_mul_i32 s6, s36, s74
	s_lshl_b64 s[6:7], s[6:7], 2
	s_add_u32 s6, s95, s6
	s_addc_u32 s7, s92, s7
	v_lshl_add_u64 v[10:11], v[32:33], 2, s[6:7]
	v_lshlrev_b32_e32 v26, 2, v30
	v_lshl_add_u64 v[10:11], v[10:11], 0, v[26:27]
	v_mov_b32_e32 v1, s93
	v_lshl_add_u64 v[12:13], v[34:35], 2, s[6:7]
	v_cndmask_b32_e64 v11, v1, v11, s[50:51]
	v_cndmask_b32_e64 v10, v154, v10, s[50:51]
	v_lshl_add_u64 v[12:13], v[12:13], 0, v[26:27]
	scratch_store_dwordx4 off, v[164:167], off
	v_cndmask_b32_e64 v15, v1, v13, s[4:5]
	v_cndmask_b32_e64 v14, v154, v12, s[4:5]
	flat_load_dwordx4 v[10:13], v[10:11]
	v_add_u32_e32 v1, v90, v96
	s_and_b64 vcc, exec, s[30:31]
	s_waitcnt vmcnt(0) lgkmcnt(0)
	ds_write_b128 v98, v[10:13]
	flat_load_dwordx4 v[10:13], v[14:15]
	s_waitcnt vmcnt(0) lgkmcnt(0)
	ds_write_b128 v139, v[10:13]
	s_waitcnt lgkmcnt(0)
	s_barrier
	ds_read2_b64 v[10:13], v1 offset1:4
	s_waitcnt lgkmcnt(0)
	v_mfma_f32_16x16x16_f16 v[18:21], v[10:11], v[6:7], 0
	v_mfma_f32_16x16x16_f16 v[10:13], v[12:13], v[8:9], v[18:21]
	s_nop 6
	ds_read2_b64 v[18:21], v1 offset0:8 offset1:12
	s_waitcnt lgkmcnt(0)
	v_mfma_f32_16x16x16_f16 v[10:13], v[18:19], v[2:3], v[10:13]
	v_add_u32_e32 v1, 0x1000, v1
	v_mfma_f32_16x16x16_f16 v[12:15], v[20:21], v[4:5], v[10:13]
	ds_read2_b64 v[18:21], v1 offset0:64 offset1:68
	s_waitcnt lgkmcnt(0)
	v_mfma_f32_16x16x16_f16 v[158:161], v[18:19], v[6:7], 0
	v_mfma_f32_16x16x16_f16 v[18:21], v[20:21], v[8:9], v[158:161]
	s_nop 6
	ds_read2_b64 v[158:161], v1 offset0:72 offset1:76
	s_waitcnt lgkmcnt(0)
	v_mfma_f32_16x16x16_f16 v[18:21], v[158:159], v[2:3], v[18:21]
	s_barrier
	v_mfma_f32_16x16x16_f16 v[18:21], v[160:161], v[4:5], v[18:21]
	s_cbranch_vccnz .LBB0_47
; %bb.46:                               ;   in Loop: Header=BB0_39 Depth=2
	v_add_u32_e32 v1, 0x2400, v100
	ds_read2_b32 v[10:11], v1 offset1:1
	ds_read_b32 v1, v114 offset:9216
	v_mov_b32_e32 v53, v52
	s_waitcnt lgkmcnt(1)
	v_cvt_f32_f16_e32 v158, v10
	v_cvt_f32_f16_sdwa v159, v10 dst_sel:DWORD dst_unused:UNUSED_PAD src0_sel:WORD_1
	v_cvt_f32_f16_e32 v10, v11
	v_cvt_f32_f16_sdwa v11, v11 dst_sel:DWORD dst_unused:UNUSED_PAD src0_sel:WORD_1
	v_pk_fma_f32 v[12:13], v[72:73], v[158:159], v[12:13]
	v_pk_fma_f32 v[14:15], v[52:53], v[10:11], v[14:15]
	s_waitcnt lgkmcnt(0)
	v_cvt_f32_f16_sdwa v11, v1 dst_sel:DWORD dst_unused:UNUSED_PAD src0_sel:WORD_1
	v_cvt_f32_f16_e32 v10, v1
	ds_read_b32 v1, v116 offset:9216
	v_pk_fma_f32 v[18:19], v[72:73], v[10:11], v[18:19]
	s_waitcnt lgkmcnt(0)
	v_cvt_f32_f16_sdwa v159, v1 dst_sel:DWORD dst_unused:UNUSED_PAD src0_sel:WORD_1
	v_cvt_f32_f16_e32 v158, v1
	v_pk_fma_f32 v[20:21], v[52:53], v[158:159], v[20:21]
.LBB0_47:                               ;   in Loop: Header=BB0_39 Depth=2
	v_add_f32_e32 v1, 0x40051340, v12
	v_max_f32_e32 v10, v156, v156
	v_max_f32_e32 v1, v10, v1
	v_cndmask_b32_e64 v1, v156, v1, s[10:11]
	v_add_f32_e32 v10, 0x40051340, v13
	v_max_f32_e32 v11, v1, v1
	v_max_f32_e32 v10, v11, v10
	v_cndmask_b32_e64 v1, v1, v10, s[12:13]
	;; [unrolled: 4-line block ×8, first 2 shown]
	ds_bpermute_b32 v10, v79, v1
	v_max_f32_e32 v1, v1, v1
	s_mul_hi_i32 s7, s36, s54
	s_mul_i32 s6, s36, s54
	s_lshl_b64 s[6:7], s[6:7], 2
	s_waitcnt lgkmcnt(0)
	v_max_f32_e32 v10, v10, v10
	v_max_f32_e32 v1, v1, v10
	ds_bpermute_b32 v10, v80, v1
	s_add_u32 s6, s89, s6
	s_addc_u32 s7, s94, s7
	scratch_store_dwordx4 off, v[164:167], off
	s_add_i32 s38, s38, 1
	s_waitcnt lgkmcnt(0)
	v_max_f32_e32 v10, v10, v10
	v_max_f32_e32 v53, v1, v10
	v_sub_f32_e32 v1, v12, v53
	v_mul_f32_e32 v10, 0x3fb8aa3b, v1
	v_fma_f32 v11, v1, s97, -v10
	v_rndne_f32_e32 v12, v10
	v_fmac_f32_e32 v11, 0x32a5705f, v1
	v_sub_f32_e32 v10, v10, v12
	v_add_f32_e32 v10, v10, v11
	v_exp_f32_e32 v10, v10
	v_cvt_i32_f32_e32 v11, v12
	v_cmp_ngt_f32_e32 vcc, s98, v1
	s_add_i32 s36, s36, 64
	s_cmp_lt_i32 s38, s39
	v_ldexp_f32 v10, v10, v11
	v_cndmask_b32_e32 v10, 0, v10, vcc
	v_cmp_nlt_f32_e32 vcc, s73, v1
	s_nop 1
	v_cndmask_b32_e32 v1, v151, v10, vcc
	v_cndmask_b32_e64 v12, 0, v1, s[10:11]
	v_sub_f32_e32 v1, v13, v53
	v_mul_f32_e32 v10, 0x3fb8aa3b, v1
	v_fma_f32 v11, v1, s97, -v10
	v_rndne_f32_e32 v13, v10
	v_fmac_f32_e32 v11, 0x32a5705f, v1
	v_sub_f32_e32 v10, v10, v13
	v_add_f32_e32 v10, v10, v11
	v_exp_f32_e32 v10, v10
	v_cvt_i32_f32_e32 v11, v13
	v_cmp_ngt_f32_e32 vcc, s98, v1
	v_ldexp_f32 v10, v10, v11
	s_nop 0
	v_cndmask_b32_e32 v10, 0, v10, vcc
	v_cmp_nlt_f32_e32 vcc, s73, v1
	v_mov_b32_e32 v1, s3
	s_nop 0
	v_cndmask_b32_e32 v10, v151, v10, vcc
	v_add_f32_e32 v13, v10, v12
	v_cndmask_b32_e64 v11, v1, v10, s[12:13]
	v_sub_f32_e32 v10, v14, v53
	v_cndmask_b32_e64 v1, v12, v13, s[12:13]
	v_mul_f32_e32 v13, 0x3fb8aa3b, v10
	v_fma_f32 v14, v10, s97, -v13
	v_rndne_f32_e32 v16, v13
	v_fmac_f32_e32 v14, 0x32a5705f, v10
	v_sub_f32_e32 v13, v13, v16
	v_add_f32_e32 v13, v13, v14
	v_exp_f32_e32 v13, v13
	v_cvt_i32_f32_e32 v14, v16
	v_cmp_ngt_f32_e32 vcc, s98, v10
	v_ldexp_f32 v13, v13, v14
	s_nop 0
	v_cndmask_b32_e32 v13, 0, v13, vcc
	v_cmp_nlt_f32_e32 vcc, s73, v10
	v_mov_b32_e32 v10, s3
	s_nop 0
	v_cndmask_b32_e32 v13, v151, v13, vcc
	v_cndmask_b32_e64 v16, v10, v13, s[14:15]
	v_sub_f32_e32 v10, v15, v53
	v_add_f32_e32 v14, v1, v13
	v_mul_f32_e32 v13, 0x3fb8aa3b, v10
	v_cndmask_b32_e64 v1, v1, v14, s[14:15]
	v_fma_f32 v14, v10, s97, -v13
	v_rndne_f32_e32 v15, v13
	v_fmac_f32_e32 v14, 0x32a5705f, v10
	v_sub_f32_e32 v13, v13, v15
	v_add_f32_e32 v13, v13, v14
	v_exp_f32_e32 v13, v13
	v_cvt_i32_f32_e32 v14, v15
	v_cmp_ngt_f32_e32 vcc, s98, v10
	v_ldexp_f32 v13, v13, v14
	s_nop 0
	v_cndmask_b32_e32 v13, 0, v13, vcc
	v_cmp_nlt_f32_e32 vcc, s73, v10
	s_nop 1
	v_cndmask_b32_e32 v10, v151, v13, vcc
	v_mov_b32_e32 v13, s3
	v_add_f32_e32 v14, v1, v10
	v_cndmask_b32_e64 v15, v13, v10, s[16:17]
	v_sub_f32_e32 v10, v18, v53
	v_mul_f32_e32 v13, 0x3fb8aa3b, v10
	v_cndmask_b32_e64 v1, v1, v14, s[16:17]
	v_fma_f32 v14, v10, s97, -v13
	v_rndne_f32_e32 v18, v13
	v_fmac_f32_e32 v14, 0x32a5705f, v10
	v_sub_f32_e32 v13, v13, v18
	v_add_f32_e32 v13, v13, v14
	v_exp_f32_e32 v13, v13
	v_cvt_i32_f32_e32 v14, v18
	v_cmp_ngt_f32_e32 vcc, s98, v10
	v_ldexp_f32 v13, v13, v14
	s_nop 0
	v_cndmask_b32_e32 v13, 0, v13, vcc
	v_cmp_nlt_f32_e32 vcc, s73, v10
	v_mov_b32_e32 v10, s3
	s_nop 0
	v_cndmask_b32_e32 v13, v151, v13, vcc
	v_add_f32_e32 v14, v13, v1
	v_cndmask_b32_e64 v10, v10, v13, s[18:19]
	v_cndmask_b32_e64 v13, v1, v14, s[18:19]
	v_sub_f32_e32 v1, v19, v53
	v_mul_f32_e32 v14, 0x3fb8aa3b, v1
	v_fma_f32 v18, v1, s97, -v14
	v_rndne_f32_e32 v19, v14
	v_fmac_f32_e32 v18, 0x32a5705f, v1
	v_sub_f32_e32 v14, v14, v19
	v_add_f32_e32 v14, v14, v18
	v_exp_f32_e32 v14, v14
	v_cvt_i32_f32_e32 v18, v19
	v_cmp_ngt_f32_e32 vcc, s98, v1
	v_ldexp_f32 v14, v14, v18
	s_nop 0
	v_cndmask_b32_e32 v14, 0, v14, vcc
	v_cmp_nlt_f32_e32 vcc, s73, v1
	v_mov_b32_e32 v1, s3
	s_nop 0
	v_cndmask_b32_e32 v14, v151, v14, vcc
	v_add_f32_e32 v18, v14, v13
	v_cndmask_b32_e64 v1, v1, v14, s[20:21]
	v_sub_f32_e32 v14, v20, v53
	v_cndmask_b32_e64 v13, v13, v18, s[20:21]
	v_mul_f32_e32 v18, 0x3fb8aa3b, v14
	v_fma_f32 v19, v14, s97, -v18
	v_rndne_f32_e32 v20, v18
	v_fmac_f32_e32 v19, 0x32a5705f, v14
	v_sub_f32_e32 v18, v18, v20
	v_add_f32_e32 v18, v18, v19
	v_exp_f32_e32 v18, v18
	v_cvt_i32_f32_e32 v19, v20
	v_cmp_ngt_f32_e32 vcc, s98, v14
	v_ldexp_f32 v18, v18, v19
	s_nop 0
	v_cndmask_b32_e32 v18, 0, v18, vcc
	v_cmp_nlt_f32_e32 vcc, s73, v14
	v_mov_b32_e32 v14, s3
	s_nop 0
	v_cndmask_b32_e32 v18, v151, v18, vcc
	v_add_f32_e32 v19, v18, v13
	v_cndmask_b32_e64 v14, v14, v18, s[22:23]
	v_cndmask_b32_e64 v18, v13, v19, s[22:23]
	v_sub_f32_e32 v13, v21, v53
	v_mul_f32_e32 v19, 0x3fb8aa3b, v13
	v_fma_f32 v20, v13, s97, -v19
	v_rndne_f32_e32 v21, v19
	v_fmac_f32_e32 v20, 0x32a5705f, v13
	v_sub_f32_e32 v19, v19, v21
	v_add_f32_e32 v19, v19, v20
	v_exp_f32_e32 v19, v19
	v_cvt_i32_f32_e32 v20, v21
	v_cmp_ngt_f32_e32 vcc, s98, v13
	v_ldexp_f32 v19, v19, v20
	s_nop 0
	v_cndmask_b32_e32 v19, 0, v19, vcc
	v_cmp_nlt_f32_e32 vcc, s73, v13
	v_mov_b32_e32 v13, s3
	s_nop 0
	v_cndmask_b32_e32 v19, v151, v19, vcc
	v_add_f32_e32 v20, v19, v18
	v_cndmask_b32_e64 v78, v18, v20, s[24:25]
	v_sub_f32_e32 v18, v156, v53
	v_cndmask_b32_e64 v13, v13, v19, s[24:25]
	v_mul_f32_e32 v19, 0x3fb8aa3b, v18
	v_fma_f32 v20, v18, s97, -v19
	v_rndne_f32_e32 v21, v19
	v_fmac_f32_e32 v20, 0x32a5705f, v18
	v_sub_f32_e32 v19, v19, v21
	v_add_f32_e32 v19, v19, v20
	v_exp_f32_e32 v19, v19
	v_cvt_i32_f32_e32 v20, v21
	v_cmp_ngt_f32_e32 vcc, s98, v18
	v_ldexp_f32 v19, v19, v20
	s_nop 0
	v_cndmask_b32_e32 v19, 0, v19, vcc
	v_cmp_nlt_f32_e32 vcc, s73, v18
	v_lshl_add_u64 v[20:21], v[38:39], 2, s[6:7]
	v_lshl_add_u64 v[20:21], v[20:21], 0, v[26:27]
	v_cndmask_b32_e32 v19, v151, v19, vcc
	v_cmp_le_f32_e32 vcc, s26, v18
	s_nop 1
	v_cndmask_b32_e32 v18, 0, v19, vcc
	v_fmac_f32_e32 v78, v155, v18
	v_cvt_f16_f32_e32 v18, v18
	v_mul_u32_u24_e32 v18, 0x10001, v18
	v_pk_mul_f16 v158, v75, v18
	v_pk_mul_f16 v157, v83, v18
	;; [unrolled: 1-line block ×8, first 2 shown]
	v_lshl_add_u64 v[18:19], v[36:37], 2, s[6:7]
	v_lshl_add_u64 v[18:19], v[18:19], 0, v[26:27]
	v_mov_b32_e32 v74, s93
	v_cndmask_b32_e64 v19, v74, v19, s[50:51]
	v_cndmask_b32_e64 v18, v154, v18, s[50:51]
	;; [unrolled: 1-line block ×4, first 2 shown]
	flat_load_dwordx4 v[18:21], v[18:19]
	v_cvt_pk_f16_f32 v77, v16, v15
	v_cvt_pk_f16_f32 v76, v12, v11
	s_waitcnt vmcnt(0) lgkmcnt(0)
	ds_write_b128 v98, v[18:21]
	flat_load_dwordx4 v[18:21], v[74:75]
	s_waitcnt vmcnt(0) lgkmcnt(0)
	ds_write_b128 v139, v[18:21]
	s_waitcnt lgkmcnt(0)
	s_barrier
	ds_read_u16 v26, v101 offset:144
	v_cvt_f32_f16_e32 v20, v157
	v_cvt_f32_f16_sdwa v21, v157 dst_sel:DWORD dst_unused:UNUSED_PAD src0_sel:WORD_1
	ds_read_u16 v74, v102
	ds_read_u16 v157, v102 offset:32
	ds_read_u16 v75, v103
	ds_read_u16 v160, v103 offset:32
	v_cvt_f32_f16_e32 v18, v158
	v_cvt_f32_f16_sdwa v19, v158 dst_sel:DWORD dst_unused:UNUSED_PAD src0_sel:WORD_1
	s_waitcnt lgkmcnt(1)
	v_perm_b32 v75, v75, v74, s27
	ds_read_u16 v74, v101
	ds_read_u16 v161, v101 offset:32
	s_waitcnt lgkmcnt(1)
	v_perm_b32 v74, v26, v74, s27
	s_nop 1
	v_mfma_f32_16x16x16_f16 v[18:21], v[74:75], v[76:77], v[18:21]
	ds_read_u16 v26, v101 offset:4608
	ds_read_u16 v74, v101 offset:4752
	;; [unrolled: 1-line block ×4, first 2 shown]
	s_nop 3
	v_cvt_f16_f32_e32 v11, v18
	v_cvt_f16_f32_e32 v12, v19
	;; [unrolled: 1-line block ×4, first 2 shown]
	s_waitcnt lgkmcnt(0)
	v_perm_b32 v159, v158, v75, s27
	v_perm_b32 v158, v74, v26, s27
	v_cvt_pk_f16_f32 v74, v10, v1
	ds_read_u16 v1, v101 offset:176
	v_cvt_f32_f16_e32 v18, v11
	v_cvt_f32_f16_e32 v19, v12
	;; [unrolled: 1-line block ×4, first 2 shown]
	v_cvt_pk_f16_f32 v75, v14, v13
	v_cvt_f32_f16_e32 v14, v156
	v_cvt_f32_f16_sdwa v15, v156 dst_sel:DWORD dst_unused:UNUSED_PAD src0_sel:WORD_1
	v_mfma_f32_16x16x16_f16 v[10:13], v[158:159], v[74:75], v[18:21]
	v_cvt_f32_f16_e32 v16, v17
	v_cvt_f32_f16_sdwa v17, v17 dst_sel:DWORD dst_unused:UNUSED_PAD src0_sel:WORD_1
	v_cvt_f32_f16_e32 v158, v81
	v_perm_b32 v19, v160, v157, s27
	s_waitcnt lgkmcnt(0)
	v_perm_b32 v18, v1, v161, s27
	v_cvt_f32_f16_sdwa v159, v81 dst_sel:DWORD dst_unused:UNUSED_PAD src0_sel:WORD_1
	s_nop 0
	v_mfma_f32_16x16x16_f16 v[14:17], v[18:19], v[76:77], v[14:17]
	ds_read_u16 v18, v101 offset:4640
	ds_read_u16 v20, v101 offset:4784
	ds_read_u16 v19, v102 offset:4640
	ds_read_u16 v21, v103 offset:4640
	s_nop 3
	v_cvt_f16_f32_e32 v1, v14
	v_cvt_f16_f32_e32 v15, v15
	;; [unrolled: 1-line block ×4, first 2 shown]
	v_cvt_f32_f16_e32 v14, v1
	ds_read_u16 v1, v101 offset:64
	ds_read_u16 v26, v101 offset:208
	;; [unrolled: 1-line block ×4, first 2 shown]
	s_waitcnt lgkmcnt(4)
	v_perm_b32 v19, v21, v19, s27
	v_perm_b32 v18, v20, v18, s27
	v_cvt_f32_f16_e32 v15, v15
	v_cvt_f32_f16_e32 v16, v16
	;; [unrolled: 1-line block ×3, first 2 shown]
	s_waitcnt lgkmcnt(0)
	v_perm_b32 v157, v157, v156, s27
	v_perm_b32 v156, v26, v1, s27
	v_mfma_f32_16x16x16_f16 v[14:17], v[18:19], v[74:75], v[14:17]
	v_cvt_f32_f16_e32 v18, v155
	v_cvt_f32_f16_sdwa v19, v155 dst_sel:DWORD dst_unused:UNUSED_PAD src0_sel:WORD_1
	v_cvt_f32_f16_e32 v20, v83
	v_cvt_f32_f16_sdwa v21, v83 dst_sel:DWORD dst_unused:UNUSED_PAD src0_sel:WORD_1
	s_nop 3
	v_cvt_pk_f16_f32 v17, v16, v17
	v_mfma_f32_16x16x16_f16 v[18:21], v[156:157], v[76:77], v[18:21]
	ds_read_u16 v26, v101 offset:4672
	ds_read_u16 v83, v101 offset:4816
	;; [unrolled: 1-line block ×4, first 2 shown]
	s_nop 3
	v_cvt_f16_f32_e32 v1, v18
	v_cvt_f16_f32_e32 v19, v19
	;; [unrolled: 1-line block ×4, first 2 shown]
	v_cvt_f32_f16_e32 v18, v1
	s_waitcnt lgkmcnt(0)
	v_perm_b32 v157, v156, v155, s27
	v_perm_b32 v156, v83, v26, s27
	ds_read_u16 v1, v101 offset:96
	ds_read_u16 v26, v101 offset:240
	ds_read_u16 v83, v102 offset:96
	ds_read_u16 v155, v103 offset:96
	v_cvt_f32_f16_e32 v19, v19
	v_cvt_f32_f16_e32 v20, v20
	;; [unrolled: 1-line block ×3, first 2 shown]
	s_waitcnt lgkmcnt(0)
	v_perm_b32 v83, v155, v83, s27
	v_mfma_f32_16x16x16_f16 v[18:21], v[156:157], v[74:75], v[18:21]
	v_cvt_f32_f16_e32 v156, v82
	v_cvt_f32_f16_sdwa v157, v82 dst_sel:DWORD dst_unused:UNUSED_PAD src0_sel:WORD_1
	v_perm_b32 v82, v26, v1, s27
	s_nop 1
	v_mfma_f32_16x16x16_f16 v[156:159], v[82:83], v[76:77], v[156:159]
	ds_read_u16 v81, v101 offset:4704
	ds_read_u16 v82, v101 offset:4848
	ds_read_u16 v83, v102 offset:4704
	ds_read_u16 v155, v103 offset:4704
	s_waitcnt lgkmcnt(0)
	s_barrier
	s_nop 1
	v_cvt_f16_f32_e32 v76, v158
	v_cvt_f16_f32_e32 v77, v159
	;; [unrolled: 1-line block ×4, first 2 shown]
	v_cvt_f32_f16_e32 v158, v76
	v_cvt_f32_f16_e32 v159, v77
	v_perm_b32 v77, v155, v83, s27
	v_perm_b32 v76, v82, v81, s27
	v_cvt_f32_f16_e32 v156, v1
	v_cvt_f32_f16_e32 v157, v26
	v_cvt_pk_f16_f32 v83, v12, v13
	v_cvt_pk_f16_f32 v82, v14, v15
	v_mfma_f32_16x16x16_f16 v[156:159], v[76:77], v[74:75], v[156:159]
	v_cvt_pk_f16_f32 v75, v10, v11
	v_cvt_pk_f16_f32 v81, v18, v19
	;; [unrolled: 1-line block ×3, first 2 shown]
	s_nop 4
	v_cvt_pk_f16_f32 v76, v156, v157
	v_cvt_pk_f16_f32 v74, v158, v159
	s_cbranch_scc0 .LBB0_51
; %bb.48:                               ;   in Loop: Header=BB0_39 Depth=2
	v_mov_b32_e32 v155, v78
	v_mov_b32_e32 v156, v53
	s_branch .LBB0_39
.LBB0_49:                               ;   in Loop: Header=BB0_14 Depth=1
	s_cbranch_execz .LBB0_13
	s_branch .LBB0_114
.LBB0_50:                               ;   in Loop: Header=BB0_14 Depth=1
	v_mov_b32_e32 v53, 0xfeffffff
	v_mov_b32_e32 v78, 0
	v_mov_b32_e32 v74, 0
	v_mov_b32_e32 v76, 0
	v_mov_b32_e32 v77, 0
	v_mov_b32_e32 v81, 0
	v_mov_b32_e32 v17, 0
	v_mov_b32_e32 v82, 0
	v_mov_b32_e32 v83, 0
	v_mov_b32_e32 v75, 0
.LBB0_51:                               ;   in Loop: Header=BB0_14 Depth=1
	s_lshl_b32 s6, s38, 6
	v_readlane_b32 s30, v173, 4
	s_sub_i32 s52, s30, s6
	s_cmp_lg_u64 s[8:9], 0
	s_cselect_b64 s[36:37], -1, 0
	s_ashr_i32 s7, s6, 31
	s_cmp_eq_u64 s[8:9], 0
	v_readlane_b32 s31, v173, 5
	s_cbranch_scc1 .LBB0_61
; %bb.52:                               ;   in Loop: Header=BB0_14 Depth=1
	s_lshl_b64 s[30:31], s[6:7], 1
	s_add_u32 s34, s8, s30
	s_addc_u32 s35, s9, s31
	v_cmp_le_i32_e32 vcc, s52, v24
	s_and_saveexec_b64 s[30:31], vcc
	s_xor_b64 s[30:31], exec, s[30:31]
	s_cbranch_execz .LBB0_54
; %bb.53:                               ;   in Loop: Header=BB0_14 Depth=1
	ds_write_b16 v92, v27 offset:9216
	ds_write_b16 v94, v27 offset:9216
.LBB0_54:                               ;   in Loop: Header=BB0_14 Depth=1
	s_or_saveexec_b64 s[30:31], s[30:31]
	v_lshlrev_b32_e32 v26, 1, v24
	v_lshl_add_u64 v[10:11], s[34:35], 0, v[26:27]
	v_mov_b32_e32 v1, 0
	v_mov_b32_e32 v12, 0
	s_xor_b64 exec, exec, s[30:31]
	s_cbranch_execz .LBB0_56
; %bb.55:                               ;   in Loop: Header=BB0_14 Depth=1
	v_add_u32_e32 v1, s76, v23
	v_mul_hi_u32 v12, s86, v1
	v_add_u32_e32 v12, v1, v12
	v_lshrrev_b32_e32 v12, s87, v12
	v_mul_lo_u32 v12, v12, s72
	v_readlane_b32 s34, v173, 61
	v_sub_u32_e32 v1, v1, v12
	v_readlane_b32 s35, v173, 62
	s_mov_b32 s38, s34
	v_mad_i64_i32 v[12:13], s[34:35], v1, s38, 0
	v_lshl_add_u64 v[12:13], v[12:13], 1, v[10:11]
	global_load_ushort v1, v[12:13], off
	v_add_u32_e32 v12, s76, v93
	v_mul_hi_u32 v13, s86, v12
	v_add_u32_e32 v13, v12, v13
	v_lshrrev_b32_e32 v13, s87, v13
	v_mul_lo_u32 v13, v13, s72
	v_sub_u32_e32 v12, v12, v13
	v_mad_i64_i32 v[12:13], s[34:35], v12, s38, 0
	v_lshl_add_u64 v[12:13], v[12:13], 1, v[10:11]
	global_load_ushort v12, v[12:13], off
	s_waitcnt vmcnt(1)
	ds_write_b16 v92, v1 offset:9216
	s_waitcnt vmcnt(0)
	ds_write_b16 v94, v12 offset:9216
	v_add_u32_e32 v1, s76, v95
	v_mul_hi_u32 v12, s86, v1
	v_add_u32_e32 v12, v1, v12
	v_lshrrev_b32_e32 v12, s87, v12
	v_mul_lo_u32 v12, v12, s72
	v_sub_u32_e32 v1, v1, v12
	v_mad_i64_i32 v[12:13], s[34:35], v1, s38, 0
	v_lshl_add_u64 v[12:13], v[12:13], 1, v[10:11]
	global_load_ushort v1, v[12:13], off
	v_add_u32_e32 v12, s76, v128
	v_mul_hi_u32 v13, s86, v12
	v_add_u32_e32 v13, v12, v13
	v_lshrrev_b32_e32 v13, s87, v13
	v_mul_lo_u32 v13, v13, s72
	v_sub_u32_e32 v12, v12, v13
	v_mad_i64_i32 v[12:13], s[34:35], v12, s38, 0
	v_lshl_add_u64 v[12:13], v[12:13], 1, v[10:11]
	global_load_ushort v12, v[12:13], off
.LBB0_56:                               ;   in Loop: Header=BB0_14 Depth=1
	s_or_b64 exec, exec, s[30:31]
	s_waitcnt vmcnt(1)
	ds_write_b16 v119, v1 offset:9216
	s_waitcnt vmcnt(0)
	ds_write_b16 v129, v12 offset:9216
	s_and_saveexec_b64 s[30:31], vcc
	s_xor_b64 s[30:31], exec, s[30:31]
	s_cbranch_execz .LBB0_58
; %bb.57:                               ;   in Loop: Header=BB0_14 Depth=1
	ds_write_b16 v131, v27 offset:9216
	ds_write_b16 v133, v27 offset:9216
                                        ; implicit-def: $vgpr10_vgpr11
.LBB0_58:                               ;   in Loop: Header=BB0_14 Depth=1
	s_or_saveexec_b64 s[30:31], s[30:31]
	v_mov_b32_e32 v1, 0
	v_mov_b32_e32 v12, 0
	s_xor_b64 exec, exec, s[30:31]
	s_cbranch_execz .LBB0_60
; %bb.59:                               ;   in Loop: Header=BB0_14 Depth=1
	v_add_u32_e32 v1, s76, v130
	v_mul_hi_u32 v12, s86, v1
	v_add_u32_e32 v12, v1, v12
	v_lshrrev_b32_e32 v12, s87, v12
	v_mul_lo_u32 v12, v12, s72
	v_readlane_b32 s34, v173, 61
	v_sub_u32_e32 v1, v1, v12
	v_readlane_b32 s35, v173, 62
	s_mov_b32 s38, s34
	v_mad_i64_i32 v[12:13], s[34:35], v1, s38, 0
	v_lshl_add_u64 v[12:13], v[12:13], 1, v[10:11]
	global_load_ushort v1, v[12:13], off
	v_add_u32_e32 v12, s76, v132
	v_mul_hi_u32 v13, s86, v12
	v_add_u32_e32 v13, v12, v13
	v_lshrrev_b32_e32 v13, s87, v13
	v_mul_lo_u32 v13, v13, s72
	v_sub_u32_e32 v12, v12, v13
	v_mad_i64_i32 v[12:13], s[34:35], v12, s38, 0
	v_lshl_add_u64 v[12:13], v[12:13], 1, v[10:11]
	global_load_ushort v12, v[12:13], off
	s_waitcnt vmcnt(1)
	ds_write_b16 v131, v1 offset:9216
	s_waitcnt vmcnt(0)
	ds_write_b16 v133, v12 offset:9216
	v_add_u32_e32 v1, s76, v134
	v_mul_hi_u32 v12, s86, v1
	v_add_u32_e32 v12, v1, v12
	v_lshrrev_b32_e32 v12, s87, v12
	v_mul_lo_u32 v12, v12, s72
	v_sub_u32_e32 v1, v1, v12
	v_mad_i64_i32 v[12:13], s[34:35], v1, s38, 0
	v_lshl_add_u64 v[12:13], v[12:13], 1, v[10:11]
	global_load_ushort v1, v[12:13], off
	v_add_u32_e32 v12, s76, v136
	v_mul_hi_u32 v13, s86, v12
	v_add_u32_e32 v13, v12, v13
	v_lshrrev_b32_e32 v13, s87, v13
	v_mul_lo_u32 v13, v13, s72
	v_sub_u32_e32 v12, v12, v13
	v_mad_i64_i32 v[12:13], s[34:35], v12, s38, 0
	v_lshl_add_u64 v[10:11], v[12:13], 1, v[10:11]
	global_load_ushort v12, v[10:11], off
.LBB0_60:                               ;   in Loop: Header=BB0_14 Depth=1
	s_or_b64 exec, exec, s[30:31]
	s_waitcnt vmcnt(1)
	ds_write_b16 v135, v1 offset:9216
	s_waitcnt vmcnt(0)
	ds_write_b16 v137, v12 offset:9216
.LBB0_61:                               ;   in Loop: Header=BB0_14 Depth=1
	s_mul_hi_i32 s31, s6, s74
	s_mul_i32 s30, s6, s74
	s_lshl_b64 s[30:31], s[30:31], 2
	s_add_u32 s34, s95, s30
	s_addc_u32 s35, s92, s31
	v_lshl_add_u64 v[10:11], v[32:33], 2, s[34:35]
	v_lshlrev_b32_e32 v26, 2, v30
	v_lshl_add_u64 v[10:11], v[10:11], 0, v[26:27]
	v_mov_b32_e32 v1, s93
	v_cmp_gt_i32_e64 s[30:31], s52, v97
	scratch_store_dwordx4 off, v[164:167], off
	v_lshl_add_u64 v[14:15], v[34:35], 2, s[34:35]
	v_cndmask_b32_e64 v11, v1, v11, s[30:31]
	v_cndmask_b32_e64 v10, v154, v10, s[30:31]
	flat_load_dwordx4 v[10:13], v[10:11]
	v_lshl_add_u64 v[14:15], v[14:15], 0, v[26:27]
	v_cmp_gt_i32_e64 s[34:35], s52, v138
	s_andn2_b64 vcc, exec, s[36:37]
	s_waitcnt vmcnt(0) lgkmcnt(0)
	ds_write_b128 v98, v[10:13]
	v_cndmask_b32_e64 v15, v1, v15, s[34:35]
	v_cndmask_b32_e64 v14, v154, v14, s[34:35]
	flat_load_dwordx4 v[10:13], v[14:15]
	v_add_u32_e32 v1, v90, v96
	v_add_u32_e32 v14, 0x1000, v1
	s_waitcnt vmcnt(0) lgkmcnt(0)
	ds_write_b128 v139, v[10:13]
	s_waitcnt lgkmcnt(0)
	s_barrier
	ds_read2_b64 v[10:13], v1 offset1:4
	ds_read2_b64 v[54:57], v14 offset0:64 offset1:68
	s_waitcnt lgkmcnt(1)
	v_mfma_f32_16x16x16_f16 v[18:21], v[10:11], v[6:7], 0
	s_waitcnt lgkmcnt(0)
	v_mfma_f32_16x16x16_f16 v[58:61], v[54:55], v[6:7], 0
	v_mfma_f32_16x16x16_f16 v[10:13], v[12:13], v[8:9], v[18:21]
	;; [unrolled: 1-line block ×3, first 2 shown]
	s_nop 3
	ds_read2_b64 v[18:21], v1 offset0:8 offset1:12
	ds_read2_b64 v[54:57], v14 offset0:72 offset1:76
	s_waitcnt lgkmcnt(0)
	v_mfma_f32_16x16x16_f16 v[10:13], v[18:19], v[2:3], v[10:13]
	s_barrier
	v_mfma_f32_16x16x16_f16 v[58:61], v[54:55], v[2:3], v[6:9]
	v_mfma_f32_16x16x16_f16 v[6:9], v[20:21], v[4:5], v[10:13]
	;; [unrolled: 1-line block ×3, first 2 shown]
	s_cbranch_vccnz .LBB0_63
; %bb.62:                               ;   in Loop: Header=BB0_14 Depth=1
	v_add_u32_e32 v1, 0x2400, v100
	ds_read2_b32 v[2:3], v1 offset1:1
	ds_read_b32 v1, v114 offset:9216
	s_waitcnt lgkmcnt(1)
	v_cvt_f32_f16_e32 v4, v2
	v_cvt_f32_f16_sdwa v5, v2 dst_sel:DWORD dst_unused:UNUSED_PAD src0_sel:WORD_1
	v_cvt_f32_f16_e32 v2, v3
	v_cvt_f32_f16_sdwa v3, v3 dst_sel:DWORD dst_unused:UNUSED_PAD src0_sel:WORD_1
	v_pk_fma_f32 v[6:7], v[52:53], v[4:5], v[6:7] op_sel_hi:[0,1,1]
	v_pk_fma_f32 v[8:9], v[52:53], v[2:3], v[8:9] op_sel_hi:[0,1,1]
	s_waitcnt lgkmcnt(0)
	v_cvt_f32_f16_sdwa v3, v1 dst_sel:DWORD dst_unused:UNUSED_PAD src0_sel:WORD_1
	v_cvt_f32_f16_e32 v2, v1
	ds_read_b32 v1, v116 offset:9216
	v_pk_fma_f32 v[10:11], v[52:53], v[2:3], v[10:11] op_sel_hi:[0,1,1]
	s_waitcnt lgkmcnt(0)
	v_cvt_f32_f16_sdwa v5, v1 dst_sel:DWORD dst_unused:UNUSED_PAD src0_sel:WORD_1
	v_cvt_f32_f16_e32 v4, v1
	v_pk_fma_f32 v[12:13], v[52:53], v[4:5], v[12:13] op_sel_hi:[0,1,1]
.LBB0_63:                               ;   in Loop: Header=BB0_14 Depth=1
	s_nop 5
	v_add_f32_e32 v1, 0x40051340, v6
	v_max_f32_e32 v2, v53, v53
	v_cmp_gt_u32_e64 s[48:49], s52, v99
	v_max_f32_e32 v1, v2, v1
	v_add_f32_e32 v2, 0x40051340, v7
	v_cndmask_b32_e64 v1, v53, v1, s[48:49]
	v_max_f32_e32 v3, v1, v1
	v_cmp_gt_u32_e64 s[46:47], s52, v140
	v_max_f32_e32 v2, v3, v2
	v_cmp_gt_u32_e64 s[44:45], s52, v141
	v_cndmask_b32_e64 v1, v1, v2, s[46:47]
	v_add_f32_e32 v2, 0x40051340, v8
	v_max_f32_e32 v3, v1, v1
	v_max_f32_e32 v2, v3, v2
	v_cndmask_b32_e64 v1, v1, v2, s[44:45]
	v_add_f32_e32 v2, 0x40051340, v9
	v_max_f32_e32 v3, v1, v1
	v_cmp_gt_u32_e64 s[42:43], s52, v142
	v_max_f32_e32 v2, v3, v2
	v_cmp_gt_u32_e64 s[40:41], s52, v113
	v_cndmask_b32_e64 v1, v1, v2, s[42:43]
	v_add_f32_e32 v2, 0x40051340, v10
	v_max_f32_e32 v3, v1, v1
	v_max_f32_e32 v2, v3, v2
	v_cndmask_b32_e64 v1, v1, v2, s[40:41]
	v_add_f32_e32 v2, 0x40051340, v11
	;; [unrolled: 10-line block ×3, first 2 shown]
	v_max_f32_e32 v3, v1, v1
	v_cmp_gt_u32_e32 vcc, s52, v144
	v_max_f32_e32 v2, v3, v2
	v_xor_b32_e32 v3, 32, v153
	v_cndmask_b32_e32 v1, v1, v2, vcc
	v_and_b32_e32 v2, 64, v153
	v_add_u32_e32 v2, 64, v2
	v_cmp_lt_i32_e64 s[52:53], v3, v2
	s_mul_hi_i32 s7, s6, s54
	s_mul_i32 s6, s6, s54
	v_cndmask_b32_e64 v3, v153, v3, s[52:53]
	v_lshlrev_b32_e32 v15, 2, v3
	ds_bpermute_b32 v3, v15, v1
	v_max_f32_e32 v1, v1, v1
	s_lshl_b64 s[6:7], s[6:7], 2
	s_add_u32 s6, s89, s6
	s_addc_u32 s7, s94, s7
	s_waitcnt lgkmcnt(0)
	v_max_f32_e32 v3, v3, v3
	v_max_f32_e32 v1, v1, v3
	v_xor_b32_e32 v3, 16, v153
	v_cmp_lt_i32_e64 s[52:53], v3, v2
	v_mov_b32_e32 v16, s93
	scratch_store_dwordx4 off, v[164:167], off
	v_cndmask_b32_e64 v2, v153, v3, s[52:53]
	v_lshlrev_b32_e32 v18, 2, v2
	ds_bpermute_b32 v2, v18, v1
	s_cmp_lg_u64 s[90:91], 0
	s_waitcnt lgkmcnt(0)
	v_max_f32_e32 v2, v2, v2
	v_max_f32_e32 v14, v1, v2
	v_sub_f32_e32 v1, v6, v14
	v_mul_f32_e32 v2, 0x3fb8aa3b, v1
	v_fma_f32 v3, v1, s97, -v2
	v_rndne_f32_e32 v4, v2
	v_fmac_f32_e32 v3, 0x32a5705f, v1
	v_sub_f32_e32 v2, v2, v4
	v_add_f32_e32 v2, v2, v3
	v_exp_f32_e32 v2, v2
	v_cvt_i32_f32_e32 v3, v4
	v_cmp_ngt_f32_e64 s[52:53], s98, v1
	v_ldexp_f32 v2, v2, v3
	s_nop 0
	v_cndmask_b32_e64 v2, 0, v2, s[52:53]
	v_cmp_nlt_f32_e64 s[52:53], s73, v1
	s_nop 1
	v_cndmask_b32_e64 v1, v151, v2, s[52:53]
	v_cndmask_b32_e64 v4, 0, v1, s[48:49]
	v_sub_f32_e32 v1, v7, v14
	v_mul_f32_e32 v2, 0x3fb8aa3b, v1
	v_fma_f32 v3, v1, s97, -v2
	v_rndne_f32_e32 v5, v2
	v_fmac_f32_e32 v3, 0x32a5705f, v1
	v_sub_f32_e32 v2, v2, v5
	v_add_f32_e32 v2, v2, v3
	v_exp_f32_e32 v2, v2
	v_cvt_i32_f32_e32 v3, v5
	v_cmp_ngt_f32_e64 s[48:49], s98, v1
	v_ldexp_f32 v2, v2, v3
	s_nop 0
	v_cndmask_b32_e64 v2, 0, v2, s[48:49]
	v_cmp_nlt_f32_e64 s[48:49], s73, v1
	v_mov_b32_e32 v1, s3
	s_nop 0
	v_cndmask_b32_e64 v2, v151, v2, s[48:49]
	v_add_f32_e32 v5, v2, v4
	v_cndmask_b32_e64 v3, v1, v2, s[46:47]
	v_sub_f32_e32 v2, v8, v14
	v_cndmask_b32_e64 v1, v4, v5, s[46:47]
	v_mul_f32_e32 v5, 0x3fb8aa3b, v2
	v_fma_f32 v6, v2, s97, -v5
	v_rndne_f32_e32 v7, v5
	v_fmac_f32_e32 v6, 0x32a5705f, v2
	v_sub_f32_e32 v5, v5, v7
	v_add_f32_e32 v5, v5, v6
	v_exp_f32_e32 v5, v5
	v_cvt_i32_f32_e32 v6, v7
	v_cmp_ngt_f32_e64 s[46:47], s98, v2
	v_ldexp_f32 v5, v5, v6
	s_nop 0
	v_cndmask_b32_e64 v5, 0, v5, s[46:47]
	v_cmp_nlt_f32_e64 s[46:47], s73, v2
	v_mov_b32_e32 v2, s3
	s_nop 0
	v_cndmask_b32_e64 v5, v151, v5, s[46:47]
	v_cndmask_b32_e64 v8, v2, v5, s[44:45]
	v_sub_f32_e32 v2, v9, v14
	v_add_f32_e32 v6, v1, v5
	v_mul_f32_e32 v5, 0x3fb8aa3b, v2
	v_cndmask_b32_e64 v1, v1, v6, s[44:45]
	v_fma_f32 v6, v2, s97, -v5
	v_rndne_f32_e32 v7, v5
	v_fmac_f32_e32 v6, 0x32a5705f, v2
	v_sub_f32_e32 v5, v5, v7
	v_add_f32_e32 v5, v5, v6
	v_exp_f32_e32 v5, v5
	v_cvt_i32_f32_e32 v6, v7
	v_cmp_ngt_f32_e64 s[44:45], s98, v2
	v_ldexp_f32 v5, v5, v6
	s_nop 0
	v_cndmask_b32_e64 v5, 0, v5, s[44:45]
	v_cmp_nlt_f32_e64 s[44:45], s73, v2
	s_nop 1
	v_cndmask_b32_e64 v2, v151, v5, s[44:45]
	v_mov_b32_e32 v5, s3
	v_add_f32_e32 v6, v1, v2
	v_cndmask_b32_e64 v7, v5, v2, s[42:43]
	v_sub_f32_e32 v2, v10, v14
	v_mul_f32_e32 v5, 0x3fb8aa3b, v2
	v_cndmask_b32_e64 v1, v1, v6, s[42:43]
	v_fma_f32 v6, v2, s97, -v5
	v_rndne_f32_e32 v9, v5
	v_fmac_f32_e32 v6, 0x32a5705f, v2
	v_sub_f32_e32 v5, v5, v9
	v_add_f32_e32 v5, v5, v6
	v_exp_f32_e32 v5, v5
	v_cvt_i32_f32_e32 v6, v9
	v_cmp_ngt_f32_e64 s[42:43], s98, v2
	v_ldexp_f32 v5, v5, v6
	s_nop 0
	v_cndmask_b32_e64 v5, 0, v5, s[42:43]
	v_cmp_nlt_f32_e64 s[42:43], s73, v2
	v_mov_b32_e32 v2, s3
	s_nop 0
	v_cndmask_b32_e64 v5, v151, v5, s[42:43]
	v_add_f32_e32 v6, v5, v1
	v_cndmask_b32_e64 v2, v2, v5, s[40:41]
	v_cndmask_b32_e64 v5, v1, v6, s[40:41]
	v_sub_f32_e32 v1, v11, v14
	v_mul_f32_e32 v6, 0x3fb8aa3b, v1
	v_fma_f32 v9, v1, s97, -v6
	v_rndne_f32_e32 v10, v6
	v_fmac_f32_e32 v9, 0x32a5705f, v1
	v_sub_f32_e32 v6, v6, v10
	v_add_f32_e32 v6, v6, v9
	v_exp_f32_e32 v6, v6
	v_cvt_i32_f32_e32 v9, v10
	v_cmp_ngt_f32_e64 s[40:41], s98, v1
	v_ldexp_f32 v6, v6, v9
	s_nop 0
	v_cndmask_b32_e64 v6, 0, v6, s[40:41]
	v_cmp_nlt_f32_e64 s[40:41], s73, v1
	v_mov_b32_e32 v1, s3
	s_nop 0
	v_cndmask_b32_e64 v6, v151, v6, s[40:41]
	v_add_f32_e32 v9, v6, v5
	v_cndmask_b32_e64 v1, v1, v6, s[38:39]
	v_sub_f32_e32 v6, v12, v14
	v_cndmask_b32_e64 v5, v5, v9, s[38:39]
	v_mul_f32_e32 v9, 0x3fb8aa3b, v6
	v_fma_f32 v10, v6, s97, -v9
	v_rndne_f32_e32 v11, v9
	v_fmac_f32_e32 v10, 0x32a5705f, v6
	v_sub_f32_e32 v9, v9, v11
	v_add_f32_e32 v9, v9, v10
	v_exp_f32_e32 v9, v9
	v_cvt_i32_f32_e32 v10, v11
	v_cmp_ngt_f32_e64 s[38:39], s98, v6
	v_ldexp_f32 v9, v9, v10
	s_nop 0
	v_cndmask_b32_e64 v9, 0, v9, s[38:39]
	v_cmp_nlt_f32_e64 s[38:39], s73, v6
	v_mov_b32_e32 v6, s3
	s_nop 0
	v_cndmask_b32_e64 v9, v151, v9, s[38:39]
	v_add_f32_e32 v10, v9, v5
	v_cndmask_b32_e64 v6, v6, v9, s[36:37]
	v_cndmask_b32_e64 v9, v5, v10, s[36:37]
	v_sub_f32_e32 v5, v13, v14
	v_mul_f32_e32 v10, 0x3fb8aa3b, v5
	v_fma_f32 v11, v5, s97, -v10
	v_rndne_f32_e32 v12, v10
	v_fmac_f32_e32 v11, 0x32a5705f, v5
	v_sub_f32_e32 v10, v10, v12
	v_add_f32_e32 v10, v10, v11
	v_exp_f32_e32 v10, v10
	v_cvt_i32_f32_e32 v11, v12
	v_cmp_ngt_f32_e64 s[36:37], s98, v5
	v_ldexp_f32 v10, v10, v11
	s_nop 0
	v_cndmask_b32_e64 v10, 0, v10, s[36:37]
	v_cmp_nlt_f32_e64 s[36:37], s73, v5
	v_mov_b32_e32 v5, s3
	s_nop 0
	v_cndmask_b32_e64 v10, v151, v10, s[36:37]
	v_add_f32_e32 v11, v10, v9
	v_cndmask_b32_e32 v19, v9, v11, vcc
	v_sub_f32_e32 v9, v53, v14
	v_cndmask_b32_e32 v5, v5, v10, vcc
	v_mul_f32_e32 v10, 0x3fb8aa3b, v9
	v_fma_f32 v11, v9, s97, -v10
	v_rndne_f32_e32 v12, v10
	v_fmac_f32_e32 v11, 0x32a5705f, v9
	v_sub_f32_e32 v10, v10, v12
	v_add_f32_e32 v10, v10, v11
	v_exp_f32_e32 v10, v10
	v_cvt_i32_f32_e32 v11, v12
	v_cmp_ngt_f32_e32 vcc, s98, v9
	v_lshl_add_u64 v[12:13], v[38:39], 2, s[6:7]
	v_lshl_add_u64 v[12:13], v[12:13], 0, v[26:27]
	v_ldexp_f32 v10, v10, v11
	v_cndmask_b32_e32 v10, 0, v10, vcc
	v_cmp_nlt_f32_e32 vcc, s73, v9
	v_readlane_b32 s36, v173, 38
	v_readlane_b32 s37, v173, 39
	v_cndmask_b32_e32 v10, v151, v10, vcc
	v_cmp_le_f32_e32 vcc, s26, v9
	s_nop 1
	v_cndmask_b32_e32 v9, 0, v10, vcc
	v_fmac_f32_e32 v19, v78, v9
	v_cvt_f16_f32_e32 v9, v9
	v_mul_u32_u24_e32 v10, 0x10001, v9
	v_pk_mul_f16 v57, v75, v10
	v_pk_mul_f16 v56, v83, v10
	;; [unrolled: 1-line block ×8, first 2 shown]
	v_lshl_add_u64 v[10:11], v[36:37], 2, s[6:7]
	v_lshl_add_u64 v[10:11], v[10:11], 0, v[26:27]
	v_cndmask_b32_e64 v11, v16, v11, s[30:31]
	v_cndmask_b32_e64 v10, v154, v10, s[30:31]
	;; [unrolled: 1-line block ×4, first 2 shown]
	flat_load_dwordx4 v[10:13], v[10:11]
	v_cvt_f32_f16_e32 v58, v57
	v_cvt_f32_f16_sdwa v59, v57 dst_sel:DWORD dst_unused:UNUSED_PAD src0_sel:WORD_1
	v_cvt_f32_f16_e32 v60, v56
	v_cvt_f32_f16_sdwa v61, v56 dst_sel:DWORD dst_unused:UNUSED_PAD src0_sel:WORD_1
	s_cselect_b64 s[6:7], -1, 0
	s_and_b64 s[30:31], s[36:37], s[6:7]
	s_waitcnt vmcnt(0) lgkmcnt(0)
	ds_write_b128 v98, v[10:13]
	flat_load_dwordx4 v[10:13], v[16:17]
	s_waitcnt vmcnt(0) lgkmcnt(0)
	ds_write_b128 v139, v[10:13]
	s_waitcnt lgkmcnt(0)
	s_barrier
	ds_read_u16 v10, v101 offset:144
	ds_read_u16 v11, v102
	ds_read_u16 v62, v102 offset:32
	ds_read_u16 v12, v103
	ds_read_u16 v63, v103 offset:32
	v_cvt_pk_f16_f32 v13, v8, v7
	s_waitcnt lgkmcnt(1)
	v_perm_b32 v11, v12, v11, s27
	ds_read_u16 v12, v101
	ds_read_u16 v64, v101 offset:32
	s_waitcnt lgkmcnt(1)
	v_perm_b32 v10, v10, v12, s27
	v_cvt_pk_f16_f32 v12, v4, v3
	s_nop 1
	v_mfma_f32_16x16x16_f16 v[56:59], v[10:11], v[12:13], v[58:61]
	ds_read_u16 v10, v101 offset:4608
	ds_read_u16 v11, v101 offset:4752
	;; [unrolled: 1-line block ×4, first 2 shown]
	v_cvt_f32_f16_e32 v60, v20
	v_cvt_f32_f16_sdwa v61, v20 dst_sel:DWORD dst_unused:UNUSED_PAD src0_sel:WORD_1
	s_nop 1
	v_cvt_f16_f32_e32 v3, v56
	v_cvt_f16_f32_e32 v4, v57
	;; [unrolled: 1-line block ×4, first 2 shown]
	s_waitcnt lgkmcnt(0)
	v_perm_b32 v17, v17, v16, s27
	v_perm_b32 v16, v11, v10, s27
	v_cvt_f32_f16_e32 v56, v3
	v_cvt_f32_f16_e32 v57, v4
	;; [unrolled: 1-line block ×4, first 2 shown]
	v_cvt_pk_f16_f32 v11, v6, v5
	v_cvt_pk_f16_f32 v10, v2, v1
	ds_read_u16 v8, v101 offset:176
	v_cvt_f32_f16_e32 v6, v54
	v_mfma_f32_16x16x16_f16 v[2:5], v[16:17], v[10:11], v[56:59]
	v_perm_b32 v17, v63, v62, s27
	v_cvt_f32_f16_sdwa v7, v54 dst_sel:DWORD dst_unused:UNUSED_PAD src0_sel:WORD_1
	s_waitcnt lgkmcnt(0)
	v_perm_b32 v16, v8, v64, s27
	s_nop 3
	v_cvt_f16_f32_e32 v1, v4
	v_cvt_f16_f32_e32 v4, v5
	v_cvt_f32_f16_sdwa v5, v55 dst_sel:DWORD dst_unused:UNUSED_PAD src0_sel:WORD_1
	v_cvt_f16_f32_e32 v26, v2
	v_cvt_f16_f32_e32 v56, v3
	v_perm_b32 v1, v4, v1, s27
	v_cvt_f32_f16_e32 v4, v55
	s_nop 1
	v_mfma_f32_16x16x16_f16 v[4:7], v[16:17], v[12:13], v[4:7]
	ds_read_u16 v8, v101 offset:4640
	ds_read_u16 v16, v101 offset:4784
	;; [unrolled: 1-line block ×4, first 2 shown]
	s_nop 3
	v_cvt_f16_f32_e32 v4, v4
	v_cvt_f16_f32_e32 v5, v5
	;; [unrolled: 1-line block ×4, first 2 shown]
	s_waitcnt lgkmcnt(0)
	v_perm_b32 v17, v54, v17, s27
	v_perm_b32 v16, v16, v8, s27
	v_cvt_f32_f16_e32 v4, v4
	v_cvt_f32_f16_e32 v5, v5
	;; [unrolled: 1-line block ×5, first 2 shown]
	v_cvt_f32_f16_sdwa v9, v9 dst_sel:DWORD dst_unused:UNUSED_PAD src0_sel:WORD_1
	v_mfma_f32_16x16x16_f16 v[4:7], v[16:17], v[10:11], v[4:7]
	ds_read_u16 v17, v101 offset:64
	ds_read_u16 v57, v101 offset:208
	;; [unrolled: 1-line block ×4, first 2 shown]
	s_nop 3
	v_cvt_f16_f32_e32 v6, v6
	v_cvt_f16_f32_e32 v7, v7
	s_waitcnt lgkmcnt(0)
	v_perm_b32 v59, v59, v58, s27
	v_perm_b32 v58, v57, v17, s27
	v_cvt_f16_f32_e32 v54, v4
	v_perm_b32 v16, v7, v6, s27
	v_cvt_f32_f16_e32 v6, v53
	v_cvt_f32_f16_sdwa v7, v53 dst_sel:DWORD dst_unused:UNUSED_PAD src0_sel:WORD_1
	v_cvt_f16_f32_e32 v55, v5
	s_nop 0
	v_mfma_f32_16x16x16_f16 v[6:9], v[58:59], v[12:13], v[6:9]
	ds_read_u16 v17, v101 offset:4672
	ds_read_u16 v53, v101 offset:4816
	;; [unrolled: 1-line block ×4, first 2 shown]
	s_nop 3
	v_cvt_f16_f32_e32 v6, v6
	v_cvt_f16_f32_e32 v7, v7
	;; [unrolled: 1-line block ×4, first 2 shown]
	s_waitcnt lgkmcnt(0)
	v_perm_b32 v59, v58, v57, s27
	v_perm_b32 v58, v53, v17, s27
	v_cvt_f32_f16_e32 v6, v6
	v_cvt_f32_f16_e32 v7, v7
	;; [unrolled: 1-line block ×4, first 2 shown]
	s_nop 1
	v_mfma_f32_16x16x16_f16 v[6:9], v[58:59], v[10:11], v[6:9]
	v_cvt_f32_f16_e32 v58, v21
	v_cvt_f32_f16_sdwa v59, v21 dst_sel:DWORD dst_unused:UNUSED_PAD src0_sel:WORD_1
	s_nop 5
	v_cvt_f16_f32_e32 v8, v8
	v_cvt_f16_f32_e32 v9, v9
	;; [unrolled: 1-line block ×4, first 2 shown]
	v_perm_b32 v17, v9, v8, s27
	ds_read_u16 v8, v101 offset:96
	ds_read_u16 v62, v101 offset:240
	;; [unrolled: 1-line block ×4, first 2 shown]
	s_waitcnt lgkmcnt(2)
	v_perm_b32 v8, v62, v8, s27
	s_waitcnt lgkmcnt(0)
	v_perm_b32 v9, v63, v9, s27
	ds_read_u16 v20, v101 offset:4704
	ds_read_u16 v21, v101 offset:4848
	;; [unrolled: 1-line block ×4, first 2 shown]
	v_mfma_f32_16x16x16_f16 v[58:61], v[8:9], v[12:13], v[58:61]
	s_waitcnt lgkmcnt(0)
	s_barrier
	s_nop 5
	v_cvt_f16_f32_e32 v8, v58
	v_cvt_f16_f32_e32 v9, v59
	v_cvt_f16_f32_e32 v12, v60
	v_cvt_f16_f32_e32 v13, v61
	v_cvt_f32_f16_e32 v58, v8
	v_cvt_f32_f16_e32 v59, v9
	v_perm_b32 v9, v63, v62, s27
	v_perm_b32 v8, v21, v20, s27
	v_cvt_f32_f16_e32 v60, v12
	v_cvt_f32_f16_e32 v61, v13
	v_perm_b32 v13, v57, v53, s27
	s_nop 0
	v_mfma_f32_16x16x16_f16 v[8:11], v[8:9], v[10:11], v[58:61]
	s_nop 7
	v_cvt_f16_f32_e32 v10, v10
	v_cvt_f16_f32_e32 v11, v11
	;; [unrolled: 1-line block ×4, first 2 shown]
	v_perm_b32 v10, v11, v10, s27
	ds_bpermute_b32 v11, v15, v19
	s_waitcnt lgkmcnt(0)
	v_add_f32_e32 v11, v19, v11
	ds_bpermute_b32 v12, v18, v11
	v_perm_b32 v19, v21, v20, s27
	s_waitcnt lgkmcnt(0)
	v_add_f32_e32 v15, v11, v12
	v_perm_b32 v11, v56, v26, s27
	v_perm_b32 v12, v55, v54, s27
	s_and_saveexec_b64 s[6:7], s[30:31]
	s_cbranch_execz .LBB0_65
; %bb.64:                               ;   in Loop: Header=BB0_14 Depth=1
	v_cvt_pk_f16_f32 v4, v4, v5
	v_cvt_pk_f16_f32 v5, v6, v7
	global_load_dword v7, v27, s[90:91]
	v_cvt_pk_f16_f32 v3, v2, v3
	v_cvt_pk_f16_f32 v6, v8, v9
	v_max_f32_e32 v8, v14, v14
	s_waitcnt vmcnt(0)
	v_max_f32_e32 v2, v7, v7
	v_max_f32_e32 v2, v8, v2
	v_sub_f32_e32 v8, v14, v2
	v_mul_f32_e32 v9, 0x3fb8aa3b, v8
	v_fma_f32 v11, v8, s97, -v9
	v_rndne_f32_e32 v12, v9
	v_fmac_f32_e32 v11, 0x32a5705f, v8
	v_sub_f32_e32 v9, v9, v12
	v_add_f32_e32 v9, v9, v11
	v_exp_f32_e32 v9, v9
	v_cvt_i32_f32_e32 v11, v12
	v_cmp_ngt_f32_e32 vcc, s98, v8
	v_sub_f32_e32 v7, v7, v2
	v_ldexp_f32 v9, v9, v11
	v_cndmask_b32_e32 v9, 0, v9, vcc
	v_cmp_nlt_f32_e32 vcc, s73, v8
	s_nop 1
	v_cndmask_b32_e32 v9, v151, v9, vcc
	v_cmp_le_f32_e32 vcc, s26, v8
	s_nop 1
	v_cndmask_b32_e32 v8, 0, v9, vcc
	v_cvt_f16_f32_e32 v9, v8
	v_cmp_ngt_f32_e32 vcc, s98, v7
	v_mul_u32_u24_e32 v9, 0x10001, v9
	v_pk_mul_f16 v11, v3, v9
	v_mul_f32_e32 v3, 0x3fb8aa3b, v7
	v_pk_mul_f16 v12, v4, v9
	v_pk_mul_f16 v13, v5, v9
	v_fma_f32 v4, v7, s97, -v3
	v_rndne_f32_e32 v5, v3
	v_fmac_f32_e32 v4, 0x32a5705f, v7
	v_sub_f32_e32 v3, v3, v5
	v_add_f32_e32 v3, v3, v4
	v_exp_f32_e32 v3, v3
	v_cvt_i32_f32_e32 v4, v5
	v_pk_mul_f16 v1, v1, v9
	v_pk_mul_f16 v16, v16, v9
	;; [unrolled: 1-line block ×3, first 2 shown]
	v_ldexp_f32 v3, v3, v4
	v_cndmask_b32_e32 v3, 0, v3, vcc
	v_cmp_nlt_f32_e32 vcc, s73, v7
	v_pk_mul_f16 v19, v6, v9
	v_pk_mul_f16 v10, v10, v9
	v_cndmask_b32_e32 v3, v151, v3, vcc
	v_fmac_f32_e32 v3, v15, v8
	v_mov_b64_e32 v[14:15], v[2:3]
.LBB0_65:                               ;   in Loop: Header=BB0_14 Depth=1
	s_or_b64 exec, exec, s[6:7]
	s_mov_b64 s[6:7], exec
	v_readlane_b32 s30, v173, 57
	v_readlane_b32 s31, v173, 58
	s_and_b64 s[30:31], s[6:7], s[30:31]
	s_mov_b64 exec, s[30:31]
; %bb.66:                               ;   in Loop: Header=BB0_14 Depth=1
	v_add_u32_e32 v2, 0, v117
	ds_write2_b32 v2, v14, v15 offset0:32 offset1:33
; %bb.67:                               ;   in Loop: Header=BB0_14 Depth=1
	s_or_b64 exec, exec, s[6:7]
	s_waitcnt lgkmcnt(0)
	s_barrier
	s_mov_b64 s[6:7], exec
	v_readlane_b32 s30, v173, 40
	v_readlane_b32 s31, v173, 41
	s_and_b64 s[30:31], s[6:7], s[30:31]
	s_xor_b64 s[6:7], s[30:31], s[6:7]
	v_readlane_b32 s44, v172, 1
	s_mov_b64 exec, s[30:31]
	s_cbranch_execz .LBB0_69
; %bb.68:                               ;   in Loop: Header=BB0_14 Depth=1
	s_barrier
                                        ; implicit-def: $vgpr18
.LBB0_69:                               ;   in Loop: Header=BB0_14 Depth=1
	s_andn2_saveexec_b64 s[6:7], s[6:7]
	s_cbranch_execz .LBB0_75
; %bb.70:                               ;   in Loop: Header=BB0_14 Depth=1
	v_add_u32_e32 v3, 0, v118
	ds_read_b64 v[6:7], v3 offset:128
	s_waitcnt lgkmcnt(0)
	s_barrier
	ds_bpermute_b32 v2, v18, v6
	v_max_f32_e32 v4, v6, v6
	s_waitcnt lgkmcnt(0)
	v_max_f32_e32 v2, v2, v2
	v_max_f32_e32 v2, v4, v2
	v_sub_f32_e32 v4, v6, v2
	v_mul_f32_e32 v5, 0x3fb8aa3b, v4
	v_fma_f32 v6, v4, s97, -v5
	v_rndne_f32_e32 v8, v5
	v_fmac_f32_e32 v6, 0x32a5705f, v4
	v_sub_f32_e32 v5, v5, v8
	v_add_f32_e32 v5, v5, v6
	v_cvt_i32_f32_e32 v8, v8
	v_exp_f32_e32 v5, v5
	v_cmp_ngt_f32_e32 vcc, s98, v4
	v_ldexp_f32 v5, v5, v8
	s_nop 0
	v_cndmask_b32_e32 v5, 0, v5, vcc
	v_cmp_nlt_f32_e32 vcc, s73, v4
	s_nop 1
	v_cndmask_b32_e32 v4, v151, v5, vcc
	v_mul_f32_e32 v5, v7, v4
	ds_bpermute_b32 v5, v18, v5
	s_waitcnt lgkmcnt(0)
	v_fmac_f32_e32 v5, v7, v4
	s_mov_b64 s[30:31], exec
	v_readlane_b32 s34, v173, 59
	v_readlane_b32 s35, v173, 60
	s_and_b64 s[34:35], s[30:31], s[34:35]
	s_mov_b64 exec, s[34:35]
; %bb.71:                               ;   in Loop: Header=BB0_14 Depth=1
	ds_write_b64 v3, v[4:5] offset:128
; %bb.72:                               ;   in Loop: Header=BB0_14 Depth=1
	s_or_b64 exec, exec, s[30:31]
	s_mov_b64 s[30:31], exec
	v_readlane_b32 s34, v173, 57
	v_readlane_b32 s35, v173, 58
	s_and_b64 s[34:35], s[30:31], s[34:35]
	s_mov_b64 exec, s[34:35]
	s_cbranch_execz .LBB0_74
; %bb.73:                               ;   in Loop: Header=BB0_14 Depth=1
	v_mov_b32_e32 v3, v5
	global_store_dwordx2 v[42:43], v[2:3], off
.LBB0_74:                               ;   in Loop: Header=BB0_14 Depth=1
	s_or_b64 exec, exec, s[30:31]
.LBB0_75:                               ;   in Loop: Header=BB0_14 Depth=1
	s_or_b64 exec, exec, s[6:7]
	ds_write2_b32 v104, v11, v1 offset1:1
	ds_write2_b32 v104, v12, v16 offset0:8 offset1:9
	ds_write2_b32 v104, v13, v17 offset0:16 offset1:17
	;; [unrolled: 1-line block ×3, first 2 shown]
	s_waitcnt lgkmcnt(0)
	s_barrier
	s_and_saveexec_b64 s[6:7], s[36:37]
	s_cbranch_execz .LBB0_113
; %bb.76:                               ;   in Loop: Header=BB0_14 Depth=1
	v_add_u32_e32 v2, s76, v105
	v_cmp_gt_i32_e32 vcc, s72, v2
	v_mov_b32_e32 v1, 0x47
	s_and_saveexec_b64 s[30:31], vcc
	s_cbranch_execz .LBB0_78
; %bb.77:                               ;   in Loop: Header=BB0_14 Depth=1
	v_add_u32_e32 v4, v89, v120
	ds_read2st64_b32 v[4:5], v4 offset1:9
	v_readlane_b32 s34, v173, 53
	s_waitcnt lgkmcnt(0)
	v_cvt_f32_f16_e32 v8, v4
	v_mul_lo_u32 v1, s34, v2
	v_add_u32_e32 v2, 0, v120
	v_add_u32_e32 v2, 0x80, v2
	ds_read2st64_b32 v[2:3], v2 offset1:9
	v_cvt_f32_f16_sdwa v9, v4 dst_sel:DWORD dst_unused:UNUSED_PAD src0_sel:WORD_1
	v_cvt_f32_f16_e32 v4, v5
	v_cvt_f32_f16_sdwa v5, v5 dst_sel:DWORD dst_unused:UNUSED_PAD src0_sel:WORD_1
	v_or_b32_e32 v6, v1, v22
	v_readlane_b32 s34, v172, 3
	v_ashrrev_i32_e32 v7, 31, v6
	v_readlane_b32 s35, v172, 4
	s_waitcnt lgkmcnt(0)
	v_pk_fma_f32 v[8:9], v[2:3], v[8:9], 0 op_sel_hi:[0,1,0]
	v_mov_b32_e32 v2, v3
	v_lshl_add_u64 v[6:7], v[6:7], 3, s[34:35]
	v_pk_fma_f32 v[2:3], v[2:3], v[4:5], v[8:9] op_sel_hi:[0,1,1]
	v_mov_b32_e32 v1, 0
	global_store_dwordx2 v[6:7], v[2:3], off
.LBB0_78:                               ;   in Loop: Header=BB0_14 Depth=1
	s_or_b64 exec, exec, s[30:31]
	s_movk_i32 s30, 0x47
	v_cmp_gt_i32_e32 vcc, s30, v1
	s_mov_b64 s[30:31], -1
	s_and_saveexec_b64 s[34:35], vcc
; %bb.79:                               ;   in Loop: Header=BB0_14 Depth=1
	v_cmp_eq_u32_e32 vcc, 0, v1
	s_orn2_b64 s[30:31], vcc, exec
; %bb.80:                               ;   in Loop: Header=BB0_14 Depth=1
	s_or_b64 exec, exec, s[34:35]
	s_and_b64 exec, exec, s[30:31]
	s_cbranch_execz .LBB0_113
; %bb.81:                               ;   in Loop: Header=BB0_14 Depth=1
	v_add_u32_e32 v2, s76, v106
	v_cmp_gt_i32_e32 vcc, s72, v2
	v_mov_b32_e32 v1, 0x47
	s_and_saveexec_b64 s[30:31], vcc
	s_cbranch_execz .LBB0_83
; %bb.82:                               ;   in Loop: Header=BB0_14 Depth=1
	v_add_u32_e32 v4, v89, v121
	ds_read2st64_b32 v[4:5], v4 offset1:9
	v_readlane_b32 s34, v173, 53
	s_waitcnt lgkmcnt(0)
	v_cvt_f32_f16_e32 v8, v4
	v_mul_lo_u32 v1, s34, v2
	v_add_u32_e32 v2, 0, v121
	v_add_u32_e32 v2, 0x80, v2
	ds_read2st64_b32 v[2:3], v2 offset1:9
	v_cvt_f32_f16_sdwa v9, v4 dst_sel:DWORD dst_unused:UNUSED_PAD src0_sel:WORD_1
	v_cvt_f32_f16_e32 v4, v5
	v_cvt_f32_f16_sdwa v5, v5 dst_sel:DWORD dst_unused:UNUSED_PAD src0_sel:WORD_1
	v_or_b32_e32 v6, v1, v22
	v_readlane_b32 s34, v172, 3
	v_ashrrev_i32_e32 v7, 31, v6
	v_readlane_b32 s35, v172, 4
	s_waitcnt lgkmcnt(0)
	v_pk_fma_f32 v[8:9], v[2:3], v[8:9], 0 op_sel_hi:[0,1,0]
	v_mov_b32_e32 v2, v3
	v_lshl_add_u64 v[6:7], v[6:7], 3, s[34:35]
	v_pk_fma_f32 v[2:3], v[2:3], v[4:5], v[8:9] op_sel_hi:[0,1,1]
	v_mov_b32_e32 v1, 0
	global_store_dwordx2 v[6:7], v[2:3], off
.LBB0_83:                               ;   in Loop: Header=BB0_14 Depth=1
	s_or_b64 exec, exec, s[30:31]
	s_movk_i32 s30, 0x47
	v_cmp_gt_i32_e32 vcc, s30, v1
	s_mov_b64 s[30:31], -1
	s_and_saveexec_b64 s[34:35], vcc
; %bb.84:                               ;   in Loop: Header=BB0_14 Depth=1
	v_cmp_eq_u32_e32 vcc, 0, v1
	s_orn2_b64 s[30:31], vcc, exec
; %bb.85:                               ;   in Loop: Header=BB0_14 Depth=1
	s_or_b64 exec, exec, s[34:35]
	s_and_b64 exec, exec, s[30:31]
	;; [unrolled: 43-line block ×4, first 2 shown]
	s_cbranch_execz .LBB0_113
; %bb.96:                               ;   in Loop: Header=BB0_14 Depth=1
	v_add_u32_e32 v2, s76, v109
	v_cmp_gt_i32_e32 vcc, s72, v2
	v_mov_b32_e32 v1, 0x47
	s_and_saveexec_b64 s[30:31], vcc
	s_cbranch_execz .LBB0_98
; %bb.97:                               ;   in Loop: Header=BB0_14 Depth=1
	v_add_u32_e32 v4, v89, v124
	ds_read2st64_b32 v[4:5], v4 offset1:9
	v_readlane_b32 s34, v173, 53
	s_waitcnt lgkmcnt(0)
	v_cvt_f32_f16_e32 v8, v4
	v_mul_lo_u32 v1, s34, v2
	v_add_u32_e32 v2, 0, v124
	v_add_u32_e32 v2, 0x80, v2
	ds_read2st64_b32 v[2:3], v2 offset1:9
	v_cvt_f32_f16_sdwa v9, v4 dst_sel:DWORD dst_unused:UNUSED_PAD src0_sel:WORD_1
	v_cvt_f32_f16_e32 v4, v5
	v_cvt_f32_f16_sdwa v5, v5 dst_sel:DWORD dst_unused:UNUSED_PAD src0_sel:WORD_1
	v_or_b32_e32 v6, v1, v22
	v_readlane_b32 s34, v172, 3
	v_ashrrev_i32_e32 v7, 31, v6
	v_readlane_b32 s35, v172, 4
	s_waitcnt lgkmcnt(0)
	v_pk_fma_f32 v[8:9], v[2:3], v[8:9], 0 op_sel_hi:[0,1,0]
	v_mov_b32_e32 v2, v3
	v_lshl_add_u64 v[6:7], v[6:7], 3, s[34:35]
	v_pk_fma_f32 v[2:3], v[2:3], v[4:5], v[8:9] op_sel_hi:[0,1,1]
	v_mov_b32_e32 v1, 0
	global_store_dwordx2 v[6:7], v[2:3], off
.LBB0_98:                               ;   in Loop: Header=BB0_14 Depth=1
	s_or_b64 exec, exec, s[30:31]
	s_movk_i32 s30, 0x47
	v_cmp_gt_i32_e32 vcc, s30, v1
	s_mov_b64 s[30:31], -1
	s_and_saveexec_b64 s[34:35], vcc
; %bb.99:                               ;   in Loop: Header=BB0_14 Depth=1
	v_cmp_eq_u32_e32 vcc, 0, v1
	s_orn2_b64 s[30:31], vcc, exec
; %bb.100:                              ;   in Loop: Header=BB0_14 Depth=1
	s_or_b64 exec, exec, s[34:35]
	s_and_b64 exec, exec, s[30:31]
	s_cbranch_execz .LBB0_113
; %bb.101:                              ;   in Loop: Header=BB0_14 Depth=1
	v_add_u32_e32 v2, s76, v110
	v_cmp_gt_i32_e32 vcc, s72, v2
	v_mov_b32_e32 v1, 0x47
	s_and_saveexec_b64 s[30:31], vcc
	s_cbranch_execz .LBB0_103
; %bb.102:                              ;   in Loop: Header=BB0_14 Depth=1
	v_add_u32_e32 v4, v89, v125
	ds_read2st64_b32 v[4:5], v4 offset1:9
	v_readlane_b32 s34, v173, 53
	s_waitcnt lgkmcnt(0)
	v_cvt_f32_f16_e32 v8, v4
	v_mul_lo_u32 v1, s34, v2
	v_add_u32_e32 v2, 0, v125
	v_add_u32_e32 v2, 0x80, v2
	ds_read2st64_b32 v[2:3], v2 offset1:9
	v_cvt_f32_f16_sdwa v9, v4 dst_sel:DWORD dst_unused:UNUSED_PAD src0_sel:WORD_1
	v_cvt_f32_f16_e32 v4, v5
	v_cvt_f32_f16_sdwa v5, v5 dst_sel:DWORD dst_unused:UNUSED_PAD src0_sel:WORD_1
	v_or_b32_e32 v6, v1, v22
	v_readlane_b32 s34, v172, 3
	v_ashrrev_i32_e32 v7, 31, v6
	v_readlane_b32 s35, v172, 4
	s_waitcnt lgkmcnt(0)
	v_pk_fma_f32 v[8:9], v[2:3], v[8:9], 0 op_sel_hi:[0,1,0]
	v_mov_b32_e32 v2, v3
	v_lshl_add_u64 v[6:7], v[6:7], 3, s[34:35]
	v_pk_fma_f32 v[2:3], v[2:3], v[4:5], v[8:9] op_sel_hi:[0,1,1]
	v_mov_b32_e32 v1, 0
	global_store_dwordx2 v[6:7], v[2:3], off
.LBB0_103:                              ;   in Loop: Header=BB0_14 Depth=1
	s_or_b64 exec, exec, s[30:31]
	s_movk_i32 s30, 0x47
	v_cmp_gt_i32_e32 vcc, s30, v1
	s_mov_b64 s[30:31], -1
	s_and_saveexec_b64 s[34:35], vcc
; %bb.104:                              ;   in Loop: Header=BB0_14 Depth=1
	v_cmp_eq_u32_e32 vcc, 0, v1
	s_orn2_b64 s[30:31], vcc, exec
; %bb.105:                              ;   in Loop: Header=BB0_14 Depth=1
	s_or_b64 exec, exec, s[34:35]
	s_and_b64 exec, exec, s[30:31]
	s_cbranch_execz .LBB0_113
; %bb.106:                              ;   in Loop: Header=BB0_14 Depth=1
	v_add_u32_e32 v2, s76, v111
	v_cmp_gt_i32_e32 vcc, s72, v2
	v_mov_b32_e32 v1, 0x47
	s_and_saveexec_b64 s[30:31], vcc
	s_cbranch_execz .LBB0_108
; %bb.107:                              ;   in Loop: Header=BB0_14 Depth=1
	v_add_u32_e32 v4, v89, v126
	ds_read2st64_b32 v[4:5], v4 offset1:9
	v_readlane_b32 s34, v173, 53
	s_waitcnt lgkmcnt(0)
	v_cvt_f32_f16_e32 v8, v4
	v_mul_lo_u32 v1, s34, v2
	v_add_u32_e32 v2, 0, v126
	v_add_u32_e32 v2, 0x80, v2
	ds_read2st64_b32 v[2:3], v2 offset1:9
	v_cvt_f32_f16_sdwa v9, v4 dst_sel:DWORD dst_unused:UNUSED_PAD src0_sel:WORD_1
	v_cvt_f32_f16_e32 v4, v5
	v_cvt_f32_f16_sdwa v5, v5 dst_sel:DWORD dst_unused:UNUSED_PAD src0_sel:WORD_1
	v_or_b32_e32 v6, v1, v22
	v_readlane_b32 s34, v172, 3
	v_ashrrev_i32_e32 v7, 31, v6
	v_readlane_b32 s35, v172, 4
	s_waitcnt lgkmcnt(0)
	v_pk_fma_f32 v[8:9], v[2:3], v[8:9], 0 op_sel_hi:[0,1,0]
	v_mov_b32_e32 v2, v3
	v_lshl_add_u64 v[6:7], v[6:7], 3, s[34:35]
	v_pk_fma_f32 v[2:3], v[2:3], v[4:5], v[8:9] op_sel_hi:[0,1,1]
	v_mov_b32_e32 v1, 0
	global_store_dwordx2 v[6:7], v[2:3], off
.LBB0_108:                              ;   in Loop: Header=BB0_14 Depth=1
	s_or_b64 exec, exec, s[30:31]
	s_movk_i32 s30, 0x47
	v_cmp_gt_i32_e32 vcc, s30, v1
	s_mov_b64 s[30:31], -1
	s_and_saveexec_b64 s[34:35], vcc
; %bb.109:                              ;   in Loop: Header=BB0_14 Depth=1
	v_cmp_eq_u32_e32 vcc, 0, v1
	s_orn2_b64 s[30:31], vcc, exec
; %bb.110:                              ;   in Loop: Header=BB0_14 Depth=1
	s_or_b64 exec, exec, s[34:35]
	s_and_b64 exec, exec, s[30:31]
	s_cbranch_execz .LBB0_113
; %bb.111:                              ;   in Loop: Header=BB0_14 Depth=1
	v_add_u32_e32 v1, s76, v112
	v_cmp_gt_i32_e32 vcc, s72, v1
	s_and_b64 exec, exec, vcc
	s_cbranch_execz .LBB0_113
; %bb.112:                              ;   in Loop: Header=BB0_14 Depth=1
	v_add_u32_e32 v4, v89, v127
	ds_read2st64_b32 v[4:5], v4 offset1:9
	v_add_u32_e32 v2, 0, v127
	v_add_u32_e32 v2, 0x80, v2
	ds_read2st64_b32 v[2:3], v2 offset1:9
	v_readlane_b32 s30, v173, 53
	s_waitcnt lgkmcnt(1)
	v_cvt_f32_f16_e32 v8, v4
	v_cvt_f32_f16_sdwa v9, v4 dst_sel:DWORD dst_unused:UNUSED_PAD src0_sel:WORD_1
	v_cvt_f32_f16_e32 v4, v5
	v_cvt_f32_f16_sdwa v5, v5 dst_sel:DWORD dst_unused:UNUSED_PAD src0_sel:WORD_1
	v_mul_lo_u32 v1, s30, v1
	v_or_b32_e32 v6, v1, v22
	v_readlane_b32 s30, v172, 3
	v_ashrrev_i32_e32 v7, 31, v6
	v_readlane_b32 s31, v172, 4
	s_waitcnt lgkmcnt(0)
	v_pk_fma_f32 v[8:9], v[2:3], v[8:9], 0 op_sel_hi:[0,1,0]
	v_mov_b32_e32 v2, v3
	v_lshl_add_u64 v[6:7], v[6:7], 3, s[30:31]
	v_pk_fma_f32 v[2:3], v[2:3], v[4:5], v[8:9] op_sel_hi:[0,1,1]
	global_store_dwordx2 v[6:7], v[2:3], off
.LBB0_113:                              ;   in Loop: Header=BB0_14 Depth=1
	s_or_b64 exec, exec, s[6:7]
	s_barrier
	s_branch .LBB0_13
.LBB0_114:                              ;   in Loop: Header=BB0_14 Depth=1
	s_lshl_b32 s99, s99, 5
	v_add_u32_e32 v1, s99, v25
	v_cmp_le_i32_e32 vcc, s72, v1
	s_and_saveexec_b64 s[6:7], vcc
	s_xor_b64 s[6:7], exec, s[6:7]
; %bb.115:                              ;   in Loop: Header=BB0_14 Depth=1
	v_add_u32_e32 v1, v89, v145
	ds_write_b32 v1, v27
                                        ; implicit-def: $vgpr1
; %bb.116:                              ;   in Loop: Header=BB0_14 Depth=1
	s_andn2_saveexec_b64 s[6:7], s[6:7]
	s_cbranch_execz .LBB0_118
; %bb.117:                              ;   in Loop: Header=BB0_14 Depth=1
	v_mad_u64_u32 v[2:3], s[30:31], v1, s44, v[22:23]
	v_ashrrev_i32_e32 v3, 31, v2
	v_lshl_add_u64 v[2:3], v[2:3], 3, s[28:29]
	global_load_dwordx2 v[2:3], v[2:3], off
	s_waitcnt vmcnt(0)
	v_cvt_pk_f16_f32 v1, v2, v3
	v_pk_mul_f16 v1, v1, v88
	v_add_u32_e32 v2, v89, v145
	ds_write_b32 v2, v1
.LBB0_118:                              ;   in Loop: Header=BB0_14 Depth=1
	s_or_b64 exec, exec, s[6:7]
	v_add_u32_e32 v1, s99, v146
	v_cmp_le_i32_e32 vcc, s72, v1
	s_and_saveexec_b64 s[6:7], vcc
	s_xor_b64 s[6:7], exec, s[6:7]
; %bb.119:                              ;   in Loop: Header=BB0_14 Depth=1
	v_add_u32_e32 v1, v89, v145
	ds_write_b32 v1, v27 offset:1152
                                        ; implicit-def: $vgpr1
; %bb.120:                              ;   in Loop: Header=BB0_14 Depth=1
	s_andn2_saveexec_b64 s[6:7], s[6:7]
	s_cbranch_execz .LBB0_122
; %bb.121:                              ;   in Loop: Header=BB0_14 Depth=1
	v_mad_u64_u32 v[2:3], s[30:31], v1, s44, v[22:23]
	v_ashrrev_i32_e32 v3, 31, v2
	v_lshl_add_u64 v[2:3], v[2:3], 3, s[28:29]
	global_load_dwordx2 v[2:3], v[2:3], off
	s_waitcnt vmcnt(0)
	v_cvt_pk_f16_f32 v1, v2, v3
	v_pk_mul_f16 v1, v1, v88
	v_add_u32_e32 v2, v89, v145
	ds_write_b32 v2, v1 offset:1152
.LBB0_122:                              ;   in Loop: Header=BB0_14 Depth=1
	s_or_b64 exec, exec, s[6:7]
	v_add_u32_e32 v1, s99, v147
	v_cmp_le_i32_e32 vcc, s72, v1
	s_and_saveexec_b64 s[6:7], vcc
	s_xor_b64 s[6:7], exec, s[6:7]
; %bb.123:                              ;   in Loop: Header=BB0_14 Depth=1
	v_add_u32_e32 v1, v89, v145
	ds_write_b32 v1, v27 offset:2304
                                        ; implicit-def: $vgpr1
; %bb.124:                              ;   in Loop: Header=BB0_14 Depth=1
	s_andn2_saveexec_b64 s[6:7], s[6:7]
	s_cbranch_execz .LBB0_126
; %bb.125:                              ;   in Loop: Header=BB0_14 Depth=1
	v_mad_u64_u32 v[2:3], s[30:31], v1, s44, v[22:23]
	v_ashrrev_i32_e32 v3, 31, v2
	v_lshl_add_u64 v[2:3], v[2:3], 3, s[28:29]
	global_load_dwordx2 v[2:3], v[2:3], off
	s_waitcnt vmcnt(0)
	v_cvt_pk_f16_f32 v1, v2, v3
	v_pk_mul_f16 v1, v1, v88
	v_add_u32_e32 v2, v89, v145
	ds_write_b32 v2, v1 offset:2304
.LBB0_126:                              ;   in Loop: Header=BB0_14 Depth=1
	;; [unrolled: 23-line block ×3, first 2 shown]
	s_or_b64 exec, exec, s[6:7]
	s_waitcnt lgkmcnt(0)
	s_barrier
	ds_read2_b64 v[6:9], v91 offset1:4
	ds_read2_b64 v[2:5], v91 offset0:8 offset1:12
	s_cmp_lt_i32 s78, 2
	s_waitcnt lgkmcnt(0)
	s_barrier
	s_cbranch_scc1 .LBB0_141
; %bb.131:                              ;   in Loop: Header=BB0_14 Depth=1
	v_add_u32_e32 v1, s99, v23
	v_mul_hi_u32 v10, s86, v1
	v_add_u32_e32 v10, v1, v10
	v_lshrrev_b32_e32 v10, s87, v10
	v_mul_lo_u32 v10, v10, s72
	v_sub_u32_e32 v1, v1, v10
	v_add_u32_e32 v10, s99, v93
	v_mul_hi_u32 v11, s86, v10
	v_add_u32_e32 v11, v10, v11
	v_lshrrev_b32_e32 v11, s87, v11
	v_mul_lo_u32 v11, v11, s72
	v_sub_u32_e32 v12, v10, v11
	;; [unrolled: 6-line block ×8, first 2 shown]
	v_and_b32_e32 v10, 64, v153
	v_add_u32_e32 v10, 64, v10
	v_xor_b32_e32 v11, 32, v153
	v_cmp_lt_i32_e32 vcc, v11, v10
	v_readlane_b32 s6, v173, 63
	v_readlane_b32 s7, v172, 0
	v_cndmask_b32_e32 v11, v153, v11, vcc
	v_lshlrev_b32_e32 v26, 2, v11
	v_xor_b32_e32 v11, 16, v153
	v_cmp_lt_i32_e32 vcc, v11, v10
	s_mov_b32 s30, s6
	s_add_i32 s34, s78, -1
	v_cndmask_b32_e32 v10, v153, v11, vcc
	v_lshlrev_b32_e32 v156, 2, v10
	v_mov_b64_e32 v[10:11], s[8:9]
	v_mad_i64_i32 v[56:57], s[6:7], s30, v1, v[10:11]
	v_mad_i64_i32 v[58:59], s[6:7], s30, v12, v[10:11]
	v_mad_i64_i32 v[60:61], s[6:7], s30, v13, v[10:11]
	v_mad_i64_i32 v[62:63], s[6:7], s30, v14, v[10:11]
	v_mad_i64_i32 v[64:65], s[6:7], s30, v15, v[10:11]
	v_mad_i64_i32 v[66:67], s[6:7], s30, v16, v[10:11]
	v_mad_i64_i32 v[68:69], s[6:7], s30, v17, v[10:11]
	v_mad_i64_i32 v[70:71], s[6:7], s30, v18, v[10:11]
	s_cmp_lg_u64 s[8:9], 0
	v_readlane_b32 s6, v172, 5
	s_cselect_b64 s[28:29], -1, 0
	s_add_u32 s6, s6, s2
	v_readlane_b32 s2, v172, 6
	v_readlane_b32 s7, v172, 7
	s_addc_u32 s7, s2, s7
	v_readlane_b32 s2, v172, 8
	v_lshl_add_u64 v[72:73], v[44:45], 0, s[6:7]
	v_lshl_add_u64 v[74:75], v[46:47], 0, s[6:7]
	s_add_u32 s6, s2, s88
	s_addc_u32 s7, s77, s79
	v_mov_b32_e32 v54, v52
	v_mov_b32_e32 v55, v52
	v_lshl_add_u64 v[76:77], v[48:49], 0, s[6:7]
	v_lshl_add_u64 v[78:79], v[50:51], 0, s[6:7]
	v_mov_b32_e32 v80, 0
	v_mov_b32_e32 v161, 0xfeffffff
	;; [unrolled: 1-line block ×3, first 2 shown]
	s_mov_b32 s2, s34
	v_mov_b32_e32 v160, 0
	v_mov_b32_e32 v159, 0
	;; [unrolled: 1-line block ×7, first 2 shown]
	v_cndmask_b32_e64 v1, 0, 1, s[28:29]
	v_cmp_ne_u32_e64 s[30:31], 1, v1
	s_andn2_b64 vcc, exec, s[28:29]
	s_cbranch_vccnz .LBB0_137
.LBB0_132:                              ;   in Loop: Header=BB0_14 Depth=1
	s_and_saveexec_b64 s[6:7], s[0:1]
	s_xor_b64 s[6:7], exec, s[6:7]
	s_cbranch_execz .LBB0_134
; %bb.133:                              ;   in Loop: Header=BB0_14 Depth=1
	ds_write_b16 v92, v27 offset:9216
	ds_write_b16 v94, v27 offset:9216
	;; [unrolled: 1-line block ×4, first 2 shown]
.LBB0_134:                              ;   in Loop: Header=BB0_14 Depth=1
	s_or_saveexec_b64 s[6:7], s[6:7]
	v_mov_b32_e32 v1, 0
	v_mov_b32_e32 v10, 0
	;; [unrolled: 1-line block ×4, first 2 shown]
	s_xor_b64 exec, exec, s[6:7]
	s_cbranch_execz .LBB0_136
; %bb.135:                              ;   in Loop: Header=BB0_14 Depth=1
	v_lshl_add_u64 v[10:11], v[56:57], 0, v[28:29]
	global_load_ushort v14, v[10:11], off
	v_lshl_add_u64 v[10:11], v[58:59], 0, v[28:29]
	global_load_ushort v15, v[10:11], off
	;; [unrolled: 2-line block ×5, first 2 shown]
	v_lshl_add_u64 v[10:11], v[66:67], 0, v[28:29]
	v_lshl_add_u64 v[12:13], v[68:69], 0, v[28:29]
	global_load_ushort v10, v[10:11], off
	s_nop 0
	global_load_ushort v11, v[12:13], off
	v_lshl_add_u64 v[12:13], v[70:71], 0, v[28:29]
	global_load_ushort v12, v[12:13], off
	s_waitcnt vmcnt(7)
	ds_write_b16 v92, v14 offset:9216
	s_waitcnt vmcnt(6)
	ds_write_b16 v94, v15 offset:9216
	;; [unrolled: 2-line block ×4, first 2 shown]
.LBB0_136:                              ;   in Loop: Header=BB0_14 Depth=1
	s_or_b64 exec, exec, s[6:7]
	s_waitcnt vmcnt(3)
	ds_write_b16 v131, v1 offset:9216
	s_waitcnt vmcnt(2)
	ds_write_b16 v133, v10 offset:9216
	;; [unrolled: 2-line block ×4, first 2 shown]
.LBB0_137:                              ;   Parent Loop BB0_14 Depth=1
                                        ; =>  This Inner Loop Header: Depth=2
	v_lshl_add_u64 v[10:11], v[76:77], 0, v[40:41]
	v_mov_b32_e32 v1, s93
	v_cndmask_b32_e64 v11, v1, v11, s[50:51]
	v_cndmask_b32_e64 v10, v154, v10, s[50:51]
	v_lshl_add_u64 v[12:13], v[78:79], 0, v[40:41]
	scratch_store_dwordx4 off, v[164:167], off
	v_cndmask_b32_e64 v15, v1, v13, s[4:5]
	v_cndmask_b32_e64 v14, v154, v12, s[4:5]
	flat_load_dwordx4 v[10:13], v[10:11]
	v_add_u32_e32 v1, v90, v96
	s_and_b64 vcc, exec, s[30:31]
	s_waitcnt vmcnt(0) lgkmcnt(0)
	ds_write_b128 v98, v[10:13]
	flat_load_dwordx4 v[10:13], v[14:15]
	s_waitcnt vmcnt(0) lgkmcnt(0)
	ds_write_b128 v139, v[10:13]
	s_waitcnt lgkmcnt(0)
	s_barrier
	ds_read2_b64 v[10:13], v1 offset1:4
	s_waitcnt lgkmcnt(0)
	v_mfma_f32_16x16x16_f16 v[18:21], v[10:11], v[6:7], 0
	v_mfma_f32_16x16x16_f16 v[10:13], v[12:13], v[8:9], v[18:21]
	s_nop 6
	ds_read2_b64 v[18:21], v1 offset0:8 offset1:12
	s_waitcnt lgkmcnt(0)
	v_mfma_f32_16x16x16_f16 v[10:13], v[18:19], v[2:3], v[10:13]
	v_add_u32_e32 v1, 0x1000, v1
	v_mfma_f32_16x16x16_f16 v[12:15], v[20:21], v[4:5], v[10:13]
	ds_read2_b64 v[18:21], v1 offset0:64 offset1:68
	s_waitcnt lgkmcnt(0)
	v_mfma_f32_16x16x16_f16 v[168:171], v[18:19], v[6:7], 0
	v_mfma_f32_16x16x16_f16 v[18:21], v[20:21], v[8:9], v[168:171]
	s_nop 6
	ds_read2_b64 v[168:171], v1 offset0:72 offset1:76
	s_waitcnt lgkmcnt(0)
	v_mfma_f32_16x16x16_f16 v[18:21], v[168:169], v[2:3], v[18:21]
	s_barrier
	v_mfma_f32_16x16x16_f16 v[18:21], v[170:171], v[4:5], v[18:21]
	s_cbranch_vccnz .LBB0_139
; %bb.138:                              ;   in Loop: Header=BB0_137 Depth=2
	v_add_u32_e32 v1, 0x2400, v100
	ds_read2_b32 v[10:11], v1 offset1:1
	ds_read_b32 v1, v114 offset:9216
	v_mov_b32_e32 v53, v52
	s_waitcnt lgkmcnt(1)
	v_cvt_f32_f16_e32 v162, v10
	v_cvt_f32_f16_sdwa v163, v10 dst_sel:DWORD dst_unused:UNUSED_PAD src0_sel:WORD_1
	v_cvt_f32_f16_e32 v10, v11
	v_cvt_f32_f16_sdwa v11, v11 dst_sel:DWORD dst_unused:UNUSED_PAD src0_sel:WORD_1
	v_pk_fma_f32 v[12:13], v[54:55], v[162:163], v[12:13]
	v_pk_fma_f32 v[14:15], v[52:53], v[10:11], v[14:15]
	s_waitcnt lgkmcnt(0)
	v_cvt_f32_f16_sdwa v11, v1 dst_sel:DWORD dst_unused:UNUSED_PAD src0_sel:WORD_1
	v_cvt_f32_f16_e32 v10, v1
	ds_read_b32 v1, v116 offset:9216
	v_pk_fma_f32 v[18:19], v[54:55], v[10:11], v[18:19]
	s_waitcnt lgkmcnt(0)
	v_cvt_f32_f16_sdwa v163, v1 dst_sel:DWORD dst_unused:UNUSED_PAD src0_sel:WORD_1
	v_cvt_f32_f16_e32 v162, v1
	v_pk_fma_f32 v[20:21], v[52:53], v[162:163], v[20:21]
.LBB0_139:                              ;   in Loop: Header=BB0_137 Depth=2
	v_add_f32_e32 v1, 0x40051340, v12
	v_max_f32_e32 v10, v161, v161
	v_max_f32_e32 v1, v10, v1
	v_cndmask_b32_e64 v1, v161, v1, s[10:11]
	v_add_f32_e32 v10, 0x40051340, v13
	v_max_f32_e32 v11, v1, v1
	v_max_f32_e32 v10, v11, v10
	v_cndmask_b32_e64 v1, v1, v10, s[12:13]
	;; [unrolled: 4-line block ×8, first 2 shown]
	ds_bpermute_b32 v10, v26, v1
	v_max_f32_e32 v1, v1, v1
	scratch_store_dwordx4 off, v[164:167], off
	s_add_i32 s2, s2, -1
	v_lshl_add_u64 v[56:57], v[56:57], 0, s[84:85]
	s_waitcnt lgkmcnt(0)
	v_max_f32_e32 v10, v10, v10
	v_max_f32_e32 v1, v1, v10
	ds_bpermute_b32 v10, v156, v1
	v_lshl_add_u64 v[58:59], v[58:59], 0, s[84:85]
	v_lshl_add_u64 v[60:61], v[60:61], 0, s[84:85]
	;; [unrolled: 1-line block ×4, first 2 shown]
	s_waitcnt lgkmcnt(0)
	v_max_f32_e32 v10, v10, v10
	v_max_f32_e32 v53, v1, v10
	v_sub_f32_e32 v1, v12, v53
	v_mul_f32_e32 v10, 0x3fb8aa3b, v1
	v_fma_f32 v11, v1, s97, -v10
	v_rndne_f32_e32 v12, v10
	v_fmac_f32_e32 v11, 0x32a5705f, v1
	v_sub_f32_e32 v10, v10, v12
	v_add_f32_e32 v10, v10, v11
	v_exp_f32_e32 v10, v10
	v_cvt_i32_f32_e32 v11, v12
	v_cmp_ngt_f32_e32 vcc, s98, v1
	v_lshl_add_u64 v[66:67], v[66:67], 0, s[84:85]
	v_lshl_add_u64 v[68:69], v[68:69], 0, s[84:85]
	v_ldexp_f32 v10, v10, v11
	v_cndmask_b32_e32 v10, 0, v10, vcc
	v_cmp_nlt_f32_e32 vcc, s73, v1
	v_lshl_add_u64 v[70:71], v[70:71], 0, s[84:85]
	v_lshl_add_u64 v[76:77], v[76:77], 0, s[82:83]
	v_cndmask_b32_e32 v1, v151, v10, vcc
	v_cndmask_b32_e64 v12, 0, v1, s[10:11]
	v_sub_f32_e32 v1, v13, v53
	v_mul_f32_e32 v10, 0x3fb8aa3b, v1
	v_fma_f32 v11, v1, s97, -v10
	v_rndne_f32_e32 v13, v10
	v_fmac_f32_e32 v11, 0x32a5705f, v1
	v_sub_f32_e32 v10, v10, v13
	v_add_f32_e32 v10, v10, v11
	v_exp_f32_e32 v10, v10
	v_cvt_i32_f32_e32 v11, v13
	v_cmp_ngt_f32_e32 vcc, s98, v1
	v_lshl_add_u64 v[78:79], v[78:79], 0, s[82:83]
	s_cmp_lg_u32 s2, 0
	v_ldexp_f32 v10, v10, v11
	v_cndmask_b32_e32 v10, 0, v10, vcc
	v_cmp_nlt_f32_e32 vcc, s73, v1
	v_mov_b32_e32 v1, s3
	s_nop 0
	v_cndmask_b32_e32 v10, v151, v10, vcc
	v_add_f32_e32 v13, v10, v12
	v_cndmask_b32_e64 v11, v1, v10, s[12:13]
	v_sub_f32_e32 v10, v14, v53
	v_cndmask_b32_e64 v1, v12, v13, s[12:13]
	v_mul_f32_e32 v13, 0x3fb8aa3b, v10
	v_fma_f32 v14, v10, s97, -v13
	v_rndne_f32_e32 v16, v13
	v_fmac_f32_e32 v14, 0x32a5705f, v10
	v_sub_f32_e32 v13, v13, v16
	v_add_f32_e32 v13, v13, v14
	v_exp_f32_e32 v13, v13
	v_cvt_i32_f32_e32 v14, v16
	v_cmp_ngt_f32_e32 vcc, s98, v10
	v_ldexp_f32 v13, v13, v14
	s_nop 0
	v_cndmask_b32_e32 v13, 0, v13, vcc
	v_cmp_nlt_f32_e32 vcc, s73, v10
	v_mov_b32_e32 v10, s3
	s_nop 0
	v_cndmask_b32_e32 v13, v151, v13, vcc
	v_cndmask_b32_e64 v16, v10, v13, s[14:15]
	v_sub_f32_e32 v10, v15, v53
	v_add_f32_e32 v14, v1, v13
	v_mul_f32_e32 v13, 0x3fb8aa3b, v10
	v_cndmask_b32_e64 v1, v1, v14, s[14:15]
	v_fma_f32 v14, v10, s97, -v13
	v_rndne_f32_e32 v15, v13
	v_fmac_f32_e32 v14, 0x32a5705f, v10
	v_sub_f32_e32 v13, v13, v15
	v_add_f32_e32 v13, v13, v14
	v_exp_f32_e32 v13, v13
	v_cvt_i32_f32_e32 v14, v15
	v_cmp_ngt_f32_e32 vcc, s98, v10
	v_ldexp_f32 v13, v13, v14
	s_nop 0
	v_cndmask_b32_e32 v13, 0, v13, vcc
	v_cmp_nlt_f32_e32 vcc, s73, v10
	s_nop 1
	v_cndmask_b32_e32 v10, v151, v13, vcc
	v_mov_b32_e32 v13, s3
	v_add_f32_e32 v14, v1, v10
	v_cndmask_b32_e64 v15, v13, v10, s[16:17]
	v_sub_f32_e32 v10, v18, v53
	v_mul_f32_e32 v13, 0x3fb8aa3b, v10
	v_cndmask_b32_e64 v1, v1, v14, s[16:17]
	v_fma_f32 v14, v10, s97, -v13
	v_rndne_f32_e32 v18, v13
	v_fmac_f32_e32 v14, 0x32a5705f, v10
	v_sub_f32_e32 v13, v13, v18
	v_add_f32_e32 v13, v13, v14
	v_exp_f32_e32 v13, v13
	v_cvt_i32_f32_e32 v14, v18
	v_cmp_ngt_f32_e32 vcc, s98, v10
	v_ldexp_f32 v13, v13, v14
	s_nop 0
	v_cndmask_b32_e32 v13, 0, v13, vcc
	v_cmp_nlt_f32_e32 vcc, s73, v10
	v_mov_b32_e32 v10, s3
	s_nop 0
	v_cndmask_b32_e32 v13, v151, v13, vcc
	v_add_f32_e32 v14, v13, v1
	v_cndmask_b32_e64 v10, v10, v13, s[18:19]
	v_cndmask_b32_e64 v13, v1, v14, s[18:19]
	v_sub_f32_e32 v1, v19, v53
	v_mul_f32_e32 v14, 0x3fb8aa3b, v1
	v_fma_f32 v18, v1, s97, -v14
	v_rndne_f32_e32 v19, v14
	v_fmac_f32_e32 v18, 0x32a5705f, v1
	v_sub_f32_e32 v14, v14, v19
	v_add_f32_e32 v14, v14, v18
	v_exp_f32_e32 v14, v14
	v_cvt_i32_f32_e32 v18, v19
	v_cmp_ngt_f32_e32 vcc, s98, v1
	v_ldexp_f32 v14, v14, v18
	s_nop 0
	v_cndmask_b32_e32 v14, 0, v14, vcc
	v_cmp_nlt_f32_e32 vcc, s73, v1
	v_mov_b32_e32 v1, s3
	s_nop 0
	v_cndmask_b32_e32 v14, v151, v14, vcc
	v_add_f32_e32 v18, v14, v13
	v_cndmask_b32_e64 v1, v1, v14, s[20:21]
	v_sub_f32_e32 v14, v20, v53
	v_cndmask_b32_e64 v13, v13, v18, s[20:21]
	v_mul_f32_e32 v18, 0x3fb8aa3b, v14
	v_fma_f32 v19, v14, s97, -v18
	v_rndne_f32_e32 v20, v18
	v_fmac_f32_e32 v19, 0x32a5705f, v14
	v_sub_f32_e32 v18, v18, v20
	v_add_f32_e32 v18, v18, v19
	v_exp_f32_e32 v18, v18
	v_cvt_i32_f32_e32 v19, v20
	v_cmp_ngt_f32_e32 vcc, s98, v14
	v_ldexp_f32 v18, v18, v19
	s_nop 0
	v_cndmask_b32_e32 v18, 0, v18, vcc
	v_cmp_nlt_f32_e32 vcc, s73, v14
	v_mov_b32_e32 v14, s3
	s_nop 0
	v_cndmask_b32_e32 v18, v151, v18, vcc
	v_add_f32_e32 v19, v18, v13
	v_cndmask_b32_e64 v14, v14, v18, s[22:23]
	v_cndmask_b32_e64 v18, v13, v19, s[22:23]
	v_sub_f32_e32 v13, v21, v53
	v_mul_f32_e32 v19, 0x3fb8aa3b, v13
	v_fma_f32 v20, v13, s97, -v19
	v_rndne_f32_e32 v21, v19
	v_fmac_f32_e32 v20, 0x32a5705f, v13
	v_sub_f32_e32 v19, v19, v21
	v_add_f32_e32 v19, v19, v20
	v_exp_f32_e32 v19, v19
	v_cvt_i32_f32_e32 v20, v21
	v_cmp_ngt_f32_e32 vcc, s98, v13
	v_ldexp_f32 v19, v19, v20
	s_nop 0
	v_cndmask_b32_e32 v19, 0, v19, vcc
	v_cmp_nlt_f32_e32 vcc, s73, v13
	v_mov_b32_e32 v13, s3
	s_nop 0
	v_cndmask_b32_e32 v19, v151, v19, vcc
	v_add_f32_e32 v20, v19, v18
	v_cndmask_b32_e64 v155, v18, v20, s[24:25]
	v_sub_f32_e32 v18, v161, v53
	v_cndmask_b32_e64 v13, v13, v19, s[24:25]
	v_mul_f32_e32 v19, 0x3fb8aa3b, v18
	v_fma_f32 v20, v18, s97, -v19
	v_rndne_f32_e32 v21, v19
	v_fmac_f32_e32 v20, 0x32a5705f, v18
	v_sub_f32_e32 v19, v19, v21
	v_add_f32_e32 v19, v19, v20
	v_exp_f32_e32 v19, v19
	v_cvt_i32_f32_e32 v20, v21
	v_cmp_ngt_f32_e32 vcc, s98, v18
	v_ldexp_f32 v19, v19, v20
	s_nop 0
	v_cndmask_b32_e32 v19, 0, v19, vcc
	v_cmp_nlt_f32_e32 vcc, s73, v18
	v_lshl_add_u64 v[20:21], v[74:75], 0, v[40:41]
	v_lshl_add_u64 v[74:75], v[74:75], 0, s[80:81]
	v_cndmask_b32_e32 v19, v151, v19, vcc
	v_cmp_le_f32_e32 vcc, s26, v18
	s_nop 1
	v_cndmask_b32_e32 v18, 0, v19, vcc
	v_fmac_f32_e32 v155, v17, v18
	v_cvt_f16_f32_e32 v17, v18
	v_mul_u32_u24_e32 v18, 0x10001, v17
	v_pk_mul_f16 v163, v80, v18
	v_pk_mul_f16 v162, v160, v18
	;; [unrolled: 1-line block ×8, first 2 shown]
	v_lshl_add_u64 v[18:19], v[72:73], 0, v[40:41]
	v_mov_b32_e32 v80, s93
	v_cndmask_b32_e64 v19, v80, v19, s[50:51]
	v_cndmask_b32_e64 v18, v154, v18, s[50:51]
	;; [unrolled: 1-line block ×4, first 2 shown]
	flat_load_dwordx4 v[18:21], v[18:19]
	v_cvt_pk_f16_f32 v83, v16, v15
	v_lshl_add_u64 v[72:73], v[72:73], 0, s[80:81]
	s_waitcnt vmcnt(0) lgkmcnt(0)
	ds_write_b128 v98, v[18:21]
	flat_load_dwordx4 v[18:21], v[80:81]
	s_waitcnt vmcnt(0) lgkmcnt(0)
	ds_write_b128 v139, v[18:21]
	s_waitcnt lgkmcnt(0)
	s_barrier
	ds_read_u16 v80, v101 offset:144
	ds_read_u16 v81, v102
	ds_read_u16 v168, v102 offset:32
	ds_read_u16 v82, v103
	ds_read_u16 v169, v103 offset:32
	v_cvt_f32_f16_e32 v18, v163
	v_cvt_f32_f16_sdwa v19, v163 dst_sel:DWORD dst_unused:UNUSED_PAD src0_sel:WORD_1
	v_cvt_f32_f16_e32 v20, v162
	s_waitcnt lgkmcnt(1)
	v_perm_b32 v81, v82, v81, s27
	ds_read_u16 v82, v101
	ds_read_u16 v170, v101 offset:32
	v_cvt_f32_f16_sdwa v21, v162 dst_sel:DWORD dst_unused:UNUSED_PAD src0_sel:WORD_1
	s_waitcnt lgkmcnt(1)
	v_perm_b32 v80, v80, v82, s27
	v_cvt_pk_f16_f32 v82, v12, v11
	s_nop 1
	v_mfma_f32_16x16x16_f16 v[18:21], v[80:81], v[82:83], v[18:21]
	ds_read_u16 v80, v101 offset:4608
	ds_read_u16 v81, v101 offset:4752
	;; [unrolled: 1-line block ×4, first 2 shown]
	s_nop 3
	v_cvt_f16_f32_e32 v11, v18
	v_cvt_f16_f32_e32 v12, v19
	;; [unrolled: 1-line block ×4, first 2 shown]
	s_waitcnt lgkmcnt(0)
	v_perm_b32 v163, v163, v162, s27
	v_perm_b32 v162, v81, v80, s27
	v_cvt_pk_f16_f32 v80, v10, v1
	ds_read_u16 v1, v101 offset:176
	v_cvt_f32_f16_e32 v18, v11
	v_cvt_f32_f16_e32 v19, v12
	;; [unrolled: 1-line block ×4, first 2 shown]
	v_cvt_pk_f16_f32 v81, v14, v13
	v_cvt_f32_f16_e32 v14, v161
	v_cvt_f32_f16_sdwa v15, v161 dst_sel:DWORD dst_unused:UNUSED_PAD src0_sel:WORD_1
	v_mfma_f32_16x16x16_f16 v[10:13], v[162:163], v[80:81], v[18:21]
	v_cvt_f32_f16_e32 v16, v17
	v_cvt_f32_f16_sdwa v17, v17 dst_sel:DWORD dst_unused:UNUSED_PAD src0_sel:WORD_1
	s_nop 0
	v_perm_b32 v19, v169, v168, s27
	s_waitcnt lgkmcnt(0)
	v_perm_b32 v18, v1, v170, s27
	s_nop 1
	v_mfma_f32_16x16x16_f16 v[14:17], v[18:19], v[82:83], v[14:17]
	ds_read_u16 v18, v101 offset:4640
	ds_read_u16 v20, v101 offset:4784
	;; [unrolled: 1-line block ×4, first 2 shown]
	s_nop 3
	v_cvt_f16_f32_e32 v1, v14
	v_cvt_f16_f32_e32 v15, v15
	;; [unrolled: 1-line block ×4, first 2 shown]
	v_cvt_f32_f16_e32 v14, v1
	s_waitcnt lgkmcnt(0)
	v_perm_b32 v19, v21, v19, s27
	v_perm_b32 v18, v20, v18, s27
	ds_read_u16 v1, v101 offset:64
	ds_read_u16 v162, v101 offset:208
	;; [unrolled: 1-line block ×4, first 2 shown]
	v_cvt_f32_f16_e32 v15, v15
	v_cvt_f32_f16_e32 v16, v16
	;; [unrolled: 1-line block ×4, first 2 shown]
	s_waitcnt lgkmcnt(0)
	v_perm_b32 v161, v163, v161, s27
	v_mfma_f32_16x16x16_f16 v[14:17], v[18:19], v[80:81], v[14:17]
	v_cvt_f32_f16_e32 v18, v160
	v_cvt_f32_f16_sdwa v19, v160 dst_sel:DWORD dst_unused:UNUSED_PAD src0_sel:WORD_1
	v_perm_b32 v160, v162, v1, s27
	v_cvt_f32_f16_sdwa v21, v159 dst_sel:DWORD dst_unused:UNUSED_PAD src0_sel:WORD_1
	v_cvt_f32_f16_sdwa v163, v157 dst_sel:DWORD dst_unused:UNUSED_PAD src0_sel:WORD_1
	s_nop 0
	v_mfma_f32_16x16x16_f16 v[18:21], v[160:161], v[82:83], v[18:21]
	ds_read_u16 v159, v101 offset:4672
	ds_read_u16 v160, v101 offset:4816
	;; [unrolled: 1-line block ×4, first 2 shown]
	s_nop 3
	v_cvt_f16_f32_e32 v1, v18
	v_cvt_f16_f32_e32 v19, v19
	v_cvt_f16_f32_e32 v20, v20
	v_cvt_f16_f32_e32 v21, v21
	v_cvt_f32_f16_e32 v18, v1
	s_waitcnt lgkmcnt(0)
	v_perm_b32 v161, v162, v161, s27
	v_perm_b32 v160, v160, v159, s27
	ds_read_u16 v1, v101 offset:96
	ds_read_u16 v168, v101 offset:240
	;; [unrolled: 1-line block ×4, first 2 shown]
	v_cvt_f32_f16_e32 v19, v19
	v_cvt_f32_f16_e32 v20, v20
	;; [unrolled: 1-line block ×4, first 2 shown]
	s_waitcnt lgkmcnt(0)
	v_perm_b32 v159, v169, v159, s27
	v_mfma_f32_16x16x16_f16 v[18:21], v[160:161], v[80:81], v[18:21]
	v_cvt_f32_f16_e32 v160, v158
	v_cvt_f32_f16_sdwa v161, v158 dst_sel:DWORD dst_unused:UNUSED_PAD src0_sel:WORD_1
	v_perm_b32 v158, v168, v1, s27
	s_nop 1
	v_mfma_f32_16x16x16_f16 v[158:161], v[158:159], v[82:83], v[160:163]
	s_nop 2
	ds_read_u16 v162, v101 offset:4704
	ds_read_u16 v163, v101 offset:4848
	;; [unrolled: 1-line block ×4, first 2 shown]
	s_waitcnt lgkmcnt(0)
	s_barrier
	v_cvt_f16_f32_e32 v82, v159
	v_cvt_f16_f32_e32 v83, v160
	v_cvt_f16_f32_e32 v1, v158
	v_cvt_f16_f32_e32 v157, v161
	v_cvt_f32_f16_e32 v159, v82
	v_cvt_f32_f16_e32 v160, v83
	v_perm_b32 v83, v169, v168, s27
	v_perm_b32 v82, v163, v162, s27
	v_cvt_f32_f16_e32 v158, v1
	v_cvt_f32_f16_e32 v161, v157
	v_cvt_pk_f16_f32 v157, v18, v19
	s_nop 0
	v_mfma_f32_16x16x16_f16 v[168:171], v[82:83], v[80:81], v[158:161]
	v_cvt_pk_f16_f32 v80, v10, v11
	v_cvt_pk_f16_f32 v83, v20, v21
	s_nop 0
	v_cvt_pk_f16_f32 v160, v12, v13
	v_cvt_pk_f16_f32 v159, v14, v15
	;; [unrolled: 1-line block ×3, first 2 shown]
	s_nop 1
	v_cvt_pk_f16_f32 v82, v168, v169
	v_cvt_pk_f16_f32 v81, v170, v171
	s_cbranch_scc0 .LBB0_142
; %bb.140:                              ;   in Loop: Header=BB0_137 Depth=2
	v_mov_b32_e32 v17, v155
	v_mov_b32_e32 v161, v53
	v_cndmask_b32_e64 v1, 0, 1, s[28:29]
	v_cmp_ne_u32_e64 s[30:31], 1, v1
	s_andn2_b64 vcc, exec, s[28:29]
	s_cbranch_vccz .LBB0_132
	s_branch .LBB0_137
.LBB0_141:                              ;   in Loop: Header=BB0_14 Depth=1
	v_mov_b32_e32 v53, 0xfeffffff
	s_mov_b32 s2, 0
	v_mov_b32_e32 v155, 0
	v_mov_b32_e32 v81, 0
	;; [unrolled: 1-line block ×9, first 2 shown]
	s_branch .LBB0_143
.LBB0_142:                              ;   in Loop: Header=BB0_14 Depth=1
	s_lshl_b32 s2, s34, 6
.LBB0_143:                              ;   in Loop: Header=BB0_14 Depth=1
	v_readlane_b32 s6, v173, 4
	s_sub_i32 s52, s6, s2
	v_readlane_b32 s7, v173, 5
	s_cmp_lg_u64 s[8:9], 0
	s_cselect_b64 s[6:7], -1, 0
	s_cmp_eq_u64 s[8:9], 0
	s_cbranch_scc1 .LBB0_153
; %bb.144:                              ;   in Loop: Header=BB0_14 Depth=1
	s_lshl_b64 s[28:29], s[2:3], 1
	s_add_u32 s28, s8, s28
	s_addc_u32 s29, s9, s29
	v_cmp_le_i32_e32 vcc, s52, v24
	s_and_saveexec_b64 s[8:9], vcc
	s_xor_b64 s[8:9], exec, s[8:9]
	s_cbranch_execz .LBB0_146
; %bb.145:                              ;   in Loop: Header=BB0_14 Depth=1
	ds_write_b16 v92, v27 offset:9216
	ds_write_b16 v94, v27 offset:9216
.LBB0_146:                              ;   in Loop: Header=BB0_14 Depth=1
	s_or_saveexec_b64 s[8:9], s[8:9]
	v_lshlrev_b32_e32 v26, 1, v24
	v_lshl_add_u64 v[10:11], s[28:29], 0, v[26:27]
	v_mov_b32_e32 v1, 0
	v_mov_b32_e32 v12, 0
	s_xor_b64 exec, exec, s[8:9]
	s_cbranch_execz .LBB0_148
; %bb.147:                              ;   in Loop: Header=BB0_14 Depth=1
	v_add_u32_e32 v1, s99, v23
	v_mul_hi_u32 v12, s86, v1
	v_add_u32_e32 v12, v1, v12
	v_lshrrev_b32_e32 v12, s87, v12
	v_mul_lo_u32 v12, v12, s72
	v_readlane_b32 s28, v173, 61
	v_sub_u32_e32 v1, v1, v12
	v_readlane_b32 s29, v173, 62
	s_mov_b32 s30, s28
	v_mad_i64_i32 v[12:13], s[28:29], v1, s30, 0
	v_lshl_add_u64 v[12:13], v[12:13], 1, v[10:11]
	global_load_ushort v1, v[12:13], off
	v_add_u32_e32 v12, s99, v93
	v_mul_hi_u32 v13, s86, v12
	v_add_u32_e32 v13, v12, v13
	v_lshrrev_b32_e32 v13, s87, v13
	v_mul_lo_u32 v13, v13, s72
	v_sub_u32_e32 v12, v12, v13
	v_mad_i64_i32 v[12:13], s[28:29], v12, s30, 0
	v_lshl_add_u64 v[12:13], v[12:13], 1, v[10:11]
	global_load_ushort v12, v[12:13], off
	s_waitcnt vmcnt(1)
	ds_write_b16 v92, v1 offset:9216
	s_waitcnt vmcnt(0)
	ds_write_b16 v94, v12 offset:9216
	v_add_u32_e32 v1, s99, v95
	v_mul_hi_u32 v12, s86, v1
	v_add_u32_e32 v12, v1, v12
	v_lshrrev_b32_e32 v12, s87, v12
	v_mul_lo_u32 v12, v12, s72
	v_sub_u32_e32 v1, v1, v12
	v_mad_i64_i32 v[12:13], s[28:29], v1, s30, 0
	v_lshl_add_u64 v[12:13], v[12:13], 1, v[10:11]
	global_load_ushort v1, v[12:13], off
	v_add_u32_e32 v12, s99, v128
	v_mul_hi_u32 v13, s86, v12
	v_add_u32_e32 v13, v12, v13
	v_lshrrev_b32_e32 v13, s87, v13
	v_mul_lo_u32 v13, v13, s72
	v_sub_u32_e32 v12, v12, v13
	v_mad_i64_i32 v[12:13], s[28:29], v12, s30, 0
	v_lshl_add_u64 v[12:13], v[12:13], 1, v[10:11]
	global_load_ushort v12, v[12:13], off
.LBB0_148:                              ;   in Loop: Header=BB0_14 Depth=1
	s_or_b64 exec, exec, s[8:9]
	s_waitcnt vmcnt(1)
	ds_write_b16 v119, v1 offset:9216
	s_waitcnt vmcnt(0)
	ds_write_b16 v129, v12 offset:9216
	s_and_saveexec_b64 s[8:9], vcc
	s_xor_b64 s[8:9], exec, s[8:9]
	s_cbranch_execz .LBB0_150
; %bb.149:                              ;   in Loop: Header=BB0_14 Depth=1
	ds_write_b16 v131, v27 offset:9216
	ds_write_b16 v133, v27 offset:9216
                                        ; implicit-def: $vgpr10_vgpr11
.LBB0_150:                              ;   in Loop: Header=BB0_14 Depth=1
	s_or_saveexec_b64 s[8:9], s[8:9]
	v_mov_b32_e32 v1, 0
	v_mov_b32_e32 v12, 0
	s_xor_b64 exec, exec, s[8:9]
	s_cbranch_execz .LBB0_152
; %bb.151:                              ;   in Loop: Header=BB0_14 Depth=1
	v_add_u32_e32 v1, s99, v130
	v_mul_hi_u32 v12, s86, v1
	v_add_u32_e32 v12, v1, v12
	v_lshrrev_b32_e32 v12, s87, v12
	v_mul_lo_u32 v12, v12, s72
	v_readlane_b32 s28, v173, 61
	v_sub_u32_e32 v1, v1, v12
	v_readlane_b32 s29, v173, 62
	s_mov_b32 s30, s28
	v_mad_i64_i32 v[12:13], s[28:29], v1, s30, 0
	v_lshl_add_u64 v[12:13], v[12:13], 1, v[10:11]
	global_load_ushort v1, v[12:13], off
	v_add_u32_e32 v12, s99, v132
	v_mul_hi_u32 v13, s86, v12
	v_add_u32_e32 v13, v12, v13
	v_lshrrev_b32_e32 v13, s87, v13
	v_mul_lo_u32 v13, v13, s72
	v_sub_u32_e32 v12, v12, v13
	v_mad_i64_i32 v[12:13], s[28:29], v12, s30, 0
	v_lshl_add_u64 v[12:13], v[12:13], 1, v[10:11]
	global_load_ushort v12, v[12:13], off
	s_waitcnt vmcnt(1)
	ds_write_b16 v131, v1 offset:9216
	s_waitcnt vmcnt(0)
	ds_write_b16 v133, v12 offset:9216
	v_add_u32_e32 v1, s99, v134
	v_mul_hi_u32 v12, s86, v1
	v_add_u32_e32 v12, v1, v12
	v_lshrrev_b32_e32 v12, s87, v12
	v_mul_lo_u32 v12, v12, s72
	v_sub_u32_e32 v1, v1, v12
	v_mad_i64_i32 v[12:13], s[28:29], v1, s30, 0
	v_lshl_add_u64 v[12:13], v[12:13], 1, v[10:11]
	global_load_ushort v1, v[12:13], off
	v_add_u32_e32 v12, s99, v136
	v_mul_hi_u32 v13, s86, v12
	v_add_u32_e32 v13, v12, v13
	v_lshrrev_b32_e32 v13, s87, v13
	v_mul_lo_u32 v13, v13, s72
	v_sub_u32_e32 v12, v12, v13
	v_mad_i64_i32 v[12:13], s[28:29], v12, s30, 0
	v_lshl_add_u64 v[10:11], v[12:13], 1, v[10:11]
	global_load_ushort v12, v[10:11], off
.LBB0_152:                              ;   in Loop: Header=BB0_14 Depth=1
	s_or_b64 exec, exec, s[8:9]
	s_waitcnt vmcnt(1)
	ds_write_b16 v135, v1 offset:9216
	s_waitcnt vmcnt(0)
	ds_write_b16 v137, v12 offset:9216
.LBB0_153:                              ;   in Loop: Header=BB0_14 Depth=1
	s_mul_i32 s8, s2, s75
	s_mul_hi_u32 s9, s2, s74
	s_add_i32 s9, s9, s8
	s_mul_i32 s8, s2, s74
	s_lshl_b64 s[8:9], s[8:9], 2
	s_add_u32 s8, s95, s8
	s_addc_u32 s9, s92, s9
	v_lshl_add_u64 v[10:11], v[32:33], 2, s[8:9]
	v_lshlrev_b32_e32 v26, 2, v30
	v_cmp_gt_i32_e64 s[30:31], s52, v97
	v_lshl_add_u64 v[10:11], v[10:11], 0, v[26:27]
	v_mov_b32_e32 v1, s93
	v_lshl_add_u64 v[12:13], v[34:35], 2, s[8:9]
	v_cndmask_b32_e64 v11, v1, v11, s[30:31]
	v_cndmask_b32_e64 v10, v154, v10, s[30:31]
	v_cmp_gt_i32_e64 s[34:35], s52, v138
	v_lshl_add_u64 v[12:13], v[12:13], 0, v[26:27]
	scratch_store_dwordx4 off, v[164:167], off
	v_cndmask_b32_e64 v15, v1, v13, s[34:35]
	v_cndmask_b32_e64 v14, v154, v12, s[34:35]
	flat_load_dwordx4 v[10:13], v[10:11]
	v_add_u32_e32 v1, v90, v96
	s_andn2_b64 vcc, exec, s[6:7]
	s_waitcnt vmcnt(0) lgkmcnt(0)
	ds_write_b128 v98, v[10:13]
	flat_load_dwordx4 v[10:13], v[14:15]
	s_waitcnt vmcnt(0) lgkmcnt(0)
	ds_write_b128 v139, v[10:13]
	s_waitcnt lgkmcnt(0)
	s_barrier
	ds_read2_b64 v[10:13], v1 offset1:4
	s_waitcnt lgkmcnt(0)
	v_mfma_f32_16x16x16_f16 v[14:17], v[10:11], v[6:7], 0
	v_mfma_f32_16x16x16_f16 v[10:13], v[12:13], v[8:9], v[14:17]
	s_nop 6
	ds_read2_b64 v[14:17], v1 offset0:8 offset1:12
	s_waitcnt lgkmcnt(0)
	v_mfma_f32_16x16x16_f16 v[10:13], v[14:15], v[2:3], v[10:13]
	v_add_u32_e32 v1, 0x1000, v1
	v_mfma_f32_16x16x16_f16 v[14:17], v[16:17], v[4:5], v[10:13]
	s_nop 5
	ds_read2_b64 v[10:13], v1 offset0:64 offset1:68
	s_waitcnt lgkmcnt(0)
	v_mfma_f32_16x16x16_f16 v[18:21], v[10:11], v[6:7], 0
	v_mfma_f32_16x16x16_f16 v[6:9], v[12:13], v[8:9], v[18:21]
	ds_read2_b64 v[10:13], v1 offset0:72 offset1:76
	s_waitcnt lgkmcnt(0)
	s_barrier
	v_mfma_f32_16x16x16_f16 v[6:9], v[10:11], v[2:3], v[6:9]
	v_mfma_f32_16x16x16_f16 v[10:13], v[12:13], v[4:5], v[6:9]
	s_cbranch_vccnz .LBB0_155
; %bb.154:                              ;   in Loop: Header=BB0_14 Depth=1
	v_add_u32_e32 v1, 0x2400, v100
	ds_read2_b32 v[2:3], v1 offset1:1
	ds_read_b32 v1, v114 offset:9216
	s_waitcnt lgkmcnt(1)
	v_cvt_f32_f16_e32 v4, v2
	v_cvt_f32_f16_sdwa v5, v2 dst_sel:DWORD dst_unused:UNUSED_PAD src0_sel:WORD_1
	v_cvt_f32_f16_e32 v2, v3
	v_cvt_f32_f16_sdwa v3, v3 dst_sel:DWORD dst_unused:UNUSED_PAD src0_sel:WORD_1
	v_pk_fma_f32 v[14:15], v[52:53], v[4:5], v[14:15] op_sel_hi:[0,1,1]
	v_pk_fma_f32 v[16:17], v[52:53], v[2:3], v[16:17] op_sel_hi:[0,1,1]
	s_waitcnt lgkmcnt(0)
	v_cvt_f32_f16_sdwa v3, v1 dst_sel:DWORD dst_unused:UNUSED_PAD src0_sel:WORD_1
	v_cvt_f32_f16_e32 v2, v1
	ds_read_b32 v1, v116 offset:9216
	v_pk_fma_f32 v[10:11], v[52:53], v[2:3], v[10:11] op_sel_hi:[0,1,1]
	s_waitcnt lgkmcnt(0)
	v_cvt_f32_f16_sdwa v5, v1 dst_sel:DWORD dst_unused:UNUSED_PAD src0_sel:WORD_1
	v_cvt_f32_f16_e32 v4, v1
	v_pk_fma_f32 v[12:13], v[52:53], v[4:5], v[12:13] op_sel_hi:[0,1,1]
.LBB0_155:                              ;   in Loop: Header=BB0_14 Depth=1
	v_add_f32_e32 v1, 0x40051340, v14
	v_max_f32_e32 v2, v53, v53
	v_cmp_gt_u32_e64 s[48:49], s52, v99
	v_max_f32_e32 v1, v2, v1
	v_add_f32_e32 v2, 0x40051340, v15
	v_cndmask_b32_e64 v1, v53, v1, s[48:49]
	v_max_f32_e32 v3, v1, v1
	v_cmp_gt_u32_e64 s[46:47], s52, v140
	v_max_f32_e32 v2, v3, v2
	v_cmp_gt_u32_e64 s[44:45], s52, v141
	v_cndmask_b32_e64 v1, v1, v2, s[46:47]
	v_add_f32_e32 v2, 0x40051340, v16
	v_max_f32_e32 v3, v1, v1
	v_max_f32_e32 v2, v3, v2
	v_cndmask_b32_e64 v1, v1, v2, s[44:45]
	v_add_f32_e32 v2, 0x40051340, v17
	v_max_f32_e32 v3, v1, v1
	v_cmp_gt_u32_e64 s[42:43], s52, v142
	v_max_f32_e32 v2, v3, v2
	v_cmp_gt_u32_e64 s[40:41], s52, v113
	v_cndmask_b32_e64 v1, v1, v2, s[42:43]
	v_add_f32_e32 v2, 0x40051340, v10
	v_max_f32_e32 v3, v1, v1
	v_max_f32_e32 v2, v3, v2
	v_cndmask_b32_e64 v1, v1, v2, s[40:41]
	v_add_f32_e32 v2, 0x40051340, v11
	;; [unrolled: 10-line block ×3, first 2 shown]
	v_max_f32_e32 v3, v1, v1
	v_cmp_gt_u32_e32 vcc, s52, v144
	v_max_f32_e32 v2, v3, v2
	v_xor_b32_e32 v3, 32, v153
	v_cndmask_b32_e32 v1, v1, v2, vcc
	v_and_b32_e32 v2, 64, v153
	v_add_u32_e32 v2, 64, v2
	v_cmp_lt_i32_e64 s[52:53], v3, v2
	s_mul_i32 s6, s2, s55
	s_mul_hi_u32 s7, s2, s54
	v_cndmask_b32_e64 v3, v153, v3, s[52:53]
	v_lshlrev_b32_e32 v19, 2, v3
	ds_bpermute_b32 v3, v19, v1
	v_max_f32_e32 v1, v1, v1
	s_add_i32 s7, s7, s6
	s_mul_i32 s6, s2, s54
	s_lshl_b64 s[6:7], s[6:7], 2
	s_waitcnt lgkmcnt(0)
	v_max_f32_e32 v3, v3, v3
	v_max_f32_e32 v1, v1, v3
	v_xor_b32_e32 v3, 16, v153
	v_cmp_lt_i32_e64 s[52:53], v3, v2
	s_add_u32 s6, s89, s6
	s_addc_u32 s7, s94, s7
	v_cndmask_b32_e64 v2, v153, v3, s[52:53]
	v_lshlrev_b32_e32 v20, 2, v2
	ds_bpermute_b32 v2, v20, v1
	scratch_store_dwordx4 off, v[164:167], off
	s_cmp_lg_u64 s[90:91], 0
	s_waitcnt lgkmcnt(0)
	v_max_f32_e32 v2, v2, v2
	v_max_f32_e32 v18, v1, v2
	v_sub_f32_e32 v1, v14, v18
	v_mul_f32_e32 v2, 0x3fb8aa3b, v1
	v_fma_f32 v3, v1, s97, -v2
	v_rndne_f32_e32 v4, v2
	v_fmac_f32_e32 v3, 0x32a5705f, v1
	v_sub_f32_e32 v2, v2, v4
	v_add_f32_e32 v2, v2, v3
	v_exp_f32_e32 v2, v2
	v_cvt_i32_f32_e32 v3, v4
	v_cmp_ngt_f32_e64 s[52:53], s98, v1
	v_mov_b32_e32 v14, s93
	v_ldexp_f32 v2, v2, v3
	v_cndmask_b32_e64 v2, 0, v2, s[52:53]
	v_cmp_nlt_f32_e64 s[52:53], s73, v1
	s_nop 1
	v_cndmask_b32_e64 v1, v151, v2, s[52:53]
	v_cndmask_b32_e64 v4, 0, v1, s[48:49]
	v_sub_f32_e32 v1, v15, v18
	v_mul_f32_e32 v2, 0x3fb8aa3b, v1
	v_fma_f32 v3, v1, s97, -v2
	v_rndne_f32_e32 v5, v2
	v_fmac_f32_e32 v3, 0x32a5705f, v1
	v_sub_f32_e32 v2, v2, v5
	v_add_f32_e32 v2, v2, v3
	v_exp_f32_e32 v2, v2
	v_cvt_i32_f32_e32 v3, v5
	v_cmp_ngt_f32_e64 s[48:49], s98, v1
	v_ldexp_f32 v2, v2, v3
	s_nop 0
	v_cndmask_b32_e64 v2, 0, v2, s[48:49]
	v_cmp_nlt_f32_e64 s[48:49], s73, v1
	v_mov_b32_e32 v1, s3
	s_nop 0
	v_cndmask_b32_e64 v2, v151, v2, s[48:49]
	v_add_f32_e32 v5, v2, v4
	v_cndmask_b32_e64 v3, v1, v2, s[46:47]
	v_sub_f32_e32 v2, v16, v18
	v_cndmask_b32_e64 v1, v4, v5, s[46:47]
	v_mul_f32_e32 v5, 0x3fb8aa3b, v2
	v_fma_f32 v6, v2, s97, -v5
	v_rndne_f32_e32 v7, v5
	v_fmac_f32_e32 v6, 0x32a5705f, v2
	v_sub_f32_e32 v5, v5, v7
	v_add_f32_e32 v5, v5, v6
	v_exp_f32_e32 v5, v5
	v_cvt_i32_f32_e32 v6, v7
	v_cmp_ngt_f32_e64 s[46:47], s98, v2
	v_ldexp_f32 v5, v5, v6
	s_nop 0
	v_cndmask_b32_e64 v5, 0, v5, s[46:47]
	v_cmp_nlt_f32_e64 s[46:47], s73, v2
	v_mov_b32_e32 v2, s3
	s_nop 0
	v_cndmask_b32_e64 v5, v151, v5, s[46:47]
	v_cndmask_b32_e64 v8, v2, v5, s[44:45]
	v_sub_f32_e32 v2, v17, v18
	v_add_f32_e32 v6, v1, v5
	v_mul_f32_e32 v5, 0x3fb8aa3b, v2
	v_cndmask_b32_e64 v1, v1, v6, s[44:45]
	v_fma_f32 v6, v2, s97, -v5
	v_rndne_f32_e32 v7, v5
	v_fmac_f32_e32 v6, 0x32a5705f, v2
	v_sub_f32_e32 v5, v5, v7
	v_add_f32_e32 v5, v5, v6
	v_exp_f32_e32 v5, v5
	v_cvt_i32_f32_e32 v6, v7
	v_cmp_ngt_f32_e64 s[44:45], s98, v2
	v_ldexp_f32 v5, v5, v6
	s_nop 0
	v_cndmask_b32_e64 v5, 0, v5, s[44:45]
	v_cmp_nlt_f32_e64 s[44:45], s73, v2
	s_nop 1
	v_cndmask_b32_e64 v2, v151, v5, s[44:45]
	v_mov_b32_e32 v5, s3
	v_add_f32_e32 v6, v1, v2
	v_cndmask_b32_e64 v7, v5, v2, s[42:43]
	v_sub_f32_e32 v2, v10, v18
	v_mul_f32_e32 v5, 0x3fb8aa3b, v2
	v_cndmask_b32_e64 v1, v1, v6, s[42:43]
	v_fma_f32 v6, v2, s97, -v5
	v_rndne_f32_e32 v9, v5
	v_fmac_f32_e32 v6, 0x32a5705f, v2
	v_sub_f32_e32 v5, v5, v9
	v_add_f32_e32 v5, v5, v6
	v_exp_f32_e32 v5, v5
	v_cvt_i32_f32_e32 v6, v9
	v_cmp_ngt_f32_e64 s[42:43], s98, v2
	v_ldexp_f32 v5, v5, v6
	s_nop 0
	v_cndmask_b32_e64 v5, 0, v5, s[42:43]
	v_cmp_nlt_f32_e64 s[42:43], s73, v2
	v_mov_b32_e32 v2, s3
	s_nop 0
	v_cndmask_b32_e64 v5, v151, v5, s[42:43]
	v_add_f32_e32 v6, v5, v1
	v_cndmask_b32_e64 v2, v2, v5, s[40:41]
	v_cndmask_b32_e64 v5, v1, v6, s[40:41]
	v_sub_f32_e32 v1, v11, v18
	v_mul_f32_e32 v6, 0x3fb8aa3b, v1
	v_fma_f32 v9, v1, s97, -v6
	v_rndne_f32_e32 v10, v6
	v_fmac_f32_e32 v9, 0x32a5705f, v1
	v_sub_f32_e32 v6, v6, v10
	v_add_f32_e32 v6, v6, v9
	v_exp_f32_e32 v6, v6
	v_cvt_i32_f32_e32 v9, v10
	v_cmp_ngt_f32_e64 s[40:41], s98, v1
	v_ldexp_f32 v6, v6, v9
	s_nop 0
	v_cndmask_b32_e64 v6, 0, v6, s[40:41]
	v_cmp_nlt_f32_e64 s[40:41], s73, v1
	v_mov_b32_e32 v1, s3
	s_nop 0
	v_cndmask_b32_e64 v6, v151, v6, s[40:41]
	v_add_f32_e32 v9, v6, v5
	v_cndmask_b32_e64 v1, v1, v6, s[38:39]
	v_sub_f32_e32 v6, v12, v18
	v_cndmask_b32_e64 v5, v5, v9, s[38:39]
	v_mul_f32_e32 v9, 0x3fb8aa3b, v6
	v_fma_f32 v10, v6, s97, -v9
	v_rndne_f32_e32 v11, v9
	v_fmac_f32_e32 v10, 0x32a5705f, v6
	v_sub_f32_e32 v9, v9, v11
	v_add_f32_e32 v9, v9, v10
	v_exp_f32_e32 v9, v9
	v_cvt_i32_f32_e32 v10, v11
	v_cmp_ngt_f32_e64 s[38:39], s98, v6
	v_ldexp_f32 v9, v9, v10
	s_nop 0
	v_cndmask_b32_e64 v9, 0, v9, s[38:39]
	v_cmp_nlt_f32_e64 s[38:39], s73, v6
	v_mov_b32_e32 v6, s3
	s_nop 0
	v_cndmask_b32_e64 v9, v151, v9, s[38:39]
	v_add_f32_e32 v10, v9, v5
	v_cndmask_b32_e64 v6, v6, v9, s[36:37]
	v_cndmask_b32_e64 v9, v5, v10, s[36:37]
	v_sub_f32_e32 v5, v13, v18
	v_mul_f32_e32 v10, 0x3fb8aa3b, v5
	v_fma_f32 v11, v5, s97, -v10
	v_rndne_f32_e32 v12, v10
	v_fmac_f32_e32 v11, 0x32a5705f, v5
	v_sub_f32_e32 v10, v10, v12
	v_add_f32_e32 v10, v10, v11
	v_exp_f32_e32 v10, v10
	v_cvt_i32_f32_e32 v11, v12
	v_cmp_ngt_f32_e64 s[36:37], s98, v5
	v_ldexp_f32 v10, v10, v11
	s_nop 0
	v_cndmask_b32_e64 v10, 0, v10, s[36:37]
	v_cmp_nlt_f32_e64 s[36:37], s73, v5
	v_mov_b32_e32 v5, s3
	s_nop 0
	v_cndmask_b32_e64 v10, v151, v10, s[36:37]
	v_add_f32_e32 v11, v10, v9
	v_cndmask_b32_e32 v16, v9, v11, vcc
	v_sub_f32_e32 v9, v53, v18
	v_cndmask_b32_e32 v5, v5, v10, vcc
	v_mul_f32_e32 v10, 0x3fb8aa3b, v9
	v_fma_f32 v11, v9, s97, -v10
	v_rndne_f32_e32 v12, v10
	v_fmac_f32_e32 v11, 0x32a5705f, v9
	v_sub_f32_e32 v10, v10, v12
	v_add_f32_e32 v10, v10, v11
	v_exp_f32_e32 v10, v10
	v_cvt_i32_f32_e32 v11, v12
	v_cmp_ngt_f32_e32 vcc, s98, v9
	v_lshl_add_u64 v[12:13], v[38:39], 2, s[6:7]
	v_lshl_add_u64 v[12:13], v[12:13], 0, v[26:27]
	v_ldexp_f32 v10, v10, v11
	v_cndmask_b32_e32 v10, 0, v10, vcc
	v_cmp_nlt_f32_e32 vcc, s73, v9
	v_cndmask_b32_e64 v15, v14, v13, s[34:35]
	s_nop 0
	v_cndmask_b32_e32 v10, v151, v10, vcc
	v_cmp_le_f32_e32 vcc, s26, v9
	s_nop 1
	v_cndmask_b32_e32 v9, 0, v10, vcc
	v_fmac_f32_e32 v16, v155, v9
	v_cvt_f16_f32_e32 v9, v9
	v_mul_u32_u24_e32 v10, 0x10001, v9
	v_pk_mul_f16 v56, v80, v10
	v_pk_mul_f16 v55, v160, v10
	;; [unrolled: 1-line block ×8, first 2 shown]
	v_lshl_add_u64 v[10:11], v[36:37], 2, s[6:7]
	v_lshl_add_u64 v[10:11], v[10:11], 0, v[26:27]
	v_cndmask_b32_e64 v11, v14, v11, s[30:31]
	v_cndmask_b32_e64 v10, v154, v10, s[30:31]
	;; [unrolled: 1-line block ×3, first 2 shown]
	flat_load_dwordx4 v[10:13], v[10:11]
	v_cvt_f32_f16_e32 v58, v56
	v_cvt_f32_f16_sdwa v59, v56 dst_sel:DWORD dst_unused:UNUSED_PAD src0_sel:WORD_1
	v_cvt_f32_f16_e32 v60, v55
	v_cvt_f32_f16_sdwa v61, v55 dst_sel:DWORD dst_unused:UNUSED_PAD src0_sel:WORD_1
	v_readlane_b32 s30, v173, 38
	s_cselect_b64 s[6:7], -1, 0
	v_readlane_b32 s31, v173, 39
	s_and_b64 s[8:9], s[30:31], s[6:7]
	s_waitcnt vmcnt(0) lgkmcnt(0)
	ds_write_b128 v98, v[10:13]
	flat_load_dwordx4 v[10:13], v[14:15]
	s_waitcnt vmcnt(0) lgkmcnt(0)
	ds_write_b128 v139, v[10:13]
	s_waitcnt lgkmcnt(0)
	s_barrier
	ds_read_u16 v10, v101 offset:144
	ds_read_u16 v11, v102
	ds_read_u16 v62, v102 offset:32
	ds_read_u16 v12, v103
	ds_read_u16 v63, v103 offset:32
	v_cvt_pk_f16_f32 v13, v8, v7
	s_waitcnt lgkmcnt(1)
	v_perm_b32 v11, v12, v11, s27
	ds_read_u16 v12, v101
	ds_read_u16 v64, v101 offset:32
	s_waitcnt lgkmcnt(1)
	v_perm_b32 v10, v10, v12, s27
	v_cvt_pk_f16_f32 v12, v4, v3
	s_nop 1
	v_mfma_f32_16x16x16_f16 v[56:59], v[10:11], v[12:13], v[58:61]
	ds_read_u16 v10, v101 offset:4608
	ds_read_u16 v11, v101 offset:4752
	;; [unrolled: 1-line block ×4, first 2 shown]
	v_cvt_f32_f16_e32 v60, v17
	v_cvt_f32_f16_sdwa v61, v17 dst_sel:DWORD dst_unused:UNUSED_PAD src0_sel:WORD_1
	s_nop 1
	v_cvt_f16_f32_e32 v3, v56
	v_cvt_f16_f32_e32 v4, v57
	;; [unrolled: 1-line block ×4, first 2 shown]
	s_waitcnt lgkmcnt(0)
	v_perm_b32 v15, v15, v14, s27
	v_perm_b32 v14, v11, v10, s27
	v_cvt_f32_f16_e32 v56, v3
	v_cvt_f32_f16_e32 v57, v4
	;; [unrolled: 1-line block ×4, first 2 shown]
	v_cvt_pk_f16_f32 v11, v6, v5
	v_cvt_pk_f16_f32 v10, v2, v1
	ds_read_u16 v8, v101 offset:176
	v_cvt_f32_f16_e32 v6, v53
	v_mfma_f32_16x16x16_f16 v[2:5], v[14:15], v[10:11], v[56:59]
	v_perm_b32 v15, v63, v62, s27
	v_cvt_f32_f16_sdwa v7, v53 dst_sel:DWORD dst_unused:UNUSED_PAD src0_sel:WORD_1
	s_waitcnt lgkmcnt(0)
	v_perm_b32 v14, v8, v64, s27
	v_cvt_f32_f16_sdwa v59, v21 dst_sel:DWORD dst_unused:UNUSED_PAD src0_sel:WORD_1
	s_nop 2
	v_cvt_f16_f32_e32 v1, v4
	v_cvt_f16_f32_e32 v4, v5
	v_cvt_f32_f16_sdwa v5, v54 dst_sel:DWORD dst_unused:UNUSED_PAD src0_sel:WORD_1
	v_cvt_f16_f32_e32 v26, v2
	v_cvt_f16_f32_e32 v55, v3
	v_perm_b32 v1, v4, v1, s27
	v_cvt_f32_f16_e32 v4, v54
	s_nop 1
	v_mfma_f32_16x16x16_f16 v[4:7], v[14:15], v[12:13], v[4:7]
	ds_read_u16 v8, v101 offset:4640
	ds_read_u16 v14, v101 offset:4784
	;; [unrolled: 1-line block ×4, first 2 shown]
	s_nop 3
	v_cvt_f16_f32_e32 v4, v4
	v_cvt_f16_f32_e32 v5, v5
	;; [unrolled: 1-line block ×4, first 2 shown]
	s_waitcnt lgkmcnt(0)
	v_perm_b32 v15, v53, v15, s27
	v_perm_b32 v14, v14, v8, s27
	v_cvt_f32_f16_e32 v4, v4
	v_cvt_f32_f16_e32 v5, v5
	;; [unrolled: 1-line block ×5, first 2 shown]
	v_cvt_f32_f16_sdwa v9, v9 dst_sel:DWORD dst_unused:UNUSED_PAD src0_sel:WORD_1
	v_mfma_f32_16x16x16_f16 v[4:7], v[14:15], v[10:11], v[4:7]
	ds_read_u16 v15, v101 offset:64
	ds_read_u16 v56, v101 offset:208
	;; [unrolled: 1-line block ×4, first 2 shown]
	s_nop 3
	v_cvt_f16_f32_e32 v6, v6
	v_cvt_f16_f32_e32 v7, v7
	s_waitcnt lgkmcnt(0)
	v_perm_b32 v57, v58, v57, s27
	v_perm_b32 v56, v56, v15, s27
	v_cvt_f32_f16_e32 v58, v21
	v_perm_b32 v14, v7, v6, s27
	v_cvt_f32_f16_e32 v6, v52
	v_cvt_f32_f16_sdwa v7, v52 dst_sel:DWORD dst_unused:UNUSED_PAD src0_sel:WORD_1
	v_cvt_f16_f32_e32 v53, v4
	v_cvt_f16_f32_e32 v54, v5
	v_mfma_f32_16x16x16_f16 v[6:9], v[56:57], v[12:13], v[6:9]
	ds_read_u16 v15, v101 offset:4672
	ds_read_u16 v52, v101 offset:4816
	ds_read_u16 v56, v102 offset:4672
	ds_read_u16 v57, v103 offset:4672
	s_nop 3
	v_cvt_f16_f32_e32 v6, v6
	v_cvt_f16_f32_e32 v7, v7
	;; [unrolled: 1-line block ×4, first 2 shown]
	s_waitcnt lgkmcnt(0)
	v_perm_b32 v57, v57, v56, s27
	v_perm_b32 v56, v52, v15, s27
	v_cvt_f32_f16_e32 v6, v6
	v_cvt_f32_f16_e32 v7, v7
	;; [unrolled: 1-line block ×4, first 2 shown]
	s_nop 1
	v_mfma_f32_16x16x16_f16 v[6:9], v[56:57], v[10:11], v[6:9]
	s_nop 7
	v_cvt_f16_f32_e32 v8, v8
	v_cvt_f16_f32_e32 v9, v9
	;; [unrolled: 1-line block ×4, first 2 shown]
	v_perm_b32 v15, v9, v8, s27
	ds_read_u16 v8, v101 offset:96
	ds_read_u16 v57, v101 offset:240
	;; [unrolled: 1-line block ×4, first 2 shown]
	s_waitcnt lgkmcnt(2)
	v_perm_b32 v8, v57, v8, s27
	s_waitcnt lgkmcnt(0)
	v_perm_b32 v9, v62, v9, s27
	ds_read_u16 v17, v101 offset:4704
	ds_read_u16 v21, v101 offset:4848
	;; [unrolled: 1-line block ×4, first 2 shown]
	v_mfma_f32_16x16x16_f16 v[58:61], v[8:9], v[12:13], v[58:61]
	s_waitcnt lgkmcnt(0)
	s_barrier
	s_nop 5
	v_cvt_f16_f32_e32 v8, v58
	v_cvt_f16_f32_e32 v9, v59
	v_cvt_f16_f32_e32 v12, v60
	v_cvt_f16_f32_e32 v13, v61
	v_cvt_f32_f16_e32 v58, v8
	v_cvt_f32_f16_e32 v59, v9
	v_perm_b32 v9, v62, v57, s27
	v_perm_b32 v8, v21, v17, s27
	v_cvt_f32_f16_e32 v60, v12
	v_cvt_f32_f16_e32 v61, v13
	v_perm_b32 v13, v56, v52, s27
	s_nop 0
	v_mfma_f32_16x16x16_f16 v[8:11], v[8:9], v[10:11], v[58:61]
	s_nop 7
	v_cvt_f16_f32_e32 v10, v10
	v_cvt_f16_f32_e32 v11, v11
	v_cvt_f16_f32_e32 v17, v8
	v_cvt_f16_f32_e32 v21, v9
	v_perm_b32 v10, v11, v10, s27
	ds_bpermute_b32 v11, v19, v16
	s_waitcnt lgkmcnt(0)
	v_add_f32_e32 v11, v16, v11
	ds_bpermute_b32 v12, v20, v11
	v_perm_b32 v16, v21, v17, s27
	s_waitcnt lgkmcnt(0)
	v_add_f32_e32 v19, v11, v12
	v_perm_b32 v11, v55, v26, s27
	v_perm_b32 v12, v54, v53, s27
	s_and_saveexec_b64 s[6:7], s[8:9]
	s_cbranch_execz .LBB0_157
; %bb.156:                              ;   in Loop: Header=BB0_14 Depth=1
	v_cvt_pk_f16_f32 v4, v4, v5
	v_cvt_pk_f16_f32 v5, v6, v7
	global_load_dword v7, v27, s[90:91]
	v_cvt_pk_f16_f32 v3, v2, v3
	v_cvt_pk_f16_f32 v6, v8, v9
	v_max_f32_e32 v8, v18, v18
	s_waitcnt vmcnt(0)
	v_max_f32_e32 v2, v7, v7
	v_max_f32_e32 v2, v8, v2
	v_sub_f32_e32 v8, v18, v2
	v_mul_f32_e32 v9, 0x3fb8aa3b, v8
	v_fma_f32 v11, v8, s97, -v9
	v_rndne_f32_e32 v12, v9
	v_fmac_f32_e32 v11, 0x32a5705f, v8
	v_sub_f32_e32 v9, v9, v12
	v_add_f32_e32 v9, v9, v11
	v_exp_f32_e32 v9, v9
	v_cvt_i32_f32_e32 v11, v12
	v_cmp_ngt_f32_e32 vcc, s98, v8
	v_sub_f32_e32 v7, v7, v2
	v_ldexp_f32 v9, v9, v11
	v_cndmask_b32_e32 v9, 0, v9, vcc
	v_cmp_nlt_f32_e32 vcc, s73, v8
	s_nop 1
	v_cndmask_b32_e32 v9, v151, v9, vcc
	v_cmp_le_f32_e32 vcc, s26, v8
	s_nop 1
	v_cndmask_b32_e32 v8, 0, v9, vcc
	v_cvt_f16_f32_e32 v9, v8
	v_cmp_ngt_f32_e32 vcc, s98, v7
	v_mul_u32_u24_e32 v9, 0x10001, v9
	v_pk_mul_f16 v11, v3, v9
	v_mul_f32_e32 v3, 0x3fb8aa3b, v7
	v_pk_mul_f16 v12, v4, v9
	v_pk_mul_f16 v13, v5, v9
	v_fma_f32 v4, v7, s97, -v3
	v_rndne_f32_e32 v5, v3
	v_fmac_f32_e32 v4, 0x32a5705f, v7
	v_sub_f32_e32 v3, v3, v5
	v_add_f32_e32 v3, v3, v4
	v_exp_f32_e32 v3, v3
	v_cvt_i32_f32_e32 v4, v5
	v_pk_mul_f16 v1, v1, v9
	v_pk_mul_f16 v14, v14, v9
	v_pk_mul_f16 v15, v15, v9
	v_ldexp_f32 v3, v3, v4
	v_cndmask_b32_e32 v3, 0, v3, vcc
	v_cmp_nlt_f32_e32 vcc, s73, v7
	v_pk_mul_f16 v16, v6, v9
	v_pk_mul_f16 v10, v10, v9
	v_cndmask_b32_e32 v3, v151, v3, vcc
	v_fmac_f32_e32 v3, v19, v8
	v_mov_b64_e32 v[18:19], v[2:3]
.LBB0_157:                              ;   in Loop: Header=BB0_14 Depth=1
	s_or_b64 exec, exec, s[6:7]
	s_mov_b64 s[6:7], exec
	v_readlane_b32 s8, v173, 57
	v_readlane_b32 s9, v173, 58
	s_and_b64 s[8:9], s[6:7], s[8:9]
	s_mov_b64 exec, s[8:9]
; %bb.158:                              ;   in Loop: Header=BB0_14 Depth=1
	v_add_u32_e32 v2, 0, v117
	ds_write2_b32 v2, v18, v19 offset0:32 offset1:33
; %bb.159:                              ;   in Loop: Header=BB0_14 Depth=1
	s_or_b64 exec, exec, s[6:7]
	s_waitcnt lgkmcnt(0)
	s_barrier
	s_mov_b64 s[6:7], exec
	v_readlane_b32 s8, v173, 40
	v_readlane_b32 s9, v173, 41
	s_and_b64 s[8:9], s[6:7], s[8:9]
	s_xor_b64 s[6:7], s[8:9], s[6:7]
	v_readlane_b32 s44, v172, 1
	s_mov_b64 exec, s[8:9]
	s_cbranch_execz .LBB0_161
; %bb.160:                              ;   in Loop: Header=BB0_14 Depth=1
	s_barrier
                                        ; implicit-def: $vgpr20
.LBB0_161:                              ;   in Loop: Header=BB0_14 Depth=1
	s_andn2_saveexec_b64 s[6:7], s[6:7]
	s_cbranch_execz .LBB0_165
; %bb.162:                              ;   in Loop: Header=BB0_14 Depth=1
	v_add_u32_e32 v4, 0, v118
	ds_read_b64 v[2:3], v4 offset:128
	s_waitcnt lgkmcnt(0)
	s_barrier
	ds_bpermute_b32 v5, v20, v2
	v_max_f32_e32 v6, v2, v2
	s_waitcnt lgkmcnt(0)
	v_max_f32_e32 v5, v5, v5
	v_max_f32_e32 v5, v6, v5
	v_sub_f32_e32 v2, v2, v5
	v_mul_f32_e32 v5, 0x3fb8aa3b, v2
	v_fma_f32 v6, v2, s97, -v5
	v_rndne_f32_e32 v7, v5
	v_fmac_f32_e32 v6, 0x32a5705f, v2
	v_sub_f32_e32 v5, v5, v7
	v_add_f32_e32 v5, v5, v6
	v_cvt_i32_f32_e32 v7, v7
	v_exp_f32_e32 v5, v5
	v_cmp_ngt_f32_e32 vcc, s98, v2
	v_ldexp_f32 v5, v5, v7
	s_nop 0
	v_cndmask_b32_e32 v5, 0, v5, vcc
	v_cmp_nlt_f32_e32 vcc, s73, v2
	s_nop 1
	v_cndmask_b32_e32 v2, v151, v5, vcc
	v_mul_f32_e32 v3, v3, v2
	ds_bpermute_b32 v5, v20, v3
	s_mov_b64 s[8:9], exec
	v_readlane_b32 s28, v173, 59
	v_readlane_b32 s29, v173, 60
	s_and_b64 s[28:29], s[8:9], s[28:29]
	s_mov_b64 exec, s[28:29]
	s_cbranch_execz .LBB0_164
; %bb.163:                              ;   in Loop: Header=BB0_14 Depth=1
	s_waitcnt lgkmcnt(0)
	v_add_f32_e32 v3, v3, v5
	ds_write_b64 v4, v[2:3] offset:128
.LBB0_164:                              ;   in Loop: Header=BB0_14 Depth=1
	s_or_b64 exec, exec, s[8:9]
.LBB0_165:                              ;   in Loop: Header=BB0_14 Depth=1
	s_or_b64 exec, exec, s[6:7]
	ds_write2_b32 v104, v11, v1 offset1:1
	ds_write2_b32 v104, v12, v14 offset0:8 offset1:9
	ds_write2_b32 v104, v13, v15 offset0:16 offset1:17
	;; [unrolled: 1-line block ×3, first 2 shown]
	s_waitcnt lgkmcnt(0)
	s_barrier
	s_and_saveexec_b64 s[6:7], s[30:31]
	s_cbranch_execz .LBB0_12
; %bb.166:                              ;   in Loop: Header=BB0_14 Depth=1
	v_add_u32_e32 v2, s99, v105
	v_cmp_gt_i32_e32 vcc, s72, v2
	v_mov_b32_e32 v1, 0x47
	s_and_saveexec_b64 s[8:9], vcc
	s_cbranch_execz .LBB0_168
; %bb.167:                              ;   in Loop: Header=BB0_14 Depth=1
	v_readlane_b32 s2, v173, 53
	v_add_u32_e32 v6, 0, v120
	v_add_u32_e32 v4, v89, v120
	v_mul_lo_u32 v1, s2, v2
	ds_read2_b32 v[2:3], v6 offset0:32 offset1:33
	ds_read2st64_b32 v[4:5], v4 offset1:9
	ds_read_b32 v6, v6 offset:2432
	v_or_b32_e32 v8, v1, v22
	v_readlane_b32 s28, v172, 3
	v_ashrrev_i32_e32 v9, 31, v8
	s_waitcnt lgkmcnt(1)
	v_cvt_f32_f16_e32 v10, v4
	v_cvt_f32_f16_sdwa v11, v4 dst_sel:DWORD dst_unused:UNUSED_PAD src0_sel:WORD_1
	v_cvt_f32_f16_e32 v4, v5
	v_cvt_f32_f16_sdwa v5, v5 dst_sel:DWORD dst_unused:UNUSED_PAD src0_sel:WORD_1
	v_readlane_b32 s29, v172, 4
	v_pk_fma_f32 v[10:11], v[2:3], v[10:11], 0 op_sel_hi:[0,1,0]
	s_waitcnt lgkmcnt(0)
	v_pk_fma_f32 v[4:5], v[6:7], v[4:5], v[10:11] op_sel_hi:[0,1,1]
	v_lshl_add_u64 v[8:9], v[8:9], 3, s[28:29]
	v_div_scale_f32 v1, s[28:29], v3, v3, v5
	v_rcp_f32_e32 v2, v1
	s_nop 0
	v_fma_f32 v6, -v1, v2, 1.0
	v_fmac_f32_e32 v2, v6, v2
	v_div_scale_f32 v6, vcc, v5, v3, v5
	v_mul_f32_e32 v7, v6, v2
	v_fma_f32 v10, -v1, v7, v6
	v_fmac_f32_e32 v7, v10, v2
	v_fma_f32 v1, -v1, v7, v6
	v_div_fmas_f32 v1, v1, v2, v7
	v_div_fixup_f32 v5, v1, v3, v5
	v_div_scale_f32 v1, s[28:29], v3, v3, v4
	v_rcp_f32_e32 v2, v1
	s_nop 0
	v_fma_f32 v6, -v1, v2, 1.0
	v_fmac_f32_e32 v2, v6, v2
	v_div_scale_f32 v6, vcc, v4, v3, v4
	v_mul_f32_e32 v7, v6, v2
	v_fma_f32 v10, -v1, v7, v6
	v_fmac_f32_e32 v7, v10, v2
	v_fma_f32 v1, -v1, v7, v6
	v_div_fmas_f32 v1, v1, v2, v7
	v_div_fixup_f32 v4, v1, v3, v4
	v_mov_b32_e32 v1, 0
	global_store_dwordx2 v[8:9], v[4:5], off
.LBB0_168:                              ;   in Loop: Header=BB0_14 Depth=1
	s_or_b64 exec, exec, s[8:9]
	s_movk_i32 s2, 0x47
	v_cmp_gt_i32_e32 vcc, s2, v1
	s_mov_b64 s[8:9], -1
	s_and_saveexec_b64 s[28:29], vcc
; %bb.169:                              ;   in Loop: Header=BB0_14 Depth=1
	v_cmp_eq_u32_e32 vcc, 0, v1
	s_orn2_b64 s[8:9], vcc, exec
; %bb.170:                              ;   in Loop: Header=BB0_14 Depth=1
	s_or_b64 exec, exec, s[28:29]
	s_and_b64 exec, exec, s[8:9]
	s_cbranch_execz .LBB0_12
; %bb.171:                              ;   in Loop: Header=BB0_14 Depth=1
	v_add_u32_e32 v2, s99, v106
	v_cmp_gt_i32_e32 vcc, s72, v2
	v_mov_b32_e32 v1, 0x47
	s_and_saveexec_b64 s[8:9], vcc
	s_cbranch_execz .LBB0_173
; %bb.172:                              ;   in Loop: Header=BB0_14 Depth=1
	v_readlane_b32 s2, v173, 53
	v_add_u32_e32 v6, 0, v121
	v_add_u32_e32 v4, v89, v121
	v_mul_lo_u32 v1, s2, v2
	ds_read2_b32 v[2:3], v6 offset0:32 offset1:33
	ds_read2st64_b32 v[4:5], v4 offset1:9
	ds_read_b32 v6, v6 offset:2432
	v_or_b32_e32 v8, v1, v22
	v_readlane_b32 s28, v172, 3
	v_ashrrev_i32_e32 v9, 31, v8
	s_waitcnt lgkmcnt(1)
	v_cvt_f32_f16_e32 v10, v4
	v_cvt_f32_f16_sdwa v11, v4 dst_sel:DWORD dst_unused:UNUSED_PAD src0_sel:WORD_1
	v_cvt_f32_f16_e32 v4, v5
	v_cvt_f32_f16_sdwa v5, v5 dst_sel:DWORD dst_unused:UNUSED_PAD src0_sel:WORD_1
	v_readlane_b32 s29, v172, 4
	v_pk_fma_f32 v[10:11], v[2:3], v[10:11], 0 op_sel_hi:[0,1,0]
	s_waitcnt lgkmcnt(0)
	v_pk_fma_f32 v[4:5], v[6:7], v[4:5], v[10:11] op_sel_hi:[0,1,1]
	v_lshl_add_u64 v[8:9], v[8:9], 3, s[28:29]
	v_div_scale_f32 v1, s[28:29], v3, v3, v5
	v_rcp_f32_e32 v2, v1
	s_nop 0
	v_fma_f32 v6, -v1, v2, 1.0
	v_fmac_f32_e32 v2, v6, v2
	v_div_scale_f32 v6, vcc, v5, v3, v5
	v_mul_f32_e32 v7, v6, v2
	v_fma_f32 v10, -v1, v7, v6
	v_fmac_f32_e32 v7, v10, v2
	v_fma_f32 v1, -v1, v7, v6
	v_div_fmas_f32 v1, v1, v2, v7
	v_div_fixup_f32 v5, v1, v3, v5
	v_div_scale_f32 v1, s[28:29], v3, v3, v4
	v_rcp_f32_e32 v2, v1
	s_nop 0
	v_fma_f32 v6, -v1, v2, 1.0
	v_fmac_f32_e32 v2, v6, v2
	v_div_scale_f32 v6, vcc, v4, v3, v4
	v_mul_f32_e32 v7, v6, v2
	v_fma_f32 v10, -v1, v7, v6
	v_fmac_f32_e32 v7, v10, v2
	v_fma_f32 v1, -v1, v7, v6
	v_div_fmas_f32 v1, v1, v2, v7
	v_div_fixup_f32 v4, v1, v3, v4
	v_mov_b32_e32 v1, 0
	global_store_dwordx2 v[8:9], v[4:5], off
.LBB0_173:                              ;   in Loop: Header=BB0_14 Depth=1
	s_or_b64 exec, exec, s[8:9]
	s_movk_i32 s2, 0x47
	v_cmp_gt_i32_e32 vcc, s2, v1
	s_mov_b64 s[8:9], -1
	s_and_saveexec_b64 s[28:29], vcc
; %bb.174:                              ;   in Loop: Header=BB0_14 Depth=1
	v_cmp_eq_u32_e32 vcc, 0, v1
	s_orn2_b64 s[8:9], vcc, exec
; %bb.175:                              ;   in Loop: Header=BB0_14 Depth=1
	s_or_b64 exec, exec, s[28:29]
	s_and_b64 exec, exec, s[8:9]
	s_cbranch_execz .LBB0_12
; %bb.176:                              ;   in Loop: Header=BB0_14 Depth=1
	v_add_u32_e32 v2, s99, v107
	v_cmp_gt_i32_e32 vcc, s72, v2
	v_mov_b32_e32 v1, 0x47
	s_and_saveexec_b64 s[8:9], vcc
	s_cbranch_execz .LBB0_178
; %bb.177:                              ;   in Loop: Header=BB0_14 Depth=1
	v_readlane_b32 s2, v173, 53
	v_add_u32_e32 v6, 0, v122
	v_add_u32_e32 v4, v89, v122
	v_mul_lo_u32 v1, s2, v2
	ds_read2_b32 v[2:3], v6 offset0:32 offset1:33
	ds_read2st64_b32 v[4:5], v4 offset1:9
	ds_read_b32 v6, v6 offset:2432
	v_or_b32_e32 v8, v1, v22
	v_readlane_b32 s28, v172, 3
	v_ashrrev_i32_e32 v9, 31, v8
	s_waitcnt lgkmcnt(1)
	v_cvt_f32_f16_e32 v10, v4
	v_cvt_f32_f16_sdwa v11, v4 dst_sel:DWORD dst_unused:UNUSED_PAD src0_sel:WORD_1
	v_cvt_f32_f16_e32 v4, v5
	v_cvt_f32_f16_sdwa v5, v5 dst_sel:DWORD dst_unused:UNUSED_PAD src0_sel:WORD_1
	v_readlane_b32 s29, v172, 4
	v_pk_fma_f32 v[10:11], v[2:3], v[10:11], 0 op_sel_hi:[0,1,0]
	s_waitcnt lgkmcnt(0)
	v_pk_fma_f32 v[4:5], v[6:7], v[4:5], v[10:11] op_sel_hi:[0,1,1]
	v_lshl_add_u64 v[8:9], v[8:9], 3, s[28:29]
	v_div_scale_f32 v1, s[28:29], v3, v3, v5
	v_rcp_f32_e32 v2, v1
	s_nop 0
	v_fma_f32 v6, -v1, v2, 1.0
	v_fmac_f32_e32 v2, v6, v2
	v_div_scale_f32 v6, vcc, v5, v3, v5
	v_mul_f32_e32 v7, v6, v2
	v_fma_f32 v10, -v1, v7, v6
	v_fmac_f32_e32 v7, v10, v2
	v_fma_f32 v1, -v1, v7, v6
	v_div_fmas_f32 v1, v1, v2, v7
	v_div_fixup_f32 v5, v1, v3, v5
	v_div_scale_f32 v1, s[28:29], v3, v3, v4
	v_rcp_f32_e32 v2, v1
	s_nop 0
	v_fma_f32 v6, -v1, v2, 1.0
	v_fmac_f32_e32 v2, v6, v2
	v_div_scale_f32 v6, vcc, v4, v3, v4
	v_mul_f32_e32 v7, v6, v2
	v_fma_f32 v10, -v1, v7, v6
	v_fmac_f32_e32 v7, v10, v2
	v_fma_f32 v1, -v1, v7, v6
	v_div_fmas_f32 v1, v1, v2, v7
	v_div_fixup_f32 v4, v1, v3, v4
	v_mov_b32_e32 v1, 0
	global_store_dwordx2 v[8:9], v[4:5], off
.LBB0_178:                              ;   in Loop: Header=BB0_14 Depth=1
	s_or_b64 exec, exec, s[8:9]
	s_movk_i32 s2, 0x47
	v_cmp_gt_i32_e32 vcc, s2, v1
	s_mov_b64 s[8:9], -1
	s_and_saveexec_b64 s[28:29], vcc
; %bb.179:                              ;   in Loop: Header=BB0_14 Depth=1
	v_cmp_eq_u32_e32 vcc, 0, v1
	s_orn2_b64 s[8:9], vcc, exec
; %bb.180:                              ;   in Loop: Header=BB0_14 Depth=1
	s_or_b64 exec, exec, s[28:29]
	s_and_b64 exec, exec, s[8:9]
	s_cbranch_execz .LBB0_12
; %bb.181:                              ;   in Loop: Header=BB0_14 Depth=1
	v_add_u32_e32 v2, s99, v108
	v_cmp_gt_i32_e32 vcc, s72, v2
	v_mov_b32_e32 v1, 0x47
	s_and_saveexec_b64 s[8:9], vcc
	s_cbranch_execz .LBB0_183
; %bb.182:                              ;   in Loop: Header=BB0_14 Depth=1
	v_readlane_b32 s2, v173, 53
	v_add_u32_e32 v6, 0, v123
	v_add_u32_e32 v4, v89, v123
	v_mul_lo_u32 v1, s2, v2
	ds_read2_b32 v[2:3], v6 offset0:32 offset1:33
	ds_read2st64_b32 v[4:5], v4 offset1:9
	ds_read_b32 v6, v6 offset:2432
	v_or_b32_e32 v8, v1, v22
	v_readlane_b32 s28, v172, 3
	v_ashrrev_i32_e32 v9, 31, v8
	s_waitcnt lgkmcnt(1)
	v_cvt_f32_f16_e32 v10, v4
	v_cvt_f32_f16_sdwa v11, v4 dst_sel:DWORD dst_unused:UNUSED_PAD src0_sel:WORD_1
	v_cvt_f32_f16_e32 v4, v5
	v_cvt_f32_f16_sdwa v5, v5 dst_sel:DWORD dst_unused:UNUSED_PAD src0_sel:WORD_1
	v_readlane_b32 s29, v172, 4
	v_pk_fma_f32 v[10:11], v[2:3], v[10:11], 0 op_sel_hi:[0,1,0]
	s_waitcnt lgkmcnt(0)
	v_pk_fma_f32 v[4:5], v[6:7], v[4:5], v[10:11] op_sel_hi:[0,1,1]
	v_lshl_add_u64 v[8:9], v[8:9], 3, s[28:29]
	v_div_scale_f32 v1, s[28:29], v3, v3, v5
	v_rcp_f32_e32 v2, v1
	s_nop 0
	v_fma_f32 v6, -v1, v2, 1.0
	v_fmac_f32_e32 v2, v6, v2
	v_div_scale_f32 v6, vcc, v5, v3, v5
	v_mul_f32_e32 v7, v6, v2
	v_fma_f32 v10, -v1, v7, v6
	v_fmac_f32_e32 v7, v10, v2
	v_fma_f32 v1, -v1, v7, v6
	v_div_fmas_f32 v1, v1, v2, v7
	v_div_fixup_f32 v5, v1, v3, v5
	v_div_scale_f32 v1, s[28:29], v3, v3, v4
	v_rcp_f32_e32 v2, v1
	s_nop 0
	v_fma_f32 v6, -v1, v2, 1.0
	v_fmac_f32_e32 v2, v6, v2
	v_div_scale_f32 v6, vcc, v4, v3, v4
	v_mul_f32_e32 v7, v6, v2
	v_fma_f32 v10, -v1, v7, v6
	v_fmac_f32_e32 v7, v10, v2
	v_fma_f32 v1, -v1, v7, v6
	v_div_fmas_f32 v1, v1, v2, v7
	v_div_fixup_f32 v4, v1, v3, v4
	v_mov_b32_e32 v1, 0
	global_store_dwordx2 v[8:9], v[4:5], off
.LBB0_183:                              ;   in Loop: Header=BB0_14 Depth=1
	s_or_b64 exec, exec, s[8:9]
	s_movk_i32 s2, 0x47
	v_cmp_gt_i32_e32 vcc, s2, v1
	s_mov_b64 s[8:9], -1
	s_and_saveexec_b64 s[28:29], vcc
; %bb.184:                              ;   in Loop: Header=BB0_14 Depth=1
	v_cmp_eq_u32_e32 vcc, 0, v1
	s_orn2_b64 s[8:9], vcc, exec
; %bb.185:                              ;   in Loop: Header=BB0_14 Depth=1
	s_or_b64 exec, exec, s[28:29]
	s_and_b64 exec, exec, s[8:9]
	s_cbranch_execz .LBB0_12
; %bb.186:                              ;   in Loop: Header=BB0_14 Depth=1
	v_add_u32_e32 v2, s99, v109
	v_cmp_gt_i32_e32 vcc, s72, v2
	v_mov_b32_e32 v1, 0x47
	s_and_saveexec_b64 s[8:9], vcc
	s_cbranch_execz .LBB0_188
; %bb.187:                              ;   in Loop: Header=BB0_14 Depth=1
	v_readlane_b32 s2, v173, 53
	v_add_u32_e32 v6, 0, v124
	v_add_u32_e32 v4, v89, v124
	v_mul_lo_u32 v1, s2, v2
	ds_read2_b32 v[2:3], v6 offset0:32 offset1:33
	ds_read2st64_b32 v[4:5], v4 offset1:9
	ds_read_b32 v6, v6 offset:2432
	v_or_b32_e32 v8, v1, v22
	v_readlane_b32 s28, v172, 3
	v_ashrrev_i32_e32 v9, 31, v8
	s_waitcnt lgkmcnt(1)
	v_cvt_f32_f16_e32 v10, v4
	v_cvt_f32_f16_sdwa v11, v4 dst_sel:DWORD dst_unused:UNUSED_PAD src0_sel:WORD_1
	v_cvt_f32_f16_e32 v4, v5
	v_cvt_f32_f16_sdwa v5, v5 dst_sel:DWORD dst_unused:UNUSED_PAD src0_sel:WORD_1
	v_readlane_b32 s29, v172, 4
	v_pk_fma_f32 v[10:11], v[2:3], v[10:11], 0 op_sel_hi:[0,1,0]
	s_waitcnt lgkmcnt(0)
	v_pk_fma_f32 v[4:5], v[6:7], v[4:5], v[10:11] op_sel_hi:[0,1,1]
	v_lshl_add_u64 v[8:9], v[8:9], 3, s[28:29]
	v_div_scale_f32 v1, s[28:29], v3, v3, v5
	v_rcp_f32_e32 v2, v1
	s_nop 0
	v_fma_f32 v6, -v1, v2, 1.0
	v_fmac_f32_e32 v2, v6, v2
	v_div_scale_f32 v6, vcc, v5, v3, v5
	v_mul_f32_e32 v7, v6, v2
	v_fma_f32 v10, -v1, v7, v6
	v_fmac_f32_e32 v7, v10, v2
	v_fma_f32 v1, -v1, v7, v6
	v_div_fmas_f32 v1, v1, v2, v7
	v_div_fixup_f32 v5, v1, v3, v5
	v_div_scale_f32 v1, s[28:29], v3, v3, v4
	v_rcp_f32_e32 v2, v1
	s_nop 0
	v_fma_f32 v6, -v1, v2, 1.0
	v_fmac_f32_e32 v2, v6, v2
	v_div_scale_f32 v6, vcc, v4, v3, v4
	v_mul_f32_e32 v7, v6, v2
	v_fma_f32 v10, -v1, v7, v6
	v_fmac_f32_e32 v7, v10, v2
	v_fma_f32 v1, -v1, v7, v6
	v_div_fmas_f32 v1, v1, v2, v7
	v_div_fixup_f32 v4, v1, v3, v4
	v_mov_b32_e32 v1, 0
	global_store_dwordx2 v[8:9], v[4:5], off
.LBB0_188:                              ;   in Loop: Header=BB0_14 Depth=1
	s_or_b64 exec, exec, s[8:9]
	s_movk_i32 s2, 0x47
	v_cmp_gt_i32_e32 vcc, s2, v1
	s_mov_b64 s[8:9], -1
	s_and_saveexec_b64 s[28:29], vcc
; %bb.189:                              ;   in Loop: Header=BB0_14 Depth=1
	v_cmp_eq_u32_e32 vcc, 0, v1
	s_orn2_b64 s[8:9], vcc, exec
; %bb.190:                              ;   in Loop: Header=BB0_14 Depth=1
	s_or_b64 exec, exec, s[28:29]
	s_and_b64 exec, exec, s[8:9]
	s_cbranch_execz .LBB0_12
; %bb.191:                              ;   in Loop: Header=BB0_14 Depth=1
	v_add_u32_e32 v2, s99, v110
	v_cmp_gt_i32_e32 vcc, s72, v2
	v_mov_b32_e32 v1, 0x47
	s_and_saveexec_b64 s[8:9], vcc
	s_cbranch_execz .LBB0_193
; %bb.192:                              ;   in Loop: Header=BB0_14 Depth=1
	v_readlane_b32 s2, v173, 53
	v_add_u32_e32 v6, 0, v125
	v_add_u32_e32 v4, v89, v125
	v_mul_lo_u32 v1, s2, v2
	ds_read2_b32 v[2:3], v6 offset0:32 offset1:33
	ds_read2st64_b32 v[4:5], v4 offset1:9
	ds_read_b32 v6, v6 offset:2432
	v_or_b32_e32 v8, v1, v22
	v_readlane_b32 s28, v172, 3
	v_ashrrev_i32_e32 v9, 31, v8
	s_waitcnt lgkmcnt(1)
	v_cvt_f32_f16_e32 v10, v4
	v_cvt_f32_f16_sdwa v11, v4 dst_sel:DWORD dst_unused:UNUSED_PAD src0_sel:WORD_1
	v_cvt_f32_f16_e32 v4, v5
	v_cvt_f32_f16_sdwa v5, v5 dst_sel:DWORD dst_unused:UNUSED_PAD src0_sel:WORD_1
	v_readlane_b32 s29, v172, 4
	v_pk_fma_f32 v[10:11], v[2:3], v[10:11], 0 op_sel_hi:[0,1,0]
	s_waitcnt lgkmcnt(0)
	v_pk_fma_f32 v[4:5], v[6:7], v[4:5], v[10:11] op_sel_hi:[0,1,1]
	v_lshl_add_u64 v[8:9], v[8:9], 3, s[28:29]
	v_div_scale_f32 v1, s[28:29], v3, v3, v5
	v_rcp_f32_e32 v2, v1
	s_nop 0
	v_fma_f32 v6, -v1, v2, 1.0
	v_fmac_f32_e32 v2, v6, v2
	v_div_scale_f32 v6, vcc, v5, v3, v5
	v_mul_f32_e32 v7, v6, v2
	v_fma_f32 v10, -v1, v7, v6
	v_fmac_f32_e32 v7, v10, v2
	v_fma_f32 v1, -v1, v7, v6
	v_div_fmas_f32 v1, v1, v2, v7
	v_div_fixup_f32 v5, v1, v3, v5
	v_div_scale_f32 v1, s[28:29], v3, v3, v4
	v_rcp_f32_e32 v2, v1
	s_nop 0
	v_fma_f32 v6, -v1, v2, 1.0
	v_fmac_f32_e32 v2, v6, v2
	v_div_scale_f32 v6, vcc, v4, v3, v4
	v_mul_f32_e32 v7, v6, v2
	v_fma_f32 v10, -v1, v7, v6
	v_fmac_f32_e32 v7, v10, v2
	v_fma_f32 v1, -v1, v7, v6
	v_div_fmas_f32 v1, v1, v2, v7
	v_div_fixup_f32 v4, v1, v3, v4
	v_mov_b32_e32 v1, 0
	global_store_dwordx2 v[8:9], v[4:5], off
.LBB0_193:                              ;   in Loop: Header=BB0_14 Depth=1
	s_or_b64 exec, exec, s[8:9]
	s_movk_i32 s2, 0x47
	v_cmp_gt_i32_e32 vcc, s2, v1
	s_mov_b64 s[8:9], -1
	s_and_saveexec_b64 s[28:29], vcc
; %bb.194:                              ;   in Loop: Header=BB0_14 Depth=1
	v_cmp_eq_u32_e32 vcc, 0, v1
	s_orn2_b64 s[8:9], vcc, exec
; %bb.195:                              ;   in Loop: Header=BB0_14 Depth=1
	s_or_b64 exec, exec, s[28:29]
	s_and_b64 exec, exec, s[8:9]
	s_cbranch_execz .LBB0_12
; %bb.196:                              ;   in Loop: Header=BB0_14 Depth=1
	v_add_u32_e32 v2, s99, v111
	v_cmp_gt_i32_e32 vcc, s72, v2
	v_mov_b32_e32 v1, 0x47
	s_and_saveexec_b64 s[8:9], vcc
	s_cbranch_execz .LBB0_198
; %bb.197:                              ;   in Loop: Header=BB0_14 Depth=1
	v_readlane_b32 s2, v173, 53
	v_add_u32_e32 v6, 0, v126
	v_add_u32_e32 v4, v89, v126
	v_mul_lo_u32 v1, s2, v2
	ds_read2_b32 v[2:3], v6 offset0:32 offset1:33
	ds_read2st64_b32 v[4:5], v4 offset1:9
	ds_read_b32 v6, v6 offset:2432
	v_or_b32_e32 v8, v1, v22
	v_readlane_b32 s28, v172, 3
	v_ashrrev_i32_e32 v9, 31, v8
	s_waitcnt lgkmcnt(1)
	v_cvt_f32_f16_e32 v10, v4
	v_cvt_f32_f16_sdwa v11, v4 dst_sel:DWORD dst_unused:UNUSED_PAD src0_sel:WORD_1
	v_cvt_f32_f16_e32 v4, v5
	v_cvt_f32_f16_sdwa v5, v5 dst_sel:DWORD dst_unused:UNUSED_PAD src0_sel:WORD_1
	v_readlane_b32 s29, v172, 4
	v_pk_fma_f32 v[10:11], v[2:3], v[10:11], 0 op_sel_hi:[0,1,0]
	s_waitcnt lgkmcnt(0)
	v_pk_fma_f32 v[4:5], v[6:7], v[4:5], v[10:11] op_sel_hi:[0,1,1]
	v_lshl_add_u64 v[8:9], v[8:9], 3, s[28:29]
	v_div_scale_f32 v1, s[28:29], v3, v3, v5
	v_rcp_f32_e32 v2, v1
	s_nop 0
	v_fma_f32 v6, -v1, v2, 1.0
	v_fmac_f32_e32 v2, v6, v2
	v_div_scale_f32 v6, vcc, v5, v3, v5
	v_mul_f32_e32 v7, v6, v2
	v_fma_f32 v10, -v1, v7, v6
	v_fmac_f32_e32 v7, v10, v2
	v_fma_f32 v1, -v1, v7, v6
	v_div_fmas_f32 v1, v1, v2, v7
	v_div_fixup_f32 v5, v1, v3, v5
	v_div_scale_f32 v1, s[28:29], v3, v3, v4
	v_rcp_f32_e32 v2, v1
	s_nop 0
	v_fma_f32 v6, -v1, v2, 1.0
	v_fmac_f32_e32 v2, v6, v2
	v_div_scale_f32 v6, vcc, v4, v3, v4
	v_mul_f32_e32 v7, v6, v2
	v_fma_f32 v10, -v1, v7, v6
	v_fmac_f32_e32 v7, v10, v2
	v_fma_f32 v1, -v1, v7, v6
	v_div_fmas_f32 v1, v1, v2, v7
	v_div_fixup_f32 v4, v1, v3, v4
	v_mov_b32_e32 v1, 0
	global_store_dwordx2 v[8:9], v[4:5], off
.LBB0_198:                              ;   in Loop: Header=BB0_14 Depth=1
	s_or_b64 exec, exec, s[8:9]
	s_movk_i32 s2, 0x47
	v_cmp_gt_i32_e32 vcc, s2, v1
	s_mov_b64 s[8:9], -1
	s_and_saveexec_b64 s[28:29], vcc
; %bb.199:                              ;   in Loop: Header=BB0_14 Depth=1
	v_cmp_eq_u32_e32 vcc, 0, v1
	s_orn2_b64 s[8:9], vcc, exec
; %bb.200:                              ;   in Loop: Header=BB0_14 Depth=1
	s_or_b64 exec, exec, s[28:29]
	s_and_b64 exec, exec, s[8:9]
	s_cbranch_execz .LBB0_12
; %bb.201:                              ;   in Loop: Header=BB0_14 Depth=1
	v_add_u32_e32 v1, s99, v112
	v_cmp_gt_i32_e32 vcc, s72, v1
	s_and_b64 exec, exec, vcc
	s_cbranch_execz .LBB0_12
; %bb.202:                              ;   in Loop: Header=BB0_14 Depth=1
	v_add_u32_e32 v6, 0, v127
	v_add_u32_e32 v4, v89, v127
	ds_read2_b32 v[2:3], v6 offset0:32 offset1:33
	ds_read2st64_b32 v[4:5], v4 offset1:9
	ds_read_b32 v6, v6 offset:2432
	v_readlane_b32 s2, v173, 53
	v_readlane_b32 s8, v172, 3
	;; [unrolled: 1-line block ×3, first 2 shown]
	s_waitcnt lgkmcnt(1)
	v_cvt_f32_f16_e32 v10, v4
	v_cvt_f32_f16_sdwa v11, v4 dst_sel:DWORD dst_unused:UNUSED_PAD src0_sel:WORD_1
	v_cvt_f32_f16_e32 v4, v5
	v_cvt_f32_f16_sdwa v5, v5 dst_sel:DWORD dst_unused:UNUSED_PAD src0_sel:WORD_1
	v_mul_lo_u32 v1, s2, v1
	v_or_b32_e32 v8, v1, v22
	v_pk_fma_f32 v[10:11], v[2:3], v[10:11], 0 op_sel_hi:[0,1,0]
	v_ashrrev_i32_e32 v9, 31, v8
	s_waitcnt lgkmcnt(0)
	v_pk_fma_f32 v[4:5], v[6:7], v[4:5], v[10:11] op_sel_hi:[0,1,1]
	v_lshl_add_u64 v[8:9], v[8:9], 3, s[8:9]
	v_div_scale_f32 v1, s[8:9], v3, v3, v5
	v_rcp_f32_e32 v2, v1
	s_nop 0
	v_fma_f32 v6, -v1, v2, 1.0
	v_fmac_f32_e32 v2, v6, v2
	v_div_scale_f32 v6, vcc, v5, v3, v5
	v_mul_f32_e32 v7, v6, v2
	v_fma_f32 v10, -v1, v7, v6
	v_fmac_f32_e32 v7, v10, v2
	v_fma_f32 v1, -v1, v7, v6
	v_div_fmas_f32 v1, v1, v2, v7
	v_div_fixup_f32 v5, v1, v3, v5
	v_div_scale_f32 v1, s[8:9], v3, v3, v4
	v_rcp_f32_e32 v2, v1
	s_nop 0
	v_fma_f32 v6, -v1, v2, 1.0
	v_fmac_f32_e32 v2, v6, v2
	v_div_scale_f32 v6, vcc, v4, v3, v4
	v_mul_f32_e32 v7, v6, v2
	v_fma_f32 v10, -v1, v7, v6
	v_fmac_f32_e32 v7, v10, v2
	v_fma_f32 v1, -v1, v7, v6
	v_div_fmas_f32 v1, v1, v2, v7
	v_div_fixup_f32 v4, v1, v3, v4
	global_store_dwordx2 v[8:9], v[4:5], off
	s_branch .LBB0_12
.LBB0_203:
	v_readlane_b32 s48, v173, 61
	v_readlane_b32 s49, v173, 62
	v_readlane_b32 s12, v173, 30
	v_readlane_b32 s52, v173, 42
	v_readlane_b32 s49, v173, 24
	v_readlane_b32 s13, v173, 31
	v_readlane_b32 s14, v173, 32
	v_readlane_b32 s15, v173, 33
	v_readlane_b32 s16, v173, 43
	v_readlane_b32 s17, v173, 44
	s_andn2_b64 vcc, exec, s[6:7]
	s_cbranch_vccnz .LBB0_10
.LBB0_204:
	v_readlane_b32 s77, v173, 7
	s_abs_i32 s0, s77
	v_cvt_f32_u32_e32 v1, s0
	s_sub_i32 s3, 0, s0
	s_abs_i32 s2, s96
	s_xor_b32 s1, s96, s77
	v_rcp_iflag_f32_e32 v1, v1
	s_ashr_i32 s1, s1, 31
	v_readlane_b32 s8, v173, 6
	v_mul_f32_e32 v1, 0x4f7ffffe, v1
	v_cvt_u32_f32_e32 v1, v1
	s_nop 0
	v_readfirstlane_b32 s4, v1
	s_mul_i32 s3, s3, s4
	s_mul_hi_u32 s3, s4, s3
	s_add_i32 s4, s4, s3
	s_mul_hi_u32 s3, s2, s4
	s_mul_i32 s4, s3, s0
	s_sub_i32 s2, s2, s4
	s_add_i32 s5, s3, 1
	s_sub_i32 s4, s2, s0
	s_cmp_ge_u32 s2, s0
	s_cselect_b32 s3, s5, s3
	s_cselect_b32 s2, s4, s2
	s_add_i32 s4, s3, 1
	s_cmp_ge_u32 s2, s0
	s_cselect_b32 s0, s4, s3
	s_abs_i32 s2, s8
	v_cvt_f32_u32_e32 v1, s2
	s_xor_b32 s0, s0, s1
	s_sub_i32 s3, 0, s2
	s_sub_i32 s6, s0, s1
	v_rcp_iflag_f32_e32 v1, v1
	s_mul_i32 s0, s6, s77
	s_sub_i32 s0, s96, s0
	s_abs_i32 s4, s0
	v_mul_f32_e32 v1, 0x4f7ffffe, v1
	v_cvt_u32_f32_e32 v1, v1
	s_xor_b32 s1, s0, s8
	s_ashr_i32 s1, s1, 31
	v_readlane_b32 s77, v173, 3
	v_readfirstlane_b32 s5, v1
	s_mul_i32 s3, s3, s5
	s_mul_hi_u32 s3, s5, s3
	s_add_i32 s5, s5, s3
	s_mul_hi_u32 s3, s4, s5
	s_mul_i32 s5, s3, s2
	s_sub_i32 s4, s4, s5
	s_add_i32 s7, s3, 1
	s_sub_i32 s5, s4, s2
	s_cmp_ge_u32 s4, s2
	s_cselect_b32 s3, s7, s3
	s_cselect_b32 s4, s5, s4
	s_add_i32 s5, s3, 1
	s_cmp_ge_u32 s4, s2
	s_cselect_b32 s2, s5, s3
	s_abs_i32 s3, s77
	v_cvt_f32_u32_e32 v1, s3
	s_xor_b32 s2, s2, s1
	s_sub_i32 s4, 0, s3
	s_sub_i32 s7, s2, s1
	v_rcp_iflag_f32_e32 v1, v1
	s_mul_i32 s1, s7, s8
	s_sub_i32 s1, s0, s1
	s_abs_i32 s2, s1
	v_mul_f32_e32 v1, 0x4f7ffffe, v1
	v_cvt_u32_f32_e32 v1, v1
	s_xor_b32 s0, s1, s77
	s_ashr_i32 s0, s0, 31
	v_readfirstlane_b32 s5, v1
	s_mul_i32 s4, s4, s5
	s_mul_hi_u32 s4, s5, s4
	s_add_i32 s5, s5, s4
	s_mul_hi_u32 s4, s2, s5
	s_mul_i32 s5, s4, s3
	s_sub_i32 s2, s2, s5
	s_add_i32 s8, s4, 1
	s_sub_i32 s5, s2, s3
	s_cmp_ge_u32 s2, s3
	s_cselect_b32 s4, s8, s4
	s_cselect_b32 s2, s5, s2
	s_add_i32 s5, s4, 1
	s_cmp_ge_u32 s2, s3
	s_cselect_b32 s2, s5, s4
	s_xor_b32 s2, s2, s0
	s_sub_i32 s0, s2, s0
	s_mul_i32 s2, s0, s77
	s_sub_i32 s1, s1, s2
	s_abs_i32 s10, s1
	s_ashr_i32 s8, s6, 31
	s_mul_hi_u32 s9, s10, s40
	s_cmp_eq_u64 s[62:63], 0
	s_mov_b64 s[2:3], 0
	s_cbranch_scc1 .LBB0_206
; %bb.205:
	s_abs_i32 s2, s16
	v_cvt_f32_u32_e32 v1, s2
	s_sub_i32 s4, 0, s2
	s_abs_i32 s3, s6
	v_readlane_b32 s16, v173, 15
	v_rcp_iflag_f32_e32 v1, v1
	v_readlane_b32 s17, v173, 16
	v_mul_f32_e32 v1, 0x4f7ffffe, v1
	v_cvt_u32_f32_e32 v1, v1
	s_nop 0
	v_readfirstlane_b32 s5, v1
	s_mul_i32 s4, s4, s5
	s_mul_hi_u32 s4, s5, s4
	s_add_i32 s5, s5, s4
	s_mul_hi_u32 s4, s3, s5
	s_mul_i32 s4, s4, s2
	s_sub_i32 s3, s3, s4
	s_sub_i32 s4, s3, s2
	s_cmp_ge_u32 s3, s2
	s_cselect_b32 s3, s4, s3
	s_sub_i32 s4, s3, s2
	s_cmp_ge_u32 s3, s2
	s_cselect_b32 s2, s4, s3
	s_xor_b32 s2, s2, s8
	s_sub_i32 s2, s2, s8
	s_ashr_i32 s3, s2, 31
	s_mul_hi_u32 s4, s16, s2
	s_mul_i32 s3, s16, s3
	s_mul_i32 s5, s17, s2
	s_add_i32 s3, s4, s3
	s_add_i32 s3, s3, s5
	s_mul_i32 s2, s16, s2
	s_add_u32 s2, s62, s2
	s_addc_u32 s3, s63, s3
.LBB0_206:
	s_ashr_i32 s12, s1, 31
	v_readlane_b32 s1, v173, 2
	s_mul_i32 s11, s7, s1
	s_add_i32 s11, s11, s0
	v_cmp_le_f32_e64 s[0:1], s13, 0
	s_and_b64 vcc, exec, s[0:1]
	v_mov_b32_e32 v20, 1.0
	s_cbranch_vccnz .LBB0_208
; %bb.207:
	v_readlane_b32 s0, v173, 12
	v_mov_b32_e32 v2, s15
	v_mov_b32_e32 v3, s14
	;; [unrolled: 1-line block ×3, first 2 shown]
	v_sub_co_u32_e32 v1, vcc, s11, v1
	s_add_i32 s0, s11, 1
	v_lshlrev_b32_e32 v1, 1, v1
	v_cndmask_b32_e32 v2, v2, v3, vcc
	v_or_b32_e32 v1, 1, v1
	v_mov_b32_e32 v3, s0
	v_cndmask_b32_e32 v1, v1, v3, vcc
	v_cvt_f32_i32_e32 v1, v1
	v_cmp_neq_f32_e32 vcc, 1.0, v2
	s_mov_b32 s0, 0x3f2aaaab
	s_movk_i32 s4, 0x204
	v_cndmask_b32_e32 v1, 1.0, v1, vcc
	v_cmp_neq_f32_e32 vcc, 0, v1
	s_mov_b32 s1, 0x42b17218
	s_mov_b32 s5, 0x3fb8aa3b
	v_cndmask_b32_e32 v18, 1.0, v2, vcc
	v_frexp_mant_f32_e64 v2, |v18|
	v_cmp_gt_f32_e32 vcc, s0, v2
	s_mov_b32 s0, 0x3f317218
	s_brev_b32 s13, -2
	v_cndmask_b32_e64 v3, 1.0, 2.0, vcc
	v_mul_f32_e32 v2, v2, v3
	v_add_f32_e32 v5, 1.0, v2
	v_rcp_f32_e32 v10, v5
	v_add_f32_e32 v3, -1.0, v5
	v_sub_f32_e32 v7, v2, v3
	v_add_f32_e32 v3, -1.0, v2
	v_mul_f32_e32 v11, v3, v10
	v_mul_f32_e32 v4, v5, v11
	v_fma_f32 v6, v11, v5, -v4
	v_fmac_f32_e32 v6, v11, v7
	v_add_f32_e32 v2, v4, v6
	v_sub_f32_e32 v5, v3, v2
	v_pk_add_f32 v[8:9], v[2:3], v[4:5] neg_lo:[0,1] neg_hi:[0,1]
	v_mov_b32_e32 v7, v2
	v_pk_add_f32 v[2:3], v[8:9], v[6:7] neg_lo:[0,1] neg_hi:[0,1]
	v_mov_b32_e32 v6, 0x3e91f4c4
	v_add_f32_e32 v2, v2, v3
	v_add_f32_e32 v2, v5, v2
	v_mul_f32_e32 v3, v10, v2
	v_add_f32_e32 v2, v11, v3
	v_sub_f32_e32 v4, v2, v11
	v_sub_f32_e32 v12, v3, v4
	v_mul_f32_e32 v3, v2, v2
	v_fma_f32 v5, v2, v2, -v3
	v_add_f32_e32 v4, v12, v12
	v_fmac_f32_e32 v5, v2, v4
	v_add_f32_e32 v4, v3, v5
	v_fmac_f32_e32 v6, 0x3e76c4e1, v4
	v_fmaak_f32 v6, v4, v6, 0x3ecccdef
	v_sub_f32_e32 v3, v4, v3
	v_sub_f32_e32 v13, v5, v3
	v_mul_f32_e32 v3, v4, v6
	v_fma_f32 v5, v4, v6, -v3
	v_fmac_f32_e32 v5, v13, v6
	v_add_f32_e32 v6, v3, v5
	v_add_f32_e32 v7, 0x3f2aaaaa, v6
	v_sub_f32_e32 v3, v6, v3
	v_sub_f32_e32 v3, v5, v3
	v_add_f32_e32 v5, 0xbf2aaaaa, v7
	v_add_f32_e32 v3, 0x31739010, v3
	v_sub_f32_e32 v5, v6, v5
	v_pk_mul_f32 v[8:9], v[2:3], v[4:5]
	v_pk_add_f32 v[10:11], v[2:3], v[4:5]
	v_fma_f32 v6, v4, v2, -v8
	v_fmac_f32_e32 v6, v4, v12
	v_mov_b32_e32 v9, v11
	v_fmac_f32_e32 v6, v13, v2
	v_pk_add_f32 v[4:5], v[8:9], v[6:7]
	v_ldexp_f32 v14, v12, 1
	v_sub_f32_e32 v3, v4, v8
	v_sub_f32_e32 v3, v6, v3
	;; [unrolled: 1-line block ×3, first 2 shown]
	v_add_f32_e32 v9, v11, v6
	v_pk_mul_f32 v[6:7], v[4:5], v[4:5] op_sel:[0,1] op_sel_hi:[1,0]
	v_cvt_f64_f32_e64 v[10:11], |v18|
	v_frexp_exp_i32_f64_e32 v7, v[10:11]
	v_subbrev_co_u32_e32 v7, vcc, 0, v7, vcc
	v_cvt_f32_i32_e32 v7, v7
	v_fma_f32 v8, v4, v5, -v6
	v_fmac_f32_e32 v8, v4, v9
	v_fmac_f32_e32 v8, v3, v5
	v_mul_f32_e32 v4, 0x3f317218, v7
	v_fma_f32 v3, v7, s0, -v4
	v_fmamk_f32 v10, v7, 0xb102e308, v3
	v_ldexp_f32 v11, v2, 1
	v_add_f32_e32 v5, v6, v8
	v_pk_add_f32 v[2:3], v[4:5], v[10:11]
	v_mov_b32_e32 v12, v5
	v_mov_b32_e32 v13, v3
	;; [unrolled: 1-line block ×3, first 2 shown]
	v_pk_add_f32 v[6:7], v[12:13], v[6:7] neg_lo:[0,1] neg_hi:[0,1]
	v_mov_b32_e32 v9, v5
	v_pk_add_f32 v[6:7], v[8:9], v[6:7] neg_lo:[0,1] neg_hi:[0,1]
	v_mov_b32_e32 v11, v2
	v_add_f32_e32 v5, v14, v6
	v_add_f32_e32 v5, v5, v7
	v_pk_add_f32 v[6:7], v[2:3], v[4:5] neg_lo:[0,1] neg_hi:[0,1]
	v_pk_add_f32 v[8:9], v[2:3], v[4:5]
	v_mov_b32_e32 v16, v3
	v_mov_b32_e32 v7, v9
	v_pk_add_f32 v[12:13], v[10:11], v[6:7] neg_lo:[0,1] neg_hi:[0,1]
	v_pk_add_f32 v[6:7], v[10:11], v[6:7]
	v_mov_b32_e32 v4, v5
	v_pk_add_f32 v[10:11], v[6:7], v[2:3] op_sel:[1,0] op_sel_hi:[0,1] neg_lo:[0,1] neg_hi:[0,1]
	v_pk_add_f32 v[14:15], v[8:9], v[10:11] op_sel_hi:[1,0] neg_lo:[0,1] neg_hi:[0,1]
	v_mov_b32_e32 v8, v9
	v_mov_b32_e32 v9, v7
	;; [unrolled: 1-line block ×3, first 2 shown]
	v_pk_add_f32 v[8:9], v[8:9], v[16:17] neg_lo:[0,1] neg_hi:[0,1]
	v_mov_b32_e32 v5, v2
	v_pk_add_f32 v[2:3], v[4:5], v[8:9] neg_lo:[0,1] neg_hi:[0,1]
	v_mov_b32_e32 v14, v12
	v_pk_add_f32 v[4:5], v[14:15], v[2:3]
	v_mov_b32_e32 v13, v7
	v_pk_add_f32 v[8:9], v[4:5], v[4:5] op_sel:[0,1] op_sel_hi:[1,0]
	s_mov_b32 s0, 0x7f800000
	v_pk_add_f32 v[6:7], v[6:7], v[8:9] op_sel:[1,0] op_sel_hi:[0,1]
	v_mov_b32_e32 v5, v6
	v_pk_add_f32 v[10:11], v[4:5], v[12:13] neg_lo:[0,1] neg_hi:[0,1]
	v_mov_b32_e32 v3, v8
	v_sub_f32_e32 v4, v4, v10
	v_pk_add_f32 v[2:3], v[2:3], v[10:11] neg_lo:[0,1] neg_hi:[0,1]
	v_sub_f32_e32 v4, v12, v4
	v_add_f32_e32 v2, v2, v4
	v_add_f32_e32 v2, v2, v3
	;; [unrolled: 1-line block ×3, first 2 shown]
	v_sub_f32_e32 v4, v3, v6
	v_sub_f32_e32 v2, v2, v4
	v_mul_f32_e32 v4, v1, v3
	v_fma_f32 v3, v1, v3, -v4
	v_fmac_f32_e32 v3, v1, v2
	v_add_f32_e32 v2, v4, v3
	v_cmp_class_f32_e64 vcc, v4, s4
	v_sub_f32_e32 v5, v2, v4
	v_sub_f32_e32 v3, v3, v5
	v_cndmask_b32_e32 v2, v2, v4, vcc
	v_mov_b32_e32 v4, 0x37000000
	v_cmp_eq_f32_e32 vcc, s1, v2
	v_cmp_class_f32_e64 s[14:15], v18, s4
	s_nop 0
	v_cndmask_b32_e32 v4, 0, v4, vcc
	v_sub_f32_e32 v5, v2, v4
	v_mul_f32_e32 v6, 0x3fb8aa3b, v5
	v_fma_f32 v7, v5, s5, -v6
	v_rndne_f32_e32 v8, v6
	v_fmamk_f32 v7, v5, 0x32a5705f, v7
	v_sub_f32_e32 v6, v6, v8
	v_add_f32_e32 v6, v6, v7
	v_exp_f32_e32 v6, v6
	v_cvt_i32_f32_e32 v7, v8
	v_cmp_neq_f32_e64 vcc, |v2|, s0
	s_mov_b32 s0, 0xc2ce8ed0
	s_nop 0
	v_cndmask_b32_e32 v2, 0, v3, vcc
	v_ldexp_f32 v3, v6, v7
	v_cmp_ngt_f32_e32 vcc, s0, v5
	v_add_f32_e32 v2, v4, v2
	v_mov_b32_e32 v4, 0x7f800000
	v_cndmask_b32_e32 v3, 0, v3, vcc
	v_cmp_nlt_f32_e32 vcc, s1, v5
	v_mov_b32_e32 v5, 0x7fc00000
	s_nop 0
	v_cndmask_b32_e32 v3, v4, v3, vcc
	v_fma_f32 v2, v3, v2, v3
	v_cmp_class_f32_e64 vcc, v3, s4
	v_cmp_gt_f32_e64 s[4:5], 0, v1
	s_nop 0
	v_cndmask_b32_e32 v2, v2, v3, vcc
	v_trunc_f32_e32 v3, v1
	v_cmp_eq_f32_e32 vcc, v3, v1
	v_mul_f32_e32 v3, 0.5, v1
	v_trunc_f32_e32 v6, v3
	v_cmp_neq_f32_e64 s[0:1], v6, v3
	s_and_b64 s[0:1], vcc, s[0:1]
	s_nop 0
	v_cndmask_b32_e64 v3, 1.0, v18, s[0:1]
	v_bfi_b32 v2, s13, v2, v3
	v_cndmask_b32_e32 v3, v5, v2, vcc
	v_cmp_gt_f32_e32 vcc, 0, v18
	s_nop 1
	v_cndmask_b32_e32 v2, v2, v3, vcc
	v_cmp_eq_f32_e32 vcc, 0, v18
	s_xor_b64 s[4:5], s[4:5], vcc
	v_cndmask_b32_e64 v1, v4, 0, s[4:5]
	v_cndmask_b32_e64 v3, 0, v18, s[0:1]
	v_bfi_b32 v1, s13, v1, v3
	s_or_b64 vcc, vcc, s[14:15]
	v_cndmask_b32_e32 v1, v2, v1, vcc
	v_cmp_o_f32_e32 vcc, v18, v18
	s_nop 1
	v_cndmask_b32_e32 v20, v5, v1, vcc
.LBB0_208:
	s_mul_i32 s1, s9, s33
	v_readlane_b32 s0, v173, 23
	s_sub_i32 s1, s10, s1
	s_xor_b32 s0, s12, s0
	s_add_i32 s4, s9, 1
	s_sub_i32 s5, s1, s33
	s_cmp_ge_u32 s1, s33
	s_cselect_b32 s4, s4, s9
	s_cselect_b32 s1, s5, s1
	s_add_i32 s5, s4, 1
	s_cmp_ge_u32 s1, s33
	s_cselect_b32 s1, s5, s4
	s_xor_b32 s1, s1, s0
	s_sub_i32 s4, s1, s0
	s_cmp_eq_u64 s[66:67], 0
	v_mov_b32_e32 v8, s78
	s_cbranch_scc1 .LBB0_210
; %bb.209:
	v_readlane_b32 s0, v173, 0
	s_mul_i32 s0, s6, s0
	s_add_i32 s0, s4, s0
	s_ashr_i32 s1, s0, 31
	s_lshl_b64 s[0:1], s[0:1], 2
	s_add_u32 s0, s66, s0
	s_addc_u32 s1, s67, s1
	v_mov_b32_e32 v1, 0
	global_load_dword v1, v1, s[0:1]
	s_waitcnt vmcnt(0)
	v_ashrrev_i32_e32 v2, 31, v1
	v_lshrrev_b32_e32 v2, 26, v2
	v_add_u32_e32 v1, v1, v2
	v_ashrrev_i32_e32 v1, 6, v1
	v_min_i32_e32 v8, s78, v1
.LBB0_210:
	v_readlane_b32 s12, v173, 8
	v_readlane_b32 s13, v173, 9
	s_mul_i32 s0, s6, s13
	s_ashr_i32 s1, s0, 31
	s_add_u32 s0, s56, s0
	s_mul_i32 s11, s11, s12
	s_addc_u32 s1, s57, s1
	s_ashr_i32 s5, s11, 31
	s_add_u32 s0, s0, s11
	s_addc_u32 s1, s1, s5
	s_lshl_b32 s37, s4, 5
	v_add_u32_e32 v2, s37, v25
	s_mov_b32 s9, 0x10001
	v_lshl_add_u32 v52, v22, 2, 0
	v_cmp_le_i32_e32 vcc, s72, v2
	s_and_saveexec_b64 s[4:5], vcc
	s_xor_b64 s[4:5], exec, s[4:5]
; %bb.211:
	s_movk_i32 s10, 0x90
	v_mad_u32_u24 v1, v25, s10, v52
	v_mov_b32_e32 v2, 0
	ds_write_b32 v1, v2
                                        ; implicit-def: $vgpr2
; %bb.212:
	s_or_saveexec_b64 s[4:5], s[4:5]
	v_mul_lo_u32 v1, v31, s9
	s_xor_b64 exec, exec, s[4:5]
	s_cbranch_execz .LBB0_214
; %bb.213:
	v_mad_u64_u32 v[2:3], s[10:11], v2, s44, v[22:23]
	v_ashrrev_i32_e32 v3, 31, v2
	v_lshl_add_u64 v[2:3], v[2:3], 3, s[0:1]
	global_load_dwordx2 v[2:3], v[2:3], off
	s_movk_i32 s9, 0x90
	s_waitcnt vmcnt(0)
	v_cvt_pk_f16_f32 v2, v2, v3
	v_pk_mul_f16 v2, v2, v1
	v_mad_u32_u24 v3, v25, s9, v52
	ds_write_b32 v3, v2
.LBB0_214:
	s_or_b64 exec, exec, s[4:5]
	v_add_u32_e32 v2, 8, v25
	v_add_u32_e32 v3, s37, v2
	v_cmp_le_i32_e32 vcc, s72, v3
	s_and_saveexec_b64 s[4:5], vcc
	s_xor_b64 s[4:5], exec, s[4:5]
; %bb.215:
	s_movk_i32 s9, 0x90
	v_mad_u32_u24 v2, v2, s9, v52
	v_mov_b32_e32 v3, 0
	ds_write_b32 v2, v3
                                        ; implicit-def: $vgpr3
                                        ; implicit-def: $vgpr2
; %bb.216:
	s_andn2_saveexec_b64 s[4:5], s[4:5]
	s_cbranch_execz .LBB0_218
; %bb.217:
	v_mad_u64_u32 v[4:5], s[10:11], v3, s44, v[22:23]
	v_ashrrev_i32_e32 v5, 31, v4
	v_lshl_add_u64 v[4:5], v[4:5], 3, s[0:1]
	global_load_dwordx2 v[4:5], v[4:5], off
	s_movk_i32 s9, 0x90
	v_mad_u32_u24 v2, v2, s9, v52
	s_waitcnt vmcnt(0)
	v_cvt_pk_f16_f32 v3, v4, v5
	v_pk_mul_f16 v3, v3, v1
	ds_write_b32 v2, v3
.LBB0_218:
	s_or_b64 exec, exec, s[4:5]
	v_add_u32_e32 v2, 16, v25
	v_add_u32_e32 v3, s37, v2
	v_cmp_le_i32_e32 vcc, s72, v3
	s_and_saveexec_b64 s[4:5], vcc
	s_xor_b64 s[4:5], exec, s[4:5]
; %bb.219:
	s_movk_i32 s9, 0x90
	v_mad_u32_u24 v2, v2, s9, v52
	v_mov_b32_e32 v3, 0
	ds_write_b32 v2, v3
                                        ; implicit-def: $vgpr3
                                        ; implicit-def: $vgpr2
; %bb.220:
	s_andn2_saveexec_b64 s[4:5], s[4:5]
	s_cbranch_execz .LBB0_222
; %bb.221:
	v_mad_u64_u32 v[4:5], s[10:11], v3, s44, v[22:23]
	v_ashrrev_i32_e32 v5, 31, v4
	v_lshl_add_u64 v[4:5], v[4:5], 3, s[0:1]
	global_load_dwordx2 v[4:5], v[4:5], off
	s_movk_i32 s9, 0x90
	v_mad_u32_u24 v2, v2, s9, v52
	s_waitcnt vmcnt(0)
	v_cvt_pk_f16_f32 v3, v4, v5
	v_pk_mul_f16 v3, v3, v1
	ds_write_b32 v2, v3
.LBB0_222:
	s_or_b64 exec, exec, s[4:5]
	v_add_u32_e32 v2, 24, v25
	v_add_u32_e32 v3, s37, v2
	v_cmp_le_i32_e32 vcc, s72, v3
	s_and_saveexec_b64 s[4:5], vcc
	s_xor_b64 s[4:5], exec, s[4:5]
; %bb.223:
	s_movk_i32 s9, 0x90
	v_mad_u32_u24 v1, v2, s9, v52
	v_mov_b32_e32 v2, 0
	ds_write_b32 v1, v2
                                        ; implicit-def: $vgpr3
                                        ; implicit-def: $vgpr1
                                        ; implicit-def: $vgpr2
; %bb.224:
	s_or_saveexec_b64 s[4:5], s[4:5]
	v_and_b32_e32 v53, 0x3ff, v0
	s_xor_b64 exec, exec, s[4:5]
	s_cbranch_execz .LBB0_226
; %bb.225:
	v_mad_u64_u32 v[4:5], s[10:11], v3, s44, v[22:23]
	v_ashrrev_i32_e32 v5, 31, v4
	v_lshl_add_u64 v[4:5], v[4:5], 3, s[0:1]
	global_load_dwordx2 v[4:5], v[4:5], off
	s_movk_i32 s0, 0x90
	s_waitcnt vmcnt(0)
	v_cvt_pk_f16_f32 v0, v4, v5
	v_pk_mul_f16 v0, v0, v1
	v_mad_u32_u24 v1, v2, s0, v52
	ds_write_b32 v1, v0
.LBB0_226:
	s_or_b64 exec, exec, s[4:5]
	v_readlane_b32 s4, v173, 13
	v_readlane_b32 s5, v173, 14
	s_mul_i32 s0, s4, s8
	s_mul_hi_u32 s1, s4, s6
	s_add_i32 s0, s1, s0
	s_mul_i32 s1, s5, s6
	v_readlane_b32 s12, v173, 19
	s_add_i32 s0, s0, s1
	s_mul_i32 s1, s4, s6
	v_readlane_b32 s15, v173, 22
	s_add_u32 s1, s60, s1
	s_mul_i32 s4, s7, s15
	s_addc_u32 s0, s61, s0
	s_ashr_i32 s5, s4, 31
	s_add_u32 s33, s1, s4
	v_readlane_b32 s13, v173, 20
	s_addc_u32 s36, s0, s5
	s_mul_i32 s0, s12, s8
	s_mul_hi_u32 s1, s12, s6
	s_add_i32 s0, s1, s0
	s_mul_i32 s1, s13, s6
	v_lshrrev_b32_e32 v10, 3, v53
	s_add_i32 s0, s0, s1
	s_mul_i32 s1, s12, s6
	v_and_b32_e32 v9, 0x1ff0, v86
	s_movk_i32 s6, 0x90
	v_and_b32_e32 v54, 15, v53
	v_and_b32_e32 v1, 0x7e, v10
	v_mad_u32_u24 v0, v9, s6, 0
	v_mul_u32_u24_e32 v69, 0x90, v54
	v_lshlrev_b32_e32 v55, 2, v1
	v_readlane_b32 s4, v173, 17
	v_add3_u32 v0, v0, v69, v55
	v_readlane_b32 s5, v173, 18
	s_waitcnt lgkmcnt(0)
	s_barrier
	ds_read2_b64 v[4:7], v0 offset1:4
	ds_read2_b64 v[0:3], v0 offset0:8 offset1:12
	s_add_u32 s1, s58, s1
	s_mul_i32 s7, s7, s5
	s_addc_u32 s0, s59, s0
	s_ashr_i32 s4, s7, 31
	v_add_u32_e32 v73, -1, v8
	s_add_u32 s39, s1, s7
	v_cmp_ge_i32_e32 vcc, s38, v73
	v_add_u32_e32 v70, v10, v86
	s_addc_u32 s40, s0, s4
	s_mov_b32 s41, 0
	s_and_b64 vcc, exec, vcc
	v_or_b32_e32 v67, v9, v54
	v_lshlrev_b32_e32 v24, 1, v53
	v_and_b32_e32 v57, 8, v86
	v_lshlrev_b32_e32 v71, 2, v53
	v_mul_lo_u32 v16, s74, v70
	v_lshrrev_b32_e32 v68, 2, v53
	v_mul_lo_u32 v18, s54, v70
	v_lshlrev_b32_e32 v60, 1, v10
	v_lshlrev_b32_e32 v59, 1, v54
	v_readlane_b32 s14, v173, 21
	s_waitcnt lgkmcnt(0)
	s_barrier
	s_cbranch_vccnz .LBB0_239
; %bb.227:
	v_mov_b32_e32 v27, 0
	v_mov_b32_e32 v25, v27
	v_mul_u32_u24_e32 v8, 0x90, v23
	v_lshl_add_u64 v[28:29], s[2:3], 0, v[24:25]
	v_add3_u32 v25, 0, v8, v24
	v_add_u32_e32 v8, s37, v23
	v_mul_hi_u32 v9, s86, v8
	v_add_u32_e32 v9, v8, v9
	v_lshrrev_b32_e32 v9, s87, v9
	v_mul_lo_u32 v9, v9, s72
	v_sub_u32_e32 v9, v8, v9
	v_mad_i64_i32 v[30:31], s[4:5], v9, s48, 0
	v_add_u32_e32 v9, 4, v8
	v_mul_hi_u32 v10, s86, v9
	v_add_u32_e32 v10, v9, v10
	v_lshrrev_b32_e32 v10, s87, v10
	v_mul_lo_u32 v10, v10, s72
	v_sub_u32_e32 v9, v9, v10
	v_mad_i64_i32 v[32:33], s[4:5], v9, s48, 0
	;; [unrolled: 7-line block ×6, first 2 shown]
	v_add_u32_e32 v9, 24, v8
	v_mul_hi_u32 v10, s86, v9
	v_add_u32_e32 v10, v9, v10
	v_lshrrev_b32_e32 v10, s87, v10
	v_mul_lo_u32 v10, v10, s72
	v_sub_u32_e32 v9, v9, v10
	v_add_u32_e32 v8, 28, v8
	v_mad_i64_i32 v[42:43], s[4:5], v9, s48, 0
	v_mul_hi_u32 v9, s86, v8
	v_add_u32_e32 v9, v8, v9
	v_lshrrev_b32_e32 v9, s87, v9
	v_mul_lo_u32 v9, v9, s72
	v_sub_u32_e32 v8, v8, v9
	v_mad_i64_i32 v[44:45], s[4:5], v8, s48, 0
	v_mbcnt_hi_u32_b32 v8, -1, v87
	v_and_b32_e32 v11, 64, v8
	v_add_u32_e32 v11, 64, v11
	v_xor_b32_e32 v12, 32, v8
	v_cmp_lt_i32_e32 vcc, v12, v11
	v_and_b32_e32 v9, 16, v85
	v_mul_u32_u24_e32 v10, 0x90, v9
	v_cndmask_b32_e32 v12, v8, v12, vcc
	v_lshlrev_b32_e32 v81, 2, v12
	v_xor_b32_e32 v12, 16, v8
	v_cmp_lt_i32_e32 vcc, v12, v11
	v_mad_u32_u24 v15, v67, s6, 0
	s_movk_i32 s4, 0x120
	v_cndmask_b32_e32 v8, v8, v12, vcc
	v_lshlrev_b32_e32 v82, 2, v8
	v_and_b32_e32 v8, 28, v71
	v_mul_u32_u24_e32 v12, 0x90, v70
	v_lshlrev_b32_e32 v13, 2, v8
	v_add3_u32 v83, 0, v12, v13
	v_and_b32_e32 v13, 0xfc, v68
	v_add_u32_e32 v14, v13, v9
	v_add_u16_e32 v9, v13, v9
	v_lshrrev_b16_e32 v9, 1, v9
	v_lshl_add_u32 v13, v14, 1, v15
	v_lshl_add_u32 v9, v9, 2, v15
	v_add_u32_e32 v89, 64, v13
	v_add_u32_e32 v90, 0x44, v13
	v_cmp_gt_u32_e64 s[6:7], 64, v14
	v_cmp_gt_u32_e64 s[8:9], 63, v14
	;; [unrolled: 1-line block ×8, first 2 shown]
	v_and_b32_e32 v13, 0xfc, v60
	v_or_b32_e32 v14, 2, v60
	v_or_b32_e32 v15, 3, v60
	s_mov_b64 s[26:27], src_private_base
	s_cmp_lg_u64 s[2:3], 0
	v_mad_u32_u24 v11, v57, s4, 0
	v_lshl_add_u32 v46, s74, 5, v16
	v_add3_u32 v12, 0, v69, v55
	v_lshl_add_u32 v48, s54, 5, v18
	v_mul_u32_u24_e32 v13, 0x90, v13
	v_mul_u32_u24_e32 v14, 0x90, v14
	;; [unrolled: 1-line block ×3, first 2 shown]
	s_cselect_b64 s[28:29], -1, 0
	v_cmp_lt_u32_e64 s[0:1], 63, v53
	v_add_u32_e32 v74, 0x240, v25
	v_add_u32_e32 v75, 0x480, v25
	;; [unrolled: 1-line block ×7, first 2 shown]
	v_cmp_gt_u32_e64 s[24:25], 64, v70
	v_ashrrev_i32_e32 v17, 31, v16
	v_add_u32_e32 v88, 0x1200, v83
	v_cmp_gt_u32_e64 s[4:5], 32, v70
	v_ashrrev_i32_e32 v47, 31, v46
	v_ashrrev_i32_e32 v19, 31, v18
	;; [unrolled: 1-line block ×3, first 2 shown]
	v_add3_u32 v91, v11, v13, v59
	v_add3_u32 v92, v11, v14, v59
	;; [unrolled: 1-line block ×3, first 2 shown]
	v_mov_b32_e32 v50, v20
	v_mov_b32_e32 v51, v20
	s_lshl_b32 s30, s38, 6
	v_mov_b32_e32 v72, 0xfeffffff
	v_lshlrev_b32_e32 v26, 2, v8
	v_add_u32_e32 v94, v12, v10
	v_add_u32_e32 v95, 0x2400, v9
	s_mov_b32 s26, 0x3fb8aa3b
	s_mov_b32 s42, 0xc2ce8ed0
	s_mov_b32 s43, 0x42b17218
	s_mov_b32 s44, 0xc1a00000
	s_mov_b32 s45, 0x5040100
	v_mov_b32_e32 v96, 0
	v_mov_b32_e32 v100, v27
	;; [unrolled: 1-line block ×15, first 2 shown]
.LBB0_228:                              ; =>This Inner Loop Header: Depth=1
	v_cndmask_b32_e64 v8, 0, 1, s[28:29]
	v_cmp_ne_u32_e64 s[22:23], 1, v8
	s_andn2_b64 vcc, exec, s[28:29]
	s_ashr_i32 s31, s30, 31
	s_cbranch_vccnz .LBB0_234
; %bb.229:                              ;   in Loop: Header=BB0_228 Depth=1
	s_and_saveexec_b64 s[34:35], s[0:1]
	s_xor_b64 s[34:35], exec, s[34:35]
	s_cbranch_execz .LBB0_231
; %bb.230:                              ;   in Loop: Header=BB0_228 Depth=1
	ds_write_b16 v25, v27 offset:9216
	ds_write_b16 v74, v27 offset:9216
	;; [unrolled: 1-line block ×4, first 2 shown]
.LBB0_231:                              ;   in Loop: Header=BB0_228 Depth=1
	s_or_saveexec_b64 s[34:35], s[34:35]
	v_mov_b32_e32 v8, 0
	v_mov_b32_e32 v9, 0
	;; [unrolled: 1-line block ×4, first 2 shown]
	s_xor_b64 exec, exec, s[34:35]
	s_cbranch_execz .LBB0_233
; %bb.232:                              ;   in Loop: Header=BB0_228 Depth=1
	v_lshl_add_u64 v[8:9], s[30:31], 1, v[28:29]
	v_lshl_add_u64 v[10:11], v[30:31], 1, v[8:9]
	;; [unrolled: 1-line block ×9, first 2 shown]
	global_load_ushort v21, v[10:11], off
	s_nop 0
	global_load_ushort v12, v[12:13], off
	s_nop 0
	;; [unrolled: 2-line block ×3, first 2 shown]
	global_load_ushort v14, v[104:105], off
	global_load_ushort v8, v[106:107], off
	;; [unrolled: 1-line block ×5, first 2 shown]
	s_waitcnt vmcnt(7)
	ds_write_b16 v25, v21 offset:9216
	s_waitcnt vmcnt(6)
	ds_write_b16 v74, v12 offset:9216
	;; [unrolled: 2-line block ×4, first 2 shown]
.LBB0_233:                              ;   in Loop: Header=BB0_228 Depth=1
	s_or_b64 exec, exec, s[34:35]
	s_waitcnt vmcnt(3)
	ds_write_b16 v77, v8 offset:9216
	s_waitcnt vmcnt(2)
	ds_write_b16 v78, v9 offset:9216
	;; [unrolled: 2-line block ×4, first 2 shown]
.LBB0_234:                              ;   in Loop: Header=BB0_228 Depth=1
	s_mul_hi_i32 s35, s30, s74
	s_mul_i32 s34, s30, s74
	s_lshl_b64 s[34:35], s[34:35], 2
	s_add_u32 s34, s39, s34
	s_addc_u32 s35, s40, s35
	v_lshl_add_u64 v[8:9], v[16:17], 2, s[34:35]
	v_lshl_add_u64 v[8:9], v[8:9], 0, v[26:27]
	v_mov_b32_e32 v14, s27
	v_cndmask_b32_e64 v9, v14, v9, s[24:25]
	v_cndmask_b32_e64 v8, v96, v8, s[24:25]
	scratch_store_dwordx4 off, v[100:103], off
	flat_load_dwordx4 v[8:11], v[8:9]
	v_lshl_add_u64 v[12:13], v[46:47], 2, s[34:35]
	v_lshl_add_u64 v[12:13], v[12:13], 0, v[26:27]
	v_cndmask_b32_e64 v13, v14, v13, s[4:5]
	v_cndmask_b32_e64 v12, v96, v12, s[4:5]
	v_add_u32_e32 v21, 0x1000, v94
	s_and_b64 vcc, exec, s[22:23]
	s_waitcnt vmcnt(0) lgkmcnt(0)
	ds_write_b128 v83, v[8:11]
	flat_load_dwordx4 v[8:11], v[12:13]
	s_waitcnt vmcnt(0) lgkmcnt(0)
	ds_write_b128 v88, v[8:11]
	s_waitcnt lgkmcnt(0)
	s_barrier
	ds_read2_b64 v[8:11], v94 offset1:4
	ds_read2_b64 v[104:107], v21 offset0:64 offset1:68
	s_waitcnt lgkmcnt(1)
	v_mfma_f32_16x16x16_f16 v[12:15], v[8:9], v[4:5], 0
	s_waitcnt lgkmcnt(0)
	v_mfma_f32_16x16x16_f16 v[108:111], v[104:105], v[4:5], 0
	v_mfma_f32_16x16x16_f16 v[8:11], v[10:11], v[6:7], v[12:15]
	;; [unrolled: 1-line block ×3, first 2 shown]
	ds_read2_b64 v[104:107], v94 offset0:8 offset1:12
	s_nop 4
	ds_read2_b64 v[108:111], v21 offset0:72 offset1:76
	s_waitcnt lgkmcnt(1)
	v_mfma_f32_16x16x16_f16 v[8:11], v[104:105], v[0:1], v[8:11]
	s_waitcnt lgkmcnt(0)
	s_barrier
	v_mfma_f32_16x16x16_f16 v[112:115], v[108:109], v[0:1], v[12:15]
	v_mfma_f32_16x16x16_f16 v[12:15], v[106:107], v[2:3], v[8:11]
	;; [unrolled: 1-line block ×3, first 2 shown]
	s_cbranch_vccnz .LBB0_236
; %bb.235:                              ;   in Loop: Header=BB0_228 Depth=1
	ds_read2_b32 v[104:105], v95 offset1:1
	ds_read_b32 v99, v89 offset:9216
	ds_read_b32 v108, v90 offset:9216
	v_mov_b32_e32 v21, v20
	s_waitcnt lgkmcnt(2)
	v_cvt_f32_f16_e32 v106, v104
	v_cvt_f32_f16_sdwa v107, v104 dst_sel:DWORD dst_unused:UNUSED_PAD src0_sel:WORD_1
	v_cvt_f32_f16_e32 v104, v105
	v_cvt_f32_f16_sdwa v105, v105 dst_sel:DWORD dst_unused:UNUSED_PAD src0_sel:WORD_1
	s_waitcnt lgkmcnt(1)
	v_cvt_f32_f16_sdwa v109, v99 dst_sel:DWORD dst_unused:UNUSED_PAD src0_sel:WORD_1
	s_waitcnt lgkmcnt(0)
	v_cvt_f32_f16_sdwa v111, v108 dst_sel:DWORD dst_unused:UNUSED_PAD src0_sel:WORD_1
	v_cvt_f32_f16_e32 v110, v108
	v_cvt_f32_f16_e32 v108, v99
	v_pk_fma_f32 v[14:15], v[20:21], v[104:105], v[14:15]
	v_pk_fma_f32 v[12:13], v[50:51], v[106:107], v[12:13]
	;; [unrolled: 1-line block ×4, first 2 shown]
.LBB0_236:                              ;   in Loop: Header=BB0_228 Depth=1
	s_nop 5
	v_add_f32_e32 v21, 0x40051340, v12
	v_max_f32_e32 v99, v72, v72
	v_max_f32_e32 v21, v99, v21
	v_cndmask_b32_e64 v21, v72, v21, s[6:7]
	v_add_f32_e32 v99, 0x40051340, v13
	v_max_f32_e32 v104, v21, v21
	v_max_f32_e32 v99, v104, v99
	v_cndmask_b32_e64 v21, v21, v99, s[8:9]
	;; [unrolled: 4-line block ×6, first 2 shown]
	v_add_f32_e32 v99, 0x40051340, v10
	v_max_f32_e32 v104, v21, v21
	s_mul_hi_i32 s23, s30, s54
	s_mul_i32 s22, s30, s54
	v_max_f32_e32 v99, v104, v99
	s_lshl_b64 s[22:23], s[22:23], 2
	v_cndmask_b32_e64 v21, v21, v99, s[18:19]
	s_add_u32 s22, s33, s22
	v_add_f32_e32 v99, 0x40051340, v11
	v_max_f32_e32 v104, v21, v21
	s_addc_u32 s23, s36, s23
	v_max_f32_e32 v99, v104, v99
	v_lshl_add_u64 v[104:105], v[18:19], 2, s[22:23]
	v_lshl_add_u64 v[104:105], v[104:105], 0, v[26:27]
	v_mov_b32_e32 v110, s27
	v_cndmask_b32_e64 v105, v110, v105, s[24:25]
	v_cndmask_b32_e64 v104, v96, v104, s[24:25]
	scratch_store_dwordx4 off, v[100:103], off
	flat_load_dwordx4 v[104:107], v[104:105]
	v_cndmask_b32_e64 v21, v21, v99, s[20:21]
	ds_bpermute_b32 v99, v81, v21
	v_max_f32_e32 v21, v21, v21
	s_add_i32 s38, s38, 1
	s_add_i32 s30, s30, 64
	s_waitcnt lgkmcnt(0)
	v_max_f32_e32 v99, v99, v99
	v_max_f32_e32 v21, v21, v99
	ds_bpermute_b32 v99, v82, v21
	s_waitcnt lgkmcnt(0)
	v_max_f32_e32 v99, v99, v99
	v_max_f32_e32 v21, v21, v99
	v_sub_f32_e32 v12, v12, v21
	v_mul_f32_e32 v99, 0x3fb8aa3b, v12
	v_fma_f32 v108, v12, s26, -v99
	v_rndne_f32_e32 v109, v99
	v_fmac_f32_e32 v108, 0x32a5705f, v12
	v_sub_f32_e32 v99, v99, v109
	v_add_f32_e32 v99, v99, v108
	v_exp_f32_e32 v99, v99
	v_cvt_i32_f32_e32 v108, v109
	v_sub_f32_e32 v13, v13, v21
	v_cmp_ngt_f32_e32 vcc, s42, v12
	v_sub_f32_e32 v14, v14, v21
	v_ldexp_f32 v99, v99, v108
	v_mul_f32_e32 v108, 0x3fb8aa3b, v13
	v_fma_f32 v109, v13, s26, -v108
	v_rndne_f32_e32 v111, v108
	v_fmac_f32_e32 v109, 0x32a5705f, v13
	v_sub_f32_e32 v108, v108, v111
	v_add_f32_e32 v108, v108, v109
	v_exp_f32_e32 v108, v108
	v_cvt_i32_f32_e32 v109, v111
	v_cndmask_b32_e32 v99, 0, v99, vcc
	v_cmp_nlt_f32_e32 vcc, s43, v12
	v_sub_f32_e32 v15, v15, v21
	v_sub_f32_e32 v8, v8, v21
	v_cndmask_b32_e32 v12, v97, v99, vcc
	v_ldexp_f32 v99, v108, v109
	v_cmp_ngt_f32_e32 vcc, s42, v13
	v_cndmask_b32_e64 v12, 0, v12, s[6:7]
	v_sub_f32_e32 v9, v9, v21
	v_cndmask_b32_e32 v99, 0, v99, vcc
	v_cmp_nlt_f32_e32 vcc, s43, v13
	v_mul_f32_e32 v13, 0x3fb8aa3b, v14
	v_fma_f32 v108, v14, s26, -v13
	v_rndne_f32_e32 v109, v13
	v_fmac_f32_e32 v108, 0x32a5705f, v14
	v_sub_f32_e32 v13, v13, v109
	v_add_f32_e32 v13, v13, v108
	v_exp_f32_e32 v108, v13
	v_cvt_i32_f32_e32 v109, v109
	v_cndmask_b32_e32 v99, v97, v99, vcc
	v_mov_b32_e32 v13, s41
	v_add_f32_e32 v112, v99, v12
	v_cndmask_b32_e64 v13, v13, v99, s[8:9]
	v_ldexp_f32 v99, v108, v109
	v_mul_f32_e32 v108, 0x3fb8aa3b, v15
	v_fma_f32 v109, v15, s26, -v108
	v_rndne_f32_e32 v111, v108
	v_fmac_f32_e32 v109, 0x32a5705f, v15
	v_sub_f32_e32 v108, v108, v111
	v_add_f32_e32 v108, v108, v109
	v_exp_f32_e32 v108, v108
	v_cvt_i32_f32_e32 v109, v111
	v_cmp_ngt_f32_e32 vcc, s42, v14
	v_sub_f32_e32 v10, v10, v21
	v_sub_f32_e32 v11, v11, v21
	v_cndmask_b32_e32 v99, 0, v99, vcc
	v_cmp_nlt_f32_e32 vcc, s43, v14
	v_ldexp_f32 v108, v108, v109
	v_sub_f32_e32 v72, v72, v21
	v_cndmask_b32_e32 v99, v97, v99, vcc
	v_cmp_ngt_f32_e32 vcc, s42, v15
	v_mov_b32_e32 v14, s41
	v_cndmask_b32_e64 v14, v14, v99, s[10:11]
	v_cndmask_b32_e32 v111, 0, v108, vcc
	v_mul_f32_e32 v108, 0x3fb8aa3b, v8
	v_fma_f32 v109, v8, s26, -v108
	v_rndne_f32_e32 v113, v108
	v_fmac_f32_e32 v109, 0x32a5705f, v8
	v_sub_f32_e32 v108, v108, v113
	v_add_f32_e32 v108, v108, v109
	v_exp_f32_e32 v114, v108
	v_lshl_add_u64 v[108:109], v[48:49], 2, s[22:23]
	v_lshl_add_u64 v[108:109], v[108:109], 0, v[26:27]
	v_cndmask_b32_e64 v109, v110, v109, s[4:5]
	v_cndmask_b32_e64 v108, v96, v108, s[4:5]
	s_waitcnt vmcnt(0)
	ds_write_b128 v83, v[104:107]
	flat_load_dwordx4 v[104:107], v[108:109]
	v_cmp_nlt_f32_e32 vcc, s43, v15
	v_mul_f32_e32 v109, 0x3fb8aa3b, v9
	v_fma_f32 v110, v9, s26, -v109
	v_cndmask_b32_e32 v115, v97, v111, vcc
	v_rndne_f32_e32 v111, v109
	v_cvt_i32_f32_e32 v113, v113
	v_fmac_f32_e32 v110, 0x32a5705f, v9
	v_sub_f32_e32 v109, v109, v111
	v_add_f32_e32 v109, v109, v110
	v_exp_f32_e32 v109, v109
	v_cvt_i32_f32_e32 v110, v111
	v_ldexp_f32 v108, v114, v113
	v_cmp_ngt_f32_e32 vcc, s42, v8
	v_mov_b32_e32 v15, s41
	v_cndmask_b32_e64 v15, v15, v115, s[12:13]
	v_cndmask_b32_e32 v108, 0, v108, vcc
	v_cmp_nlt_f32_e32 vcc, s43, v8
	v_mov_b32_e32 v8, s41
	s_waitcnt vmcnt(0) lgkmcnt(0)
	ds_write_b128 v88, v[104:107]
	v_cndmask_b32_e32 v113, v97, v108, vcc
	v_ldexp_f32 v108, v109, v110
	v_mul_f32_e32 v109, 0x3fb8aa3b, v10
	v_fma_f32 v110, v10, s26, -v109
	v_rndne_f32_e32 v111, v109
	v_fmac_f32_e32 v110, 0x32a5705f, v10
	v_sub_f32_e32 v109, v109, v111
	v_add_f32_e32 v109, v109, v110
	v_exp_f32_e32 v109, v109
	v_cvt_i32_f32_e32 v110, v111
	v_cmp_ngt_f32_e32 vcc, s42, v9
	s_waitcnt lgkmcnt(0)
	s_barrier
	v_cndmask_b32_e32 v108, 0, v108, vcc
	v_cmp_nlt_f32_e32 vcc, s43, v9
	v_mov_b32_e32 v9, s41
	s_nop 0
	v_cndmask_b32_e32 v114, v97, v108, vcc
	v_ldexp_f32 v108, v109, v110
	v_cmp_ngt_f32_e32 vcc, s42, v10
	v_cndmask_b32_e64 v8, v8, v113, s[14:15]
	v_cndmask_b32_e64 v9, v9, v114, s[16:17]
	v_cndmask_b32_e32 v108, 0, v108, vcc
	v_cmp_nlt_f32_e32 vcc, s43, v10
	v_mov_b32_e32 v10, s41
	s_nop 0
	v_cndmask_b32_e32 v116, v97, v108, vcc
	v_mul_f32_e32 v108, 0x3fb8aa3b, v11
	v_fma_f32 v109, v11, s26, -v108
	v_rndne_f32_e32 v110, v108
	v_fmac_f32_e32 v109, 0x32a5705f, v11
	v_sub_f32_e32 v108, v108, v110
	v_add_f32_e32 v108, v108, v109
	v_cvt_i32_f32_e32 v109, v110
	v_mul_f32_e32 v110, 0x3fb8aa3b, v72
	v_fma_f32 v111, v72, s26, -v110
	v_rndne_f32_e32 v117, v110
	v_fmac_f32_e32 v111, 0x32a5705f, v72
	v_sub_f32_e32 v110, v110, v117
	v_exp_f32_e32 v108, v108
	v_add_f32_e32 v110, v110, v111
	v_exp_f32_e32 v110, v110
	v_cvt_i32_f32_e32 v111, v117
	v_ldexp_f32 v108, v108, v109
	v_cmp_ngt_f32_e32 vcc, s42, v11
	v_cndmask_b32_e64 v10, v10, v116, s[18:19]
	v_ldexp_f32 v109, v110, v111
	v_cndmask_b32_e32 v108, 0, v108, vcc
	v_cmp_ngt_f32_e32 vcc, s42, v72
	v_cvt_pk_f16_f32 v111, v14, v15
	v_cvt_pk_f16_f32 v110, v12, v13
	v_cndmask_b32_e32 v109, 0, v109, vcc
	v_cmp_nlt_f32_e32 vcc, s43, v72
	v_cndmask_b32_e64 v12, v12, v112, s[8:9]
	s_nop 0
	v_cndmask_b32_e32 v109, v97, v109, vcc
	v_cmp_le_f32_e32 vcc, s44, v72
	s_nop 1
	v_cndmask_b32_e32 v117, 0, v109, vcc
	v_cvt_f16_f32_e32 v72, v117
	v_cmp_nlt_f32_e32 vcc, s43, v11
	v_mov_b32_e32 v11, s41
	v_mul_u32_u24_e32 v72, 0x10001, v72
	v_pk_mul_f16 v66, v66, v72
	v_cndmask_b32_e32 v118, v97, v108, vcc
	v_cvt_f32_f16_e32 v104, v66
	v_cvt_f32_f16_sdwa v105, v66 dst_sel:DWORD dst_unused:UNUSED_PAD src0_sel:WORD_1
	ds_read_u16 v66, v92
	ds_read_u16 v119, v92 offset:32
	ds_read_u16 v120, v92 offset:4608
	;; [unrolled: 1-line block ×7, first 2 shown]
	ds_read_u16 v107, v93
	ds_read_u16 v126, v93 offset:32
	ds_read_u16 v127, v93 offset:4608
	;; [unrolled: 1-line block ×7, first 2 shown]
	v_pk_mul_f16 v65, v65, v72
	s_waitcnt lgkmcnt(7)
	v_perm_b32 v109, v107, v66, s45
	ds_read_u16 v66, v91 offset:144
	ds_read_u16 v107, v91
	ds_read_u16 v133, v91 offset:32
	ds_read_u16 v134, v91 offset:176
	;; [unrolled: 1-line block ×6, first 2 shown]
	s_waitcnt lgkmcnt(6)
	v_perm_b32 v108, v66, v107, s45
	v_cvt_f32_f16_e32 v106, v65
	v_cvt_f32_f16_sdwa v107, v65 dst_sel:DWORD dst_unused:UNUSED_PAD src0_sel:WORD_1
	v_cndmask_b32_e64 v11, v11, v118, s[20:21]
	v_pk_mul_f16 v64, v64, v72
	v_mfma_f32_16x16x16_f16 v[104:107], v[108:109], v[110:111], v[104:107]
	v_cvt_pk_f16_f32 v109, v10, v11
	v_cvt_pk_f16_f32 v108, v8, v9
	v_pk_mul_f16 v61, v61, v72
	v_pk_mul_f16 v58, v58, v72
	s_nop 3
	v_cvt_f16_f32_e32 v13, v104
	v_cvt_f16_f32_e32 v14, v105
	;; [unrolled: 1-line block ×4, first 2 shown]
	v_cvt_f32_f16_e32 v104, v13
	v_cvt_f32_f16_e32 v105, v14
	;; [unrolled: 1-line block ×3, first 2 shown]
	v_perm_b32 v15, v127, v120, s45
	ds_read_u16 v13, v91 offset:4608
	ds_read_u16 v14, v91 offset:4752
	;; [unrolled: 1-line block ×8, first 2 shown]
	s_waitcnt lgkmcnt(6)
	v_perm_b32 v14, v14, v13, s45
	v_cvt_f32_f16_e32 v107, v65
	v_pk_mul_f16 v13, v63, v72
	v_perm_b32 v65, v128, v121, s45
	v_mfma_f32_16x16x16_f16 v[8:11], v[14:15], v[108:109], v[104:107]
	v_perm_b32 v15, v126, v119, s45
	v_perm_b32 v14, v134, v133, s45
	s_nop 0
	v_cvt_f32_f16_e32 v104, v64
	v_cvt_f32_f16_sdwa v105, v64 dst_sel:DWORD dst_unused:UNUSED_PAD src0_sel:WORD_1
	v_cvt_f32_f16_e32 v106, v13
	v_cvt_f32_f16_sdwa v107, v13 dst_sel:DWORD dst_unused:UNUSED_PAD src0_sel:WORD_1
	v_add_f32_e32 v13, v12, v99
	v_cndmask_b32_e64 v99, v12, v13, s[10:11]
	v_mfma_f32_16x16x16_f16 v[12:15], v[14:15], v[110:111], v[104:107]
	s_waitcnt lgkmcnt(4)
	v_perm_b32 v64, v120, v66, s45
	v_pk_mul_f16 v63, v62, v72
	v_perm_b32 v105, v129, v122, s45
	v_perm_b32 v104, v136, v135, s45
	s_nop 2
	v_cvt_f16_f32_e32 v12, v12
	v_cvt_f16_f32_e32 v13, v13
	;; [unrolled: 1-line block ×4, first 2 shown]
	v_cvt_f32_f16_e32 v12, v12
	v_cvt_f32_f16_e32 v13, v13
	;; [unrolled: 1-line block ×5, first 2 shown]
	v_cvt_f32_f16_sdwa v63, v63 dst_sel:DWORD dst_unused:UNUSED_PAD src0_sel:WORD_1
	v_mfma_f32_16x16x16_f16 v[12:15], v[64:65], v[108:109], v[12:15]
	v_cvt_f32_f16_e32 v64, v61
	v_cvt_f32_f16_sdwa v65, v61 dst_sel:DWORD dst_unused:UNUSED_PAD src0_sel:WORD_1
	v_add_f32_e32 v66, v99, v115
	v_cndmask_b32_e64 v61, v99, v66, s[12:13]
	v_mfma_f32_16x16x16_f16 v[62:65], v[104:105], v[110:111], v[62:65]
	v_perm_b32 v105, v130, v123, s45
	s_waitcnt lgkmcnt(2)
	v_perm_b32 v104, v139, v127, s45
	v_add_f32_e32 v66, v113, v61
	v_pk_mul_f16 v56, v56, v72
	s_nop 2
	v_cvt_f16_f32_e32 v62, v62
	v_cvt_f16_f32_e32 v63, v63
	;; [unrolled: 1-line block ×4, first 2 shown]
	v_cvt_f32_f16_e32 v62, v62
	v_cvt_f32_f16_e32 v63, v63
	v_cvt_f32_f16_e32 v64, v64
	v_cvt_f32_f16_e32 v65, v65
	v_perm_b32 v113, v132, v125, s45
	v_perm_b32 v112, v137, v138, s45
	v_mfma_f32_16x16x16_f16 v[104:107], v[104:105], v[108:109], v[62:65]
	v_cndmask_b32_e64 v61, v61, v66, s[14:15]
	v_add_f32_e32 v66, v114, v61
	s_nop 0
	v_cvt_f32_f16_e32 v62, v58
	v_cvt_f32_f16_sdwa v63, v58 dst_sel:DWORD dst_unused:UNUSED_PAD src0_sel:WORD_1
	v_cvt_f32_f16_e32 v64, v56
	v_cvt_f32_f16_sdwa v65, v56 dst_sel:DWORD dst_unused:UNUSED_PAD src0_sel:WORD_1
	v_cndmask_b32_e64 v56, v61, v66, s[16:17]
	v_add_f32_e32 v58, v116, v56
	v_mfma_f32_16x16x16_f16 v[62:65], v[112:113], v[110:111], v[62:65]
	v_cndmask_b32_e64 v56, v56, v58, s[18:19]
	v_perm_b32 v111, v131, v124, s45
	s_waitcnt lgkmcnt(0)
	v_perm_b32 v110, v140, v141, s45
	v_cmp_lt_i32_e32 vcc, s38, v73
	s_nop 2
	v_cvt_f16_f32_e32 v58, v62
	v_cvt_f16_f32_e32 v61, v63
	;; [unrolled: 1-line block ×4, first 2 shown]
	v_cvt_f32_f16_e32 v62, v58
	v_cvt_f32_f16_e32 v63, v61
	;; [unrolled: 1-line block ×4, first 2 shown]
	v_add_f32_e32 v58, v118, v56
	v_cndmask_b32_e64 v72, v56, v58, s[20:21]
	v_mfma_f32_16x16x16_f16 v[108:111], v[110:111], v[108:109], v[62:65]
	v_fmac_f32_e32 v72, v98, v117
	v_cvt_pk_f16_f32 v66, v8, v9
	s_nop 0
	v_cvt_pk_f16_f32 v65, v10, v11
	v_cvt_pk_f16_f32 v64, v12, v13
	;; [unrolled: 1-line block ×7, first 2 shown]
	s_barrier
	s_cbranch_vccz .LBB0_240
; %bb.237:                              ;   in Loop: Header=BB0_228 Depth=1
	v_mov_b32_e32 v98, v72
	v_mov_b32_e32 v72, v21
	s_branch .LBB0_228
.LBB0_238:
                                        ; implicit-def: $sgpr4_sgpr5
                                        ; kill: killed $sgpr4_sgpr5
	s_load_dwordx2 s[86:87], s[0:1], 0x5c
	s_branch .LBB0_7
.LBB0_239:
	v_mov_b32_e32 v21, 0xfeffffff
	v_mov_b32_e32 v72, 0
	;; [unrolled: 1-line block ×10, first 2 shown]
.LBB0_240:
	s_lshl_b32 s22, s38, 6
	v_readlane_b32 s0, v173, 4
	s_sub_i32 s20, s0, s22
	v_readlane_b32 s1, v173, 5
	s_cmp_lg_u64 s[2:3], 0
	s_cselect_b64 s[0:1], -1, 0
	s_ashr_i32 s23, s22, 31
	s_cmp_eq_u64 s[2:3], 0
	s_cbranch_scc1 .LBB0_258
; %bb.241:
	s_lshl_b64 s[4:5], s[22:23], 1
	s_add_u32 s2, s2, s4
	s_addc_u32 s3, s3, s5
	v_mov_b32_e32 v25, 0
	v_cmp_gt_i32_e32 vcc, s20, v53
	v_lshl_add_u64 v[8:9], s[2:3], 0, v[24:25]
	v_mov_b32_e32 v11, 0
	s_and_saveexec_b64 s[2:3], vcc
	s_cbranch_execz .LBB0_243
; %bb.242:
	v_add_u32_e32 v10, s37, v23
	v_mul_hi_u32 v11, s86, v10
	v_add_u32_e32 v11, v10, v11
	v_lshrrev_b32_e32 v11, s87, v11
	v_mul_lo_u32 v11, v11, s72
	v_sub_u32_e32 v10, v10, v11
	v_mad_i64_i32 v[10:11], s[4:5], v10, s48, 0
	v_lshl_add_u64 v[10:11], v[10:11], 1, v[8:9]
	global_load_ushort v11, v[10:11], off
.LBB0_243:
	s_or_b64 exec, exec, s[2:3]
	s_movk_i32 s2, 0x90
	v_mad_u32_u24 v10, v23, s2, 0
	v_lshl_add_u32 v12, v53, 1, v10
	s_waitcnt vmcnt(0)
	ds_write_b16 v12, v11 offset:9216
	s_and_saveexec_b64 s[2:3], vcc
	s_cbranch_execz .LBB0_245
; %bb.244:
	v_add3_u32 v11, v23, s37, 4
	v_mul_hi_u32 v12, s86, v11
	v_add_u32_e32 v12, v11, v12
	v_lshrrev_b32_e32 v12, s87, v12
	v_mul_lo_u32 v12, v12, s72
	v_sub_u32_e32 v11, v11, v12
	v_mad_i64_i32 v[12:13], s[4:5], v11, s48, 0
	v_lshl_add_u64 v[12:13], v[12:13], 1, v[8:9]
	global_load_ushort v25, v[12:13], off
.LBB0_245:
	s_or_b64 exec, exec, s[2:3]
	v_add_u32_e32 v11, 0x240, v10
	v_lshl_add_u32 v10, v53, 1, v11
	s_waitcnt vmcnt(0)
	ds_write_b16 v10, v25 offset:9216
	v_mov_b32_e32 v10, 0
	v_mov_b32_e32 v12, 0
	s_and_saveexec_b64 s[2:3], vcc
	s_cbranch_execz .LBB0_247
; %bb.246:
	v_add3_u32 v12, v23, s37, 8
	v_mul_hi_u32 v13, s86, v12
	v_add_u32_e32 v13, v12, v13
	v_lshrrev_b32_e32 v13, s87, v13
	v_mul_lo_u32 v13, v13, s72
	v_sub_u32_e32 v12, v12, v13
	v_mad_i64_i32 v[12:13], s[4:5], v12, s48, 0
	v_lshl_add_u64 v[12:13], v[12:13], 1, v[8:9]
	global_load_ushort v12, v[12:13], off
.LBB0_247:
	s_or_b64 exec, exec, s[2:3]
	v_add_u32_e32 v11, 0x240, v11
	v_lshl_add_u32 v13, v53, 1, v11
	s_waitcnt vmcnt(0)
	ds_write_b16 v13, v12 offset:9216
	s_and_saveexec_b64 s[2:3], vcc
	s_cbranch_execz .LBB0_249
; %bb.248:
	v_add3_u32 v10, v23, s37, 12
	v_mul_hi_u32 v12, s86, v10
	v_add_u32_e32 v12, v10, v12
	v_lshrrev_b32_e32 v12, s87, v12
	v_mul_lo_u32 v12, v12, s72
	v_sub_u32_e32 v10, v10, v12
	v_mad_i64_i32 v[12:13], s[4:5], v10, s48, 0
	v_lshl_add_u64 v[12:13], v[12:13], 1, v[8:9]
	global_load_ushort v10, v[12:13], off
.LBB0_249:
	s_or_b64 exec, exec, s[2:3]
	v_add_u32_e32 v11, 0x240, v11
	v_lshl_add_u32 v12, v53, 1, v11
	s_waitcnt vmcnt(0)
	ds_write_b16 v12, v10 offset:9216
	v_mov_b32_e32 v10, 0
	v_mov_b32_e32 v12, 0
	s_and_saveexec_b64 s[2:3], vcc
	s_cbranch_execz .LBB0_251
; %bb.250:
	v_add3_u32 v12, v23, s37, 16
	v_mul_hi_u32 v13, s86, v12
	v_add_u32_e32 v13, v12, v13
	v_lshrrev_b32_e32 v13, s87, v13
	v_mul_lo_u32 v13, v13, s72
	v_sub_u32_e32 v12, v12, v13
	v_mad_i64_i32 v[12:13], s[4:5], v12, s48, 0
	v_lshl_add_u64 v[12:13], v[12:13], 1, v[8:9]
	global_load_ushort v12, v[12:13], off
.LBB0_251:
	s_or_b64 exec, exec, s[2:3]
	v_add_u32_e32 v11, 0x240, v11
	;; [unrolled: 38-line block ×3, first 2 shown]
	v_lshl_add_u32 v11, v53, 1, v11
	s_waitcnt vmcnt(0)
	ds_write_b16 v11, v12 offset:9216
	s_and_saveexec_b64 s[2:3], vcc
	s_cbranch_execz .LBB0_257
; %bb.256:
	v_add3_u32 v10, v23, s37, 28
	v_mul_hi_u32 v12, s86, v10
	v_add_u32_e32 v12, v10, v12
	v_lshrrev_b32_e32 v12, s87, v12
	v_mul_lo_u32 v12, v12, s72
	v_sub_u32_e32 v10, v10, v12
	v_mad_i64_i32 v[12:13], s[4:5], v10, s48, 0
	v_lshl_add_u64 v[8:9], v[12:13], 1, v[8:9]
	global_load_ushort v10, v[8:9], off
.LBB0_257:
	s_or_b64 exec, exec, s[2:3]
	s_waitcnt vmcnt(0)
	ds_write_b16 v11, v10 offset:9792
.LBB0_258:
	s_mul_hi_i32 s5, s22, s74
	s_mul_i32 s4, s22, s74
	s_lshl_b64 s[4:5], s[4:5], 2
	s_add_u32 s4, s39, s4
	s_addc_u32 s5, s40, s5
	v_and_b32_e32 v8, 28, v71
	v_ashrrev_i32_e32 v17, 31, v16
	s_mov_b64 s[2:3], src_private_base
	v_mov_b32_e32 v9, 0
	v_lshlrev_b32_e32 v8, 2, v8
	v_lshl_add_u64 v[10:11], v[16:17], 2, s[4:5]
	v_lshl_add_u64 v[10:11], v[10:11], 0, v[8:9]
	v_mov_b32_e32 v17, s3
	v_cmp_gt_i32_e64 s[10:11], s20, v70
	v_mov_b32_e32 v19, 0
	v_mov_b32_e32 v12, v9
	;; [unrolled: 1-line block ×5, first 2 shown]
	v_cndmask_b32_e64 v11, v17, v11, s[10:11]
	v_cndmask_b32_e64 v10, v19, v10, s[10:11]
	scratch_store_dwordx4 off, v[12:15], off
	flat_load_dwordx4 v[10:13], v[10:11]
	v_mul_u32_u24_e32 v24, 0x90, v70
	v_lshl_add_u32 v14, s74, 5, v16
	v_ashrrev_i32_e32 v15, 31, v14
	v_add_u32_e32 v25, 32, v70
	v_lshl_add_u64 v[14:15], v[14:15], 2, s[4:5]
	v_add3_u32 v24, 0, v24, v8
	v_lshl_add_u64 v[14:15], v[14:15], 0, v[8:9]
	v_cmp_gt_i32_e64 s[8:9], s20, v25
	v_and_b32_e32 v9, 16, v85
	s_movk_i32 s2, 0x90
	v_cndmask_b32_e64 v15, v17, v15, s[8:9]
	v_cndmask_b32_e64 v14, v19, v14, s[8:9]
	s_and_b64 vcc, exec, s[0:1]
	s_waitcnt vmcnt(0) lgkmcnt(0)
	ds_write_b128 v24, v[10:13]
	flat_load_dwordx4 v[10:13], v[14:15]
	v_add_u32_e32 v14, 0, v69
	v_mul_u32_u24_e32 v15, 0x90, v9
	v_add3_u32 v19, v14, v55, v15
	v_add_u32_e32 v25, 0x1000, v19
	s_waitcnt vmcnt(0) lgkmcnt(0)
	ds_write_b128 v24, v[10:13] offset:4608
	s_waitcnt lgkmcnt(0)
	s_barrier
	ds_read2_b64 v[10:13], v19 offset1:4
	ds_read2_b64 v[26:29], v25 offset0:64 offset1:68
	s_waitcnt lgkmcnt(1)
	v_mfma_f32_16x16x16_f16 v[14:17], v[10:11], v[4:5], 0
	s_waitcnt lgkmcnt(0)
	v_mfma_f32_16x16x16_f16 v[30:33], v[26:27], v[4:5], 0
	v_mfma_f32_16x16x16_f16 v[10:13], v[12:13], v[6:7], v[14:17]
	;; [unrolled: 1-line block ×3, first 2 shown]
	s_nop 3
	ds_read2_b64 v[14:17], v19 offset0:8 offset1:12
	ds_read2_b64 v[26:29], v25 offset0:72 offset1:76
	s_waitcnt lgkmcnt(0)
	v_mfma_f32_16x16x16_f16 v[10:13], v[14:15], v[0:1], v[10:13]
	s_barrier
	v_mfma_f32_16x16x16_f16 v[4:7], v[26:27], v[0:1], v[4:7]
	v_and_b32_e32 v0, 0xfc, v68
	v_add_u32_e32 v9, v0, v9
	v_add_u32_e32 v26, 32, v9
	v_mfma_f32_16x16x16_f16 v[10:13], v[16:17], v[2:3], v[10:13]
	v_add_u32_e32 v27, 34, v9
	v_mfma_f32_16x16x16_f16 v[14:17], v[28:29], v[2:3], v[4:7]
	s_cbranch_vccz .LBB0_274
; %bb.259:
	v_mad_u32_u24 v2, v67, s2, 0
	v_lshlrev_b32_e32 v0, 1, v9
	s_movk_i32 s0, 0x2400
	v_add_u32_e32 v25, 32, v9
	v_add3_u32 v0, v2, v0, s0
	v_lshl_add_u32 v3, v25, 1, v2
	v_add_u32_e32 v19, 34, v9
	ds_read2_b32 v[0:1], v0 offset1:1
	v_lshl_add_u32 v2, v19, 1, v2
	ds_read_b32 v4, v3 offset:9216
	ds_read_b32 v5, v2 offset:9216
	s_waitcnt lgkmcnt(2)
	v_cvt_f32_f16_e32 v2, v0
	v_cvt_f32_f16_sdwa v3, v0 dst_sel:DWORD dst_unused:UNUSED_PAD src0_sel:WORD_1
	v_cvt_f32_f16_e32 v0, v1
	v_cvt_f32_f16_sdwa v1, v1 dst_sel:DWORD dst_unused:UNUSED_PAD src0_sel:WORD_1
	s_waitcnt lgkmcnt(1)
	v_cvt_f32_f16_e32 v28, v4
	s_waitcnt lgkmcnt(0)
	v_cvt_f32_f16_e32 v30, v5
	v_cvt_f32_f16_sdwa v31, v5 dst_sel:DWORD dst_unused:UNUSED_PAD src0_sel:WORD_1
	v_cvt_f32_f16_sdwa v29, v4 dst_sel:DWORD dst_unused:UNUSED_PAD src0_sel:WORD_1
	v_pk_fma_f32 v[6:7], v[20:21], v[0:1], v[12:13] op_sel_hi:[0,1,1]
	v_pk_fma_f32 v[4:5], v[20:21], v[2:3], v[10:11] op_sel_hi:[0,1,1]
	;; [unrolled: 1-line block ×4, first 2 shown]
	v_add_u32_e32 v20, 0x1200, v24
	s_cbranch_execnz .LBB0_261
.LBB0_260:
	s_nop 4
	v_mov_b64_e32 v[0:1], v[14:15]
	v_mov_b64_e32 v[4:5], v[10:11]
	v_mov_b32_e32 v19, v27
	v_mov_b32_e32 v25, v26
	v_mov_b64_e32 v[2:3], v[16:17]
	v_mov_b64_e32 v[6:7], v[12:13]
.LBB0_261:
	v_add_f32_e32 v10, 0x40051340, v4
	v_max_f32_e32 v11, v21, v21
	v_max_f32_e32 v10, v11, v10
	v_cmp_gt_u32_e64 s[16:17], s20, v9
	v_or_b32_e32 v11, 1, v9
	v_add_f32_e32 v12, 0x40051340, v5
	v_cndmask_b32_e64 v10, v21, v10, s[16:17]
	v_max_f32_e32 v13, v10, v10
	v_max_f32_e32 v12, v13, v12
	v_cmp_gt_u32_e64 s[14:15], s20, v11
	v_or_b32_e32 v11, 2, v9
	v_cmp_gt_u32_e64 s[12:13], s20, v11
	v_cndmask_b32_e64 v10, v10, v12, s[14:15]
	v_add_f32_e32 v12, 0x40051340, v6
	v_max_f32_e32 v13, v10, v10
	v_max_f32_e32 v12, v13, v12
	v_cndmask_b32_e64 v10, v10, v12, s[12:13]
	v_or_b32_e32 v11, 3, v9
	v_add_f32_e32 v12, 0x40051340, v7
	v_max_f32_e32 v13, v10, v10
	v_max_f32_e32 v12, v13, v12
	v_cmp_gt_u32_e64 s[6:7], s20, v11
	v_add_f32_e32 v11, 0x40051340, v0
	v_cmp_gt_u32_e64 s[4:5], s20, v25
	v_cndmask_b32_e64 v10, v10, v12, s[6:7]
	v_max_f32_e32 v12, v10, v10
	v_max_f32_e32 v11, v12, v11
	v_cndmask_b32_e64 v10, v10, v11, s[4:5]
	v_add_u32_e32 v11, 33, v9
	v_add_f32_e32 v12, 0x40051340, v1
	v_max_f32_e32 v13, v10, v10
	v_max_f32_e32 v12, v13, v12
	v_cmp_gt_u32_e64 s[18:19], s20, v11
	v_add_f32_e32 v11, 0x40051340, v2
	v_cmp_gt_u32_e64 s[0:1], s20, v19
	v_cndmask_b32_e64 v10, v10, v12, s[18:19]
	v_max_f32_e32 v12, v10, v10
	v_max_f32_e32 v11, v12, v11
	v_cndmask_b32_e64 v10, v10, v11, s[0:1]
	v_add_u32_e32 v9, 35, v9
	v_add_f32_e32 v11, 0x40051340, v3
	v_max_f32_e32 v12, v10, v10
	v_max_f32_e32 v11, v12, v11
	v_cmp_gt_u32_e32 vcc, s20, v9
	s_mov_b64 s[2:3], src_private_base
	s_mov_b32 s2, 0x3fb8aa3b
	v_cndmask_b32_e32 v9, v10, v11, vcc
	v_mbcnt_hi_u32_b32 v10, -1, v87
	v_and_b32_e32 v11, 64, v10
	v_add_u32_e32 v11, 64, v11
	v_xor_b32_e32 v12, 32, v10
	v_cmp_lt_i32_e64 s[20:21], v12, v11
	v_ashrrev_i32_e32 v19, 31, v18
	v_mov_b32_e32 v27, 0
	v_cndmask_b32_e64 v12, v10, v12, s[20:21]
	v_lshlrev_b32_e32 v12, 2, v12
	ds_bpermute_b32 v13, v12, v9
	v_max_f32_e32 v9, v9, v9
	v_mov_b32_e32 v26, s3
	s_mov_b32 s3, 0
	s_waitcnt lgkmcnt(0)
	v_max_f32_e32 v13, v13, v13
	v_max_f32_e32 v9, v9, v13
	v_xor_b32_e32 v13, 16, v10
	v_cmp_lt_i32_e64 s[20:21], v13, v11
	s_nop 1
	v_cndmask_b32_e64 v10, v10, v13, s[20:21]
	v_lshlrev_b32_e32 v17, 2, v10
	ds_bpermute_b32 v10, v17, v9
	s_mul_hi_i32 s21, s22, s54
	s_mul_i32 s20, s22, s54
	s_lshl_b64 s[20:21], s[20:21], 2
	s_add_u32 s20, s33, s20
	s_waitcnt lgkmcnt(0)
	v_max_f32_e32 v10, v10, v10
	v_max_f32_e32 v16, v9, v10
	v_sub_f32_e32 v4, v4, v16
	v_mul_f32_e32 v9, 0x3fb8aa3b, v4
	v_fma_f32 v10, v4, s2, -v9
	v_rndne_f32_e32 v13, v9
	v_fmac_f32_e32 v10, 0x32a5705f, v4
	v_sub_f32_e32 v9, v9, v13
	v_add_f32_e32 v9, v9, v10
	s_addc_u32 s21, s36, s21
	v_exp_f32_e32 v25, v9
	v_lshl_add_u64 v[10:11], v[18:19], 2, s[20:21]
	v_mov_b32_e32 v9, 0
	v_lshl_add_u64 v[10:11], v[10:11], 0, v[8:9]
	v_cndmask_b32_e64 v14, v27, v10, s[10:11]
	v_lshl_add_u32 v10, s54, 5, v18
	v_cndmask_b32_e64 v15, v26, v11, s[10:11]
	v_ashrrev_i32_e32 v11, 31, v10
	v_lshl_add_u64 v[10:11], v[10:11], 2, s[20:21]
	v_lshl_add_u64 v[18:19], v[10:11], 0, v[8:9]
	v_mov_b32_e32 v8, v9
	v_mov_b32_e32 v10, v9
	;; [unrolled: 1-line block ×3, first 2 shown]
	scratch_store_dwordx4 off, v[8:11], off
	flat_load_dwordx4 v[8:11], v[14:15]
	v_sub_f32_e32 v5, v5, v16
	v_mul_f32_e32 v14, 0x3fb8aa3b, v5
	v_fma_f32 v15, v5, s2, -v14
	v_rndne_f32_e32 v28, v14
	v_cvt_i32_f32_e32 v13, v13
	v_fmac_f32_e32 v15, 0x32a5705f, v5
	v_sub_f32_e32 v14, v14, v28
	v_add_f32_e32 v14, v14, v15
	v_exp_f32_e32 v14, v14
	v_cvt_i32_f32_e32 v15, v28
	s_mov_b32 s20, 0xc2ce8ed0
	v_ldexp_f32 v13, v25, v13
	v_cmp_ngt_f32_e64 s[10:11], s20, v4
	s_mov_b32 s21, 0x42b17218
	v_mov_b32_e32 v25, 0x7f800000
	v_cndmask_b32_e64 v13, 0, v13, s[10:11]
	v_cmp_nlt_f32_e64 s[10:11], s21, v4
	v_sub_f32_e32 v6, v6, v16
	v_sub_f32_e32 v7, v7, v16
	v_cndmask_b32_e64 v4, v25, v13, s[10:11]
	v_ldexp_f32 v13, v14, v15
	v_cmp_ngt_f32_e64 s[10:11], s20, v5
	v_cndmask_b32_e64 v4, 0, v4, s[16:17]
	v_sub_f32_e32 v0, v0, v16
	v_cndmask_b32_e64 v13, 0, v13, s[10:11]
	v_cmp_nlt_f32_e64 s[10:11], s21, v5
	v_mul_f32_e32 v5, 0x3fb8aa3b, v6
	v_fma_f32 v15, v6, s2, -v5
	v_rndne_f32_e32 v28, v5
	v_fmac_f32_e32 v15, 0x32a5705f, v6
	v_sub_f32_e32 v5, v5, v28
	v_add_f32_e32 v5, v5, v15
	v_exp_f32_e32 v15, v5
	v_cvt_i32_f32_e32 v28, v28
	v_cndmask_b32_e64 v13, v25, v13, s[10:11]
	v_add_f32_e32 v14, v13, v4
	v_mov_b32_e32 v5, s3
	v_cndmask_b32_e64 v5, v5, v13, s[14:15]
	v_cndmask_b32_e64 v13, v4, v14, s[14:15]
	v_ldexp_f32 v14, v15, v28
	v_cmp_ngt_f32_e64 s[10:11], s20, v6
	v_sub_f32_e32 v1, v1, v16
	v_sub_f32_e32 v2, v2, v16
	v_cndmask_b32_e64 v14, 0, v14, s[10:11]
	v_cmp_nlt_f32_e64 s[10:11], s21, v6
	v_mul_f32_e32 v6, 0x3fb8aa3b, v7
	v_fma_f32 v28, v7, s2, -v6
	v_rndne_f32_e32 v29, v6
	v_fmac_f32_e32 v28, 0x32a5705f, v7
	v_sub_f32_e32 v6, v6, v29
	v_add_f32_e32 v6, v6, v28
	v_exp_f32_e32 v28, v6
	v_cvt_i32_f32_e32 v29, v29
	v_cndmask_b32_e64 v14, v25, v14, s[10:11]
	v_add_f32_e32 v15, v13, v14
	v_mov_b32_e32 v6, s3
	v_cndmask_b32_e64 v13, v13, v15, s[12:13]
	v_mul_f32_e32 v15, 0x3fb8aa3b, v0
	v_cndmask_b32_e64 v6, v6, v14, s[12:13]
	v_ldexp_f32 v14, v28, v29
	v_fma_f32 v28, v0, s2, -v15
	v_rndne_f32_e32 v29, v15
	v_fmac_f32_e32 v28, 0x32a5705f, v0
	v_sub_f32_e32 v15, v15, v29
	v_add_f32_e32 v15, v15, v28
	v_exp_f32_e32 v15, v15
	v_cvt_i32_f32_e32 v28, v29
	v_cmp_ngt_f32_e64 s[10:11], s20, v7
	v_sub_f32_e32 v3, v3, v16
	s_waitcnt vmcnt(0) lgkmcnt(0)
	ds_write_b128 v24, v[8:11]
	v_cndmask_b32_e64 v14, 0, v14, s[10:11]
	v_cmp_nlt_f32_e64 s[10:11], s21, v7
	v_mov_b32_e32 v7, s3
	s_nop 0
	v_cndmask_b32_e64 v29, v25, v14, s[10:11]
	v_ldexp_f32 v14, v15, v28
	v_cmp_ngt_f32_e64 s[10:11], s20, v0
	v_cndmask_b32_e64 v15, v26, v19, s[8:9]
	v_cndmask_b32_e64 v7, v7, v29, s[6:7]
	;; [unrolled: 1-line block ×4, first 2 shown]
	flat_load_dwordx4 v[8:11], v[14:15]
	v_mul_f32_e32 v14, 0x3fb8aa3b, v1
	v_fma_f32 v15, v1, s2, -v14
	v_rndne_f32_e32 v18, v14
	v_fmac_f32_e32 v15, 0x32a5705f, v1
	v_sub_f32_e32 v14, v14, v18
	v_add_f32_e32 v14, v14, v15
	v_exp_f32_e32 v14, v14
	v_cvt_i32_f32_e32 v15, v18
	v_cmp_nlt_f32_e64 s[8:9], s21, v0
	v_mov_b32_e32 v0, s3
	v_ldexp_f32 v14, v14, v15
	v_mul_f32_e32 v15, 0x3fb8aa3b, v2
	v_fma_f32 v19, v2, s2, -v15
	v_rndne_f32_e32 v24, v15
	v_fmac_f32_e32 v19, 0x32a5705f, v2
	v_sub_f32_e32 v15, v15, v24
	v_add_f32_e32 v15, v15, v19
	v_exp_f32_e32 v15, v15
	v_cvt_i32_f32_e32 v19, v24
	v_cndmask_b32_e64 v18, v25, v28, s[8:9]
	v_cmp_ngt_f32_e64 s[8:9], s20, v1
	v_cndmask_b32_e64 v0, v0, v18, s[4:5]
	s_waitcnt vmcnt(0) lgkmcnt(0)
	ds_write_b128 v20, v[8:11]
	v_cndmask_b32_e64 v14, 0, v14, s[8:9]
	v_cmp_nlt_f32_e64 s[8:9], s21, v1
	s_waitcnt lgkmcnt(0)
	s_barrier
	v_cndmask_b32_e64 v26, v25, v14, s[8:9]
	v_ldexp_f32 v14, v15, v19
	v_cmp_ngt_f32_e64 s[8:9], s20, v2
	v_mov_b32_e32 v1, s3
	s_nop 0
	v_cndmask_b32_e64 v14, 0, v14, s[8:9]
	v_cmp_nlt_f32_e64 s[8:9], s21, v2
	v_mov_b32_e32 v2, s3
	v_cndmask_b32_e64 v1, v1, v26, s[18:19]
	v_cndmask_b32_e64 v27, v25, v14, s[8:9]
	v_mul_f32_e32 v14, 0x3fb8aa3b, v3
	v_fma_f32 v15, v3, s2, -v14
	v_rndne_f32_e32 v19, v14
	v_fmac_f32_e32 v15, 0x32a5705f, v3
	v_sub_f32_e32 v14, v14, v19
	v_add_f32_e32 v14, v14, v15
	v_cvt_i32_f32_e32 v15, v19
	v_sub_f32_e32 v19, v21, v16
	v_mul_f32_e32 v21, 0x3fb8aa3b, v19
	v_fma_f32 v24, v19, s2, -v21
	v_rndne_f32_e32 v28, v21
	v_fmac_f32_e32 v24, 0x32a5705f, v19
	v_sub_f32_e32 v21, v21, v28
	v_exp_f32_e32 v14, v14
	v_add_f32_e32 v21, v21, v24
	v_exp_f32_e32 v21, v21
	v_cvt_i32_f32_e32 v24, v28
	v_ldexp_f32 v14, v14, v15
	v_cmp_ngt_f32_e64 s[8:9], s20, v3
	s_mov_b32 s2, 0xc1a00000
	v_ldexp_f32 v15, v21, v24
	v_cndmask_b32_e64 v14, 0, v14, s[8:9]
	v_cmp_ngt_f32_e64 s[8:9], s20, v19
	v_or_b32_e32 v24, 2, v60
	v_mul_u32_u24_e32 v24, 0x90, v24
	v_cndmask_b32_e64 v15, 0, v15, s[8:9]
	v_cmp_nlt_f32_e64 s[8:9], s21, v19
	v_cndmask_b32_e64 v2, v2, v27, s[0:1]
	s_nop 0
	v_cndmask_b32_e64 v15, v25, v15, s[8:9]
	v_cmp_le_f32_e64 s[8:9], s2, v19
	s_movk_i32 s2, 0x120
	v_mad_u32_u24 v8, v57, s2, 0
	v_cndmask_b32_e64 v28, 0, v15, s[8:9]
	v_cvt_f16_f32_e32 v15, v28
	v_cmp_nlt_f32_e64 s[8:9], s21, v3
	v_add3_u32 v11, v8, v24, v59
	s_mov_b32 s2, 0x5040100
	v_cndmask_b32_e64 v30, v25, v14, s[8:9]
	v_mul_u32_u24_e32 v21, 0x10001, v15
	v_and_b32_e32 v15, 0xfc, v60
	v_or_b32_e32 v25, 3, v60
	v_pk_mul_f16 v14, v66, v21
	v_mul_u32_u24_e32 v15, 0x90, v15
	v_mul_u32_u24_e32 v25, 0x90, v25
	v_add3_u32 v20, v8, v15, v59
	v_add3_u32 v15, v8, v25, v59
	v_cvt_f32_f16_e32 v8, v14
	v_cvt_f32_f16_sdwa v9, v14 dst_sel:DWORD dst_unused:UNUSED_PAD src0_sel:WORD_1
	ds_read_u16 v14, v11
	ds_read_u16 v31, v11 offset:32
	ds_read_u16 v32, v11 offset:4608
	ds_read_u16 v33, v11 offset:4640
	ds_read_u16 v34, v11 offset:64
	ds_read_u16 v35, v11 offset:4672
	ds_read_u16 v36, v11 offset:4704
	ds_read_u16 v37, v11 offset:96
	ds_read_u16 v11, v15
	ds_read_u16 v38, v15 offset:32
	ds_read_u16 v39, v15 offset:4608
	;; [unrolled: 1-line block ×7, first 2 shown]
	s_waitcnt lgkmcnt(7)
	v_perm_b32 v15, v11, v14, s2
	ds_read_u16 v11, v20 offset:144
	ds_read_u16 v14, v20
	ds_read_u16 v45, v20 offset:32
	ds_read_u16 v46, v20 offset:176
	;; [unrolled: 1-line block ×6, first 2 shown]
	v_pk_mul_f16 v19, v65, v21
	s_waitcnt lgkmcnt(6)
	v_perm_b32 v14, v11, v14, s2
	v_cvt_f32_f16_e32 v10, v19
	v_cvt_f32_f16_sdwa v11, v19 dst_sel:DWORD dst_unused:UNUSED_PAD src0_sel:WORD_1
	v_cvt_pk_f16_f32 v25, v6, v7
	v_cvt_pk_f16_f32 v24, v4, v5
	v_mov_b32_e32 v3, s3
	v_cndmask_b32_e32 v3, v3, v30, vcc
	v_mfma_f32_16x16x16_f16 v[4:7], v[14:15], v[24:25], v[8:11]
	v_cvt_pk_f16_f32 v15, v2, v3
	v_cvt_pk_f16_f32 v14, v0, v1
	v_pk_mul_f16 v19, v64, v21
	v_perm_b32 v9, v39, v32, s2
	ds_read_u16 v8, v20 offset:4608
	ds_read_u16 v10, v20 offset:4752
	;; [unrolled: 1-line block ×8, first 2 shown]
	v_cvt_f16_f32_e32 v4, v4
	v_cvt_f16_f32_e32 v5, v5
	;; [unrolled: 1-line block ×4, first 2 shown]
	s_waitcnt lgkmcnt(6)
	v_perm_b32 v8, v10, v8, s2
	v_cvt_f32_f16_e32 v4, v4
	v_cvt_f32_f16_e32 v5, v5
	;; [unrolled: 1-line block ×4, first 2 shown]
	v_pk_mul_f16 v10, v63, v21
	s_waitcnt lgkmcnt(0)
	v_mfma_f32_16x16x16_f16 v[0:3], v[8:9], v[14:15], v[4:7]
	v_perm_b32 v9, v38, v31, s2
	v_perm_b32 v8, v46, v45, s2
	s_nop 0
	v_cvt_f32_f16_e32 v4, v19
	v_cvt_f32_f16_sdwa v5, v19 dst_sel:DWORD dst_unused:UNUSED_PAD src0_sel:WORD_1
	v_cvt_f32_f16_e32 v6, v10
	v_cvt_f32_f16_sdwa v7, v10 dst_sel:DWORD dst_unused:UNUSED_PAD src0_sel:WORD_1
	v_add_f32_e32 v10, v13, v29
	v_cndmask_b32_e64 v10, v13, v10, s[6:7]
	v_mfma_f32_16x16x16_f16 v[4:7], v[8:9], v[24:25], v[4:7]
	v_perm_b32 v9, v40, v33, s2
	v_perm_b32 v8, v32, v11, s2
	v_add_f32_e32 v13, v18, v10
	v_cndmask_b32_e64 v13, v10, v13, s[4:5]
	s_nop 3
	v_cvt_f16_f32_e32 v4, v4
	v_cvt_f16_f32_e32 v5, v5
	;; [unrolled: 1-line block ×4, first 2 shown]
	v_cvt_f32_f16_e32 v4, v4
	v_cvt_f32_f16_e32 v5, v5
	;; [unrolled: 1-line block ×4, first 2 shown]
	v_pk_mul_f16 v10, v62, v21
	v_pk_mul_f16 v11, v61, v21
	v_perm_b32 v19, v41, v34, s2
	v_perm_b32 v18, v48, v47, s2
	v_mfma_f32_16x16x16_f16 v[4:7], v[8:9], v[14:15], v[4:7]
	v_cvt_f32_f16_e32 v8, v10
	v_cvt_f32_f16_sdwa v9, v10 dst_sel:DWORD dst_unused:UNUSED_PAD src0_sel:WORD_1
	v_cvt_f32_f16_e32 v10, v11
	v_cvt_f32_f16_sdwa v11, v11 dst_sel:DWORD dst_unused:UNUSED_PAD src0_sel:WORD_1
	v_add_f32_e32 v20, v26, v13
	v_cndmask_b32_e64 v13, v13, v20, s[18:19]
	v_mfma_f32_16x16x16_f16 v[8:11], v[18:19], v[24:25], v[8:11]
	v_perm_b32 v19, v42, v35, s2
	v_perm_b32 v18, v51, v39, s2
	v_add_f32_e32 v20, v27, v13
	v_cndmask_b32_e64 v13, v13, v20, s[0:1]
	s_nop 3
	v_cvt_f16_f32_e32 v8, v8
	v_cvt_f16_f32_e32 v9, v9
	;; [unrolled: 1-line block ×4, first 2 shown]
	v_cvt_f32_f16_e32 v8, v8
	v_cvt_f32_f16_e32 v9, v9
	;; [unrolled: 1-line block ×4, first 2 shown]
	v_pk_mul_f16 v20, v58, v21
	v_pk_mul_f16 v21, v56, v21
	v_perm_b32 v27, v44, v37, s2
	v_perm_b32 v26, v49, v50, s2
	v_mfma_f32_16x16x16_f16 v[8:11], v[18:19], v[14:15], v[8:11]
	v_cvt_f32_f16_e32 v18, v20
	v_cvt_f32_f16_sdwa v19, v20 dst_sel:DWORD dst_unused:UNUSED_PAD src0_sel:WORD_1
	v_cvt_f32_f16_e32 v20, v21
	v_cvt_f32_f16_sdwa v21, v21 dst_sel:DWORD dst_unused:UNUSED_PAD src0_sel:WORD_1
	v_add_f32_e32 v29, v30, v13
	v_cndmask_b32_e32 v29, v13, v29, vcc
	v_mfma_f32_16x16x16_f16 v[18:21], v[26:27], v[24:25], v[18:21]
	v_fmac_f32_e32 v29, v72, v28
	v_perm_b32 v25, v43, v36, s2
	v_perm_b32 v24, v57, v59, s2
	ds_bpermute_b32 v26, v12, v29
	s_nop 3
	v_cvt_f16_f32_e32 v13, v18
	v_cvt_f16_f32_e32 v19, v19
	;; [unrolled: 1-line block ×4, first 2 shown]
	v_cvt_f32_f16_e32 v18, v13
	v_cvt_f32_f16_e32 v19, v19
	;; [unrolled: 1-line block ×4, first 2 shown]
	s_movk_i32 s4, 0x90
	v_cmp_gt_u32_e64 s[0:1], 16, v53
	v_mfma_f32_16x16x16_f16 v[12:15], v[24:25], v[14:15], v[18:21]
	s_barrier
	s_waitcnt lgkmcnt(0)
	s_nop 0
	v_add_f32_e32 v18, v29, v26
	ds_bpermute_b32 v19, v17, v18
	s_and_saveexec_b64 s[2:3], s[0:1]
	s_cbranch_execz .LBB0_263
; %bb.262:
	s_waitcnt lgkmcnt(0)
	v_add_f32_e32 v18, v18, v19
	v_or_b32_e32 v19, v85, v53
	v_mad_u32_u24 v19, v19, s4, 0
	ds_write2_b32 v19, v16, v18 offset0:32 offset1:33
.LBB0_263:
	s_or_b64 exec, exec, s[2:3]
	v_and_b32_e32 v16, 1, v23
	v_cmp_eq_u32_e32 vcc, 0, v16
	v_cmp_eq_u32_e64 s[4:5], 1, v16
	s_waitcnt lgkmcnt(0)
	s_barrier
	s_and_saveexec_b64 s[2:3], s[4:5]
	s_xor_b64 s[2:3], exec, s[2:3]
	s_cbranch_execz .LBB0_265
; %bb.264:
	s_barrier
                                        ; implicit-def: $vgpr86
                                        ; implicit-def: $vgpr53
                                        ; implicit-def: $vgpr17
.LBB0_265:
	s_andn2_saveexec_b64 s[2:3], s[2:3]
	s_cbranch_execz .LBB0_271
; %bb.266:
	v_or_b32_e32 v20, v85, v22
	s_movk_i32 s4, 0x90
	v_mad_u32_u24 v16, v20, s4, 0
	ds_read_b64 v[24:25], v16 offset:128
	s_mov_b32 s4, 0x3fb8aa3b
	s_mov_b32 s6, 0x42b17218
	s_waitcnt lgkmcnt(0)
	s_barrier
	ds_bpermute_b32 v16, v17, v24
	v_max_f32_e32 v18, v24, v24
	s_waitcnt lgkmcnt(0)
	v_max_f32_e32 v16, v16, v16
	v_max_f32_e32 v16, v18, v16
	v_sub_f32_e32 v18, v24, v16
	v_mul_f32_e32 v19, 0x3fb8aa3b, v18
	v_fma_f32 v21, v18, s4, -v19
	v_rndne_f32_e32 v24, v19
	v_fmamk_f32 v21, v18, 0x32a5705f, v21
	v_sub_f32_e32 v19, v19, v24
	v_add_f32_e32 v19, v19, v21
	v_cvt_i32_f32_e32 v24, v24
	v_exp_f32_e32 v19, v19
	s_mov_b32 s4, 0xc2ce8ed0
	v_cmp_ngt_f32_e64 s[4:5], s4, v18
	v_mov_b32_e32 v21, 0x7f800000
	v_ldexp_f32 v19, v19, v24
	v_cndmask_b32_e64 v19, 0, v19, s[4:5]
	v_cmp_nlt_f32_e64 s[4:5], s6, v18
	s_nop 1
	v_cndmask_b32_e64 v18, v21, v19, s[4:5]
	v_mul_f32_e32 v19, v25, v18
	ds_bpermute_b32 v19, v17, v19
	v_cmp_gt_u32_e64 s[4:5], 32, v53
	s_waitcnt lgkmcnt(0)
	v_fmac_f32_e32 v19, v25, v18
	s_and_saveexec_b64 s[6:7], s[4:5]
; %bb.267:
	v_mul_u32_u24_e32 v17, 0x90, v20
	v_add_u32_e32 v17, 0, v17
	ds_write_b64 v17, v[18:19] offset:128
; %bb.268:
	s_or_b64 exec, exec, s[6:7]
	s_and_saveexec_b64 s[4:5], s[0:1]
	s_cbranch_execz .LBB0_270
; %bb.269:
	s_add_i32 s0, s49, s52
	s_lshl_b32 s0, s0, 5
	s_mov_b32 s1, 0
	s_lshl_b64 s[0:1], s[0:1], 3
	s_add_u32 s0, s70, s0
	v_or_b32_e32 v17, v86, v53
	s_addc_u32 s1, s71, s1
	v_lshlrev_b32_e32 v18, 3, v17
	v_mov_b32_e32 v17, v19
	global_store_dwordx2 v18, v[16:17], s[0:1]
.LBB0_270:
	s_or_b64 exec, exec, s[4:5]
.LBB0_271:
	s_or_b64 exec, exec, s[2:3]
	v_cvt_pk_f16_f32 v2, v2, v3
	v_cvt_pk_f16_f32 v3, v4, v5
	;; [unrolled: 1-line block ×3, first 2 shown]
	v_or_b32_e32 v8, v85, v54
	v_mul_u32_u24_e32 v8, 0x90, v8
	v_cvt_pk_f16_f32 v0, v0, v1
	s_movk_i32 s4, 0x90
	s_mov_b32 s3, 0
	v_add3_u32 v8, 0, v8, v55
	v_cvt_pk_f16_f32 v1, v6, v7
	v_cvt_pk_f16_f32 v4, v10, v11
	;; [unrolled: 1-line block ×4, first 2 shown]
	ds_write2_b32 v8, v0, v2 offset1:1
	ds_write2_b32 v8, v3, v1 offset0:8 offset1:9
	ds_write2_b32 v8, v5, v4 offset0:16 offset1:17
	;; [unrolled: 1-line block ×3, first 2 shown]
	s_waitcnt lgkmcnt(0)
	s_barrier
	s_and_saveexec_b64 s[0:1], vcc
	s_cbranch_execz .LBB0_273
; %bb.272:
	s_lshl_b32 s2, s52, 10
	s_lshl_b64 s[6:7], s[2:3], 3
	s_add_u32 s5, s70, s6
	s_addc_u32 s6, s71, s7
	s_lshl_b32 s2, s49, 6
	s_lshl_b64 s[2:3], s[2:3], 3
	v_add_u32_e32 v6, v84, v23
	s_add_u32 s2, s5, s2
	v_lshlrev_b32_e32 v0, 1, v6
	v_and_b32_e32 v7, 15, v6
	s_movk_i32 s5, 0xfe0
	v_and_or_b32 v2, v0, s5, v7
	v_mad_u32_u24 v0, v2, s4, v52
	ds_read2st64_b32 v[0:1], v0 offset1:9
	v_mad_u32_u24 v2, v2, s4, 0
	v_add_u32_e32 v2, 0x80, v2
	ds_read2st64_b32 v[2:3], v2 offset1:9
	v_add_u32_e32 v10, 4, v6
	s_waitcnt lgkmcnt(1)
	v_cvt_f32_f16_e32 v4, v0
	v_cvt_f32_f16_sdwa v5, v0 dst_sel:DWORD dst_unused:UNUSED_PAD src0_sel:WORD_1
	v_cvt_f32_f16_e32 v0, v1
	v_cvt_f32_f16_sdwa v1, v1 dst_sel:DWORD dst_unused:UNUSED_PAD src0_sel:WORD_1
	s_movk_i32 s5, 0x1fe0
	s_waitcnt lgkmcnt(0)
	v_pk_fma_f32 v[4:5], v[2:3], v[4:5], 0 op_sel_hi:[0,1,0]
	v_mov_b32_e32 v2, v3
	v_pk_fma_f32 v[0:1], v[2:3], v[0:1], v[4:5] op_sel_hi:[0,1,1]
	v_lshlrev_b32_e32 v2, 1, v10
	v_and_b32_e32 v3, 15, v10
	v_and_or_b32 v4, v2, s5, v3
	v_mad_u32_u24 v2, v4, s4, v52
	v_lshlrev_b32_e32 v8, 3, v22
	ds_read2st64_b32 v[2:3], v2 offset1:9
	s_addc_u32 s3, s6, s3
	v_lshl_or_b32 v9, v6, 8, v8
	global_store_dwordx2 v9, v[0:1], s[2:3]
	v_mad_u32_u24 v0, v4, s4, 0
	v_add_u32_e32 v0, 0x80, v0
	ds_read2st64_b32 v[0:1], v0 offset1:9
	s_waitcnt lgkmcnt(1)
	v_cvt_f32_f16_e32 v4, v2
	v_cvt_f32_f16_sdwa v5, v2 dst_sel:DWORD dst_unused:UNUSED_PAD src0_sel:WORD_1
	v_cvt_f32_f16_e32 v2, v3
	v_cvt_f32_f16_sdwa v3, v3 dst_sel:DWORD dst_unused:UNUSED_PAD src0_sel:WORD_1
	v_lshl_or_b32 v9, v10, 8, v8
	s_waitcnt lgkmcnt(0)
	v_pk_fma_f32 v[4:5], v[0:1], v[4:5], 0 op_sel_hi:[0,1,0]
	v_mov_b32_e32 v0, v1
	v_add_u32_e32 v10, 8, v6
	v_pk_fma_f32 v[0:1], v[0:1], v[2:3], v[4:5] op_sel_hi:[0,1,1]
	v_lshlrev_b32_e32 v2, 1, v10
	v_and_b32_e32 v3, 15, v10
	v_and_or_b32 v4, v2, s5, v3
	v_mad_u32_u24 v2, v4, s4, v52
	ds_read2st64_b32 v[2:3], v2 offset1:9
	global_store_dwordx2 v9, v[0:1], s[2:3]
	v_mad_u32_u24 v0, v4, s4, 0
	v_add_u32_e32 v0, 0x80, v0
	ds_read2st64_b32 v[0:1], v0 offset1:9
	s_waitcnt lgkmcnt(1)
	v_cvt_f32_f16_e32 v4, v2
	v_cvt_f32_f16_sdwa v5, v2 dst_sel:DWORD dst_unused:UNUSED_PAD src0_sel:WORD_1
	v_cvt_f32_f16_e32 v2, v3
	v_cvt_f32_f16_sdwa v3, v3 dst_sel:DWORD dst_unused:UNUSED_PAD src0_sel:WORD_1
	v_lshl_or_b32 v9, v10, 8, v8
	s_waitcnt lgkmcnt(0)
	v_pk_fma_f32 v[4:5], v[0:1], v[4:5], 0 op_sel_hi:[0,1,0]
	v_mov_b32_e32 v0, v1
	v_add_u32_e32 v10, 12, v6
	v_pk_fma_f32 v[0:1], v[0:1], v[2:3], v[4:5] op_sel_hi:[0,1,1]
	v_lshlrev_b32_e32 v2, 1, v10
	v_and_b32_e32 v3, 15, v10
	v_and_or_b32 v4, v2, s5, v3
	v_mad_u32_u24 v2, v4, s4, v52
	ds_read2st64_b32 v[2:3], v2 offset1:9
	global_store_dwordx2 v9, v[0:1], s[2:3]
	v_mad_u32_u24 v0, v4, s4, 0
	v_add_u32_e32 v0, 0x80, v0
	ds_read2st64_b32 v[0:1], v0 offset1:9
	s_waitcnt lgkmcnt(1)
	v_cvt_f32_f16_e32 v4, v2
	v_cvt_f32_f16_sdwa v5, v2 dst_sel:DWORD dst_unused:UNUSED_PAD src0_sel:WORD_1
	v_cvt_f32_f16_e32 v2, v3
	v_cvt_f32_f16_sdwa v3, v3 dst_sel:DWORD dst_unused:UNUSED_PAD src0_sel:WORD_1
	v_lshl_or_b32 v9, v10, 8, v8
	s_waitcnt lgkmcnt(0)
	v_pk_fma_f32 v[4:5], v[0:1], v[4:5], 0 op_sel_hi:[0,1,0]
	v_mov_b32_e32 v0, v1
	v_add_u32_e32 v10, 16, v6
	v_pk_fma_f32 v[0:1], v[0:1], v[2:3], v[4:5] op_sel_hi:[0,1,1]
	v_lshlrev_b32_e32 v2, 1, v10
	v_and_or_b32 v4, v2, s5, v7
	v_mad_u32_u24 v2, v4, s4, v52
	ds_read2st64_b32 v[2:3], v2 offset1:9
	global_store_dwordx2 v9, v[0:1], s[2:3]
	v_mad_u32_u24 v0, v4, s4, 0
	v_add_u32_e32 v0, 0x80, v0
	ds_read2st64_b32 v[0:1], v0 offset1:9
	s_waitcnt lgkmcnt(1)
	v_cvt_f32_f16_e32 v4, v2
	v_cvt_f32_f16_sdwa v5, v2 dst_sel:DWORD dst_unused:UNUSED_PAD src0_sel:WORD_1
	v_cvt_f32_f16_e32 v2, v3
	v_cvt_f32_f16_sdwa v3, v3 dst_sel:DWORD dst_unused:UNUSED_PAD src0_sel:WORD_1
	v_add_u32_e32 v9, 20, v6
	s_waitcnt lgkmcnt(0)
	v_pk_fma_f32 v[4:5], v[0:1], v[4:5], 0 op_sel_hi:[0,1,0]
	v_mov_b32_e32 v0, v1
	v_pk_fma_f32 v[0:1], v[0:1], v[2:3], v[4:5] op_sel_hi:[0,1,1]
	v_lshlrev_b32_e32 v2, 1, v9
	v_and_b32_e32 v3, 15, v9
	v_and_or_b32 v4, v2, s5, v3
	v_mad_u32_u24 v2, v4, s4, v52
	ds_read2st64_b32 v[2:3], v2 offset1:9
	v_lshl_or_b32 v7, v10, 8, v8
	global_store_dwordx2 v7, v[0:1], s[2:3]
	v_mad_u32_u24 v0, v4, s4, 0
	v_add_u32_e32 v0, 0x80, v0
	ds_read2st64_b32 v[0:1], v0 offset1:9
	s_waitcnt lgkmcnt(1)
	v_cvt_f32_f16_e32 v4, v2
	v_cvt_f32_f16_sdwa v5, v2 dst_sel:DWORD dst_unused:UNUSED_PAD src0_sel:WORD_1
	v_cvt_f32_f16_e32 v2, v3
	v_cvt_f32_f16_sdwa v3, v3 dst_sel:DWORD dst_unused:UNUSED_PAD src0_sel:WORD_1
	v_lshl_or_b32 v7, v9, 8, v8
	s_waitcnt lgkmcnt(0)
	v_pk_fma_f32 v[4:5], v[0:1], v[4:5], 0 op_sel_hi:[0,1,0]
	v_mov_b32_e32 v0, v1
	v_add_u32_e32 v9, 24, v6
	v_pk_fma_f32 v[0:1], v[0:1], v[2:3], v[4:5] op_sel_hi:[0,1,1]
	v_lshlrev_b32_e32 v2, 1, v9
	v_and_b32_e32 v3, 15, v9
	v_and_or_b32 v4, v2, s5, v3
	v_mad_u32_u24 v2, v4, s4, v52
	ds_read2st64_b32 v[2:3], v2 offset1:9
	global_store_dwordx2 v7, v[0:1], s[2:3]
	v_mad_u32_u24 v0, v4, s4, 0
	v_add_u32_e32 v0, 0x80, v0
	ds_read2st64_b32 v[0:1], v0 offset1:9
	s_waitcnt lgkmcnt(1)
	v_cvt_f32_f16_e32 v4, v2
	v_cvt_f32_f16_sdwa v5, v2 dst_sel:DWORD dst_unused:UNUSED_PAD src0_sel:WORD_1
	v_cvt_f32_f16_e32 v2, v3
	v_cvt_f32_f16_sdwa v3, v3 dst_sel:DWORD dst_unused:UNUSED_PAD src0_sel:WORD_1
	v_add_u32_e32 v6, 28, v6
	s_waitcnt lgkmcnt(0)
	v_pk_fma_f32 v[4:5], v[0:1], v[4:5], 0 op_sel_hi:[0,1,0]
	v_mov_b32_e32 v0, v1
	v_pk_fma_f32 v[0:1], v[0:1], v[2:3], v[4:5] op_sel_hi:[0,1,1]
	v_lshlrev_b32_e32 v2, 1, v6
	v_and_b32_e32 v3, 15, v6
	v_and_or_b32 v4, v2, s5, v3
	v_mad_u32_u24 v2, v4, s4, v52
	ds_read2st64_b32 v[2:3], v2 offset1:9
	v_lshl_or_b32 v7, v9, 8, v8
	global_store_dwordx2 v7, v[0:1], s[2:3]
	v_mad_u32_u24 v0, v4, s4, 0
	v_add_u32_e32 v0, 0x80, v0
	ds_read2st64_b32 v[0:1], v0 offset1:9
	s_waitcnt lgkmcnt(1)
	v_cvt_f32_f16_e32 v4, v2
	v_cvt_f32_f16_sdwa v5, v2 dst_sel:DWORD dst_unused:UNUSED_PAD src0_sel:WORD_1
	v_cvt_f32_f16_e32 v2, v3
	v_cvt_f32_f16_sdwa v3, v3 dst_sel:DWORD dst_unused:UNUSED_PAD src0_sel:WORD_1
	v_lshl_or_b32 v6, v6, 8, v8
	s_waitcnt lgkmcnt(0)
	v_pk_fma_f32 v[4:5], v[0:1], v[4:5], 0 op_sel_hi:[0,1,0]
	v_mov_b32_e32 v0, v1
	v_pk_fma_f32 v[0:1], v[0:1], v[2:3], v[4:5] op_sel_hi:[0,1,1]
	global_store_dwordx2 v6, v[0:1], s[2:3]
.LBB0_273:
	s_or_b64 exec, exec, s[0:1]
	s_barrier
	s_endpgm
.LBB0_274:
                                        ; implicit-def: $vgpr4_vgpr5_vgpr6_vgpr7
                                        ; implicit-def: $vgpr0_vgpr1_vgpr2_vgpr3
                                        ; implicit-def: $vgpr25
                                        ; implicit-def: $vgpr19
	v_add_u32_e32 v20, 0x1200, v24
	s_branch .LBB0_260
	.section	.rodata,"a",@progbits
	.p2align	6, 0x0
	.amdhsa_kernel _ZL18flash_attn_ext_f16ILi64ELi64ELi32ELi1ELb0ELb0EEvPKcS1_S1_S1_S1_PKiPfP15HIP_vector_typeIfLj2EEffffjfiS5_IjLj3EEiiiiiiiiiiiliiliiiiil
		.amdhsa_group_segment_fixed_size 0
		.amdhsa_private_segment_fixed_size 32
		.amdhsa_kernarg_size 464
		.amdhsa_user_sgpr_count 2
		.amdhsa_user_sgpr_dispatch_ptr 0
		.amdhsa_user_sgpr_queue_ptr 0
		.amdhsa_user_sgpr_kernarg_segment_ptr 1
		.amdhsa_user_sgpr_dispatch_id 0
		.amdhsa_user_sgpr_kernarg_preload_length 0
		.amdhsa_user_sgpr_kernarg_preload_offset 0
		.amdhsa_user_sgpr_private_segment_size 0
		.amdhsa_uses_dynamic_stack 0
		.amdhsa_enable_private_segment 1
		.amdhsa_system_sgpr_workgroup_id_x 1
		.amdhsa_system_sgpr_workgroup_id_y 0
		.amdhsa_system_sgpr_workgroup_id_z 0
		.amdhsa_system_sgpr_workgroup_info 0
		.amdhsa_system_vgpr_workitem_id 1
		.amdhsa_next_free_vgpr 174
		.amdhsa_next_free_sgpr 100
		.amdhsa_accum_offset 176
		.amdhsa_reserve_vcc 1
		.amdhsa_float_round_mode_32 0
		.amdhsa_float_round_mode_16_64 0
		.amdhsa_float_denorm_mode_32 3
		.amdhsa_float_denorm_mode_16_64 3
		.amdhsa_dx10_clamp 1
		.amdhsa_ieee_mode 1
		.amdhsa_fp16_overflow 0
		.amdhsa_tg_split 0
		.amdhsa_exception_fp_ieee_invalid_op 0
		.amdhsa_exception_fp_denorm_src 0
		.amdhsa_exception_fp_ieee_div_zero 0
		.amdhsa_exception_fp_ieee_overflow 0
		.amdhsa_exception_fp_ieee_underflow 0
		.amdhsa_exception_fp_ieee_inexact 0
		.amdhsa_exception_int_div_zero 0
	.end_amdhsa_kernel
	.section	.text._ZL18flash_attn_ext_f16ILi64ELi64ELi32ELi1ELb0ELb0EEvPKcS1_S1_S1_S1_PKiPfP15HIP_vector_typeIfLj2EEffffjfiS5_IjLj3EEiiiiiiiiiiiliiliiiiil,"axG",@progbits,_ZL18flash_attn_ext_f16ILi64ELi64ELi32ELi1ELb0ELb0EEvPKcS1_S1_S1_S1_PKiPfP15HIP_vector_typeIfLj2EEffffjfiS5_IjLj3EEiiiiiiiiiiiliiliiiiil,comdat
.Lfunc_end0:
	.size	_ZL18flash_attn_ext_f16ILi64ELi64ELi32ELi1ELb0ELb0EEvPKcS1_S1_S1_S1_PKiPfP15HIP_vector_typeIfLj2EEffffjfiS5_IjLj3EEiiiiiiiiiiiliiliiiiil, .Lfunc_end0-_ZL18flash_attn_ext_f16ILi64ELi64ELi32ELi1ELb0ELb0EEvPKcS1_S1_S1_S1_PKiPfP15HIP_vector_typeIfLj2EEffffjfiS5_IjLj3EEiiiiiiiiiiiliiliiiiil
                                        ; -- End function
	.set _ZL18flash_attn_ext_f16ILi64ELi64ELi32ELi1ELb0ELb0EEvPKcS1_S1_S1_S1_PKiPfP15HIP_vector_typeIfLj2EEffffjfiS5_IjLj3EEiiiiiiiiiiiliiliiiiil.num_vgpr, 174
	.set _ZL18flash_attn_ext_f16ILi64ELi64ELi32ELi1ELb0ELb0EEvPKcS1_S1_S1_S1_PKiPfP15HIP_vector_typeIfLj2EEffffjfiS5_IjLj3EEiiiiiiiiiiiliiliiiiil.num_agpr, 0
	.set _ZL18flash_attn_ext_f16ILi64ELi64ELi32ELi1ELb0ELb0EEvPKcS1_S1_S1_S1_PKiPfP15HIP_vector_typeIfLj2EEffffjfiS5_IjLj3EEiiiiiiiiiiiliiliiiiil.numbered_sgpr, 100
	.set _ZL18flash_attn_ext_f16ILi64ELi64ELi32ELi1ELb0ELb0EEvPKcS1_S1_S1_S1_PKiPfP15HIP_vector_typeIfLj2EEffffjfiS5_IjLj3EEiiiiiiiiiiiliiliiiiil.num_named_barrier, 0
	.set _ZL18flash_attn_ext_f16ILi64ELi64ELi32ELi1ELb0ELb0EEvPKcS1_S1_S1_S1_PKiPfP15HIP_vector_typeIfLj2EEffffjfiS5_IjLj3EEiiiiiiiiiiiliiliiiiil.private_seg_size, 32
	.set _ZL18flash_attn_ext_f16ILi64ELi64ELi32ELi1ELb0ELb0EEvPKcS1_S1_S1_S1_PKiPfP15HIP_vector_typeIfLj2EEffffjfiS5_IjLj3EEiiiiiiiiiiiliiliiiiil.uses_vcc, 1
	.set _ZL18flash_attn_ext_f16ILi64ELi64ELi32ELi1ELb0ELb0EEvPKcS1_S1_S1_S1_PKiPfP15HIP_vector_typeIfLj2EEffffjfiS5_IjLj3EEiiiiiiiiiiiliiliiiiil.uses_flat_scratch, 0
	.set _ZL18flash_attn_ext_f16ILi64ELi64ELi32ELi1ELb0ELb0EEvPKcS1_S1_S1_S1_PKiPfP15HIP_vector_typeIfLj2EEffffjfiS5_IjLj3EEiiiiiiiiiiiliiliiiiil.has_dyn_sized_stack, 0
	.set _ZL18flash_attn_ext_f16ILi64ELi64ELi32ELi1ELb0ELb0EEvPKcS1_S1_S1_S1_PKiPfP15HIP_vector_typeIfLj2EEffffjfiS5_IjLj3EEiiiiiiiiiiiliiliiiiil.has_recursion, 0
	.set _ZL18flash_attn_ext_f16ILi64ELi64ELi32ELi1ELb0ELb0EEvPKcS1_S1_S1_S1_PKiPfP15HIP_vector_typeIfLj2EEffffjfiS5_IjLj3EEiiiiiiiiiiiliiliiiiil.has_indirect_call, 0
	.section	.AMDGPU.csdata,"",@progbits
; Kernel info:
; codeLenInByte = 39664
; TotalNumSgprs: 106
; NumVgprs: 174
; NumAgprs: 0
; TotalNumVgprs: 174
; ScratchSize: 32
; MemoryBound: 0
; FloatMode: 240
; IeeeMode: 1
; LDSByteSize: 0 bytes/workgroup (compile time only)
; SGPRBlocks: 13
; VGPRBlocks: 21
; NumSGPRsForWavesPerEU: 106
; NumVGPRsForWavesPerEU: 174
; AccumOffset: 176
; Occupancy: 2
; WaveLimiterHint : 0
; COMPUTE_PGM_RSRC2:SCRATCH_EN: 1
; COMPUTE_PGM_RSRC2:USER_SGPR: 2
; COMPUTE_PGM_RSRC2:TRAP_HANDLER: 0
; COMPUTE_PGM_RSRC2:TGID_X_EN: 1
; COMPUTE_PGM_RSRC2:TGID_Y_EN: 0
; COMPUTE_PGM_RSRC2:TGID_Z_EN: 0
; COMPUTE_PGM_RSRC2:TIDIG_COMP_CNT: 1
; COMPUTE_PGM_RSRC3_GFX90A:ACCUM_OFFSET: 43
; COMPUTE_PGM_RSRC3_GFX90A:TG_SPLIT: 0
	.text
	.p2align	2                               ; -- Begin function __ockl_printf_append_string_n
	.type	__ockl_printf_append_string_n,@function
__ockl_printf_append_string_n:          ; @__ockl_printf_append_string_n
; %bb.0:
	s_waitcnt vmcnt(0) expcnt(0) lgkmcnt(0)
	s_getpc_b64 s[0:1]
	s_add_u32 s0, s0, __FUNCTION__._ZL18flash_attn_ext_f16ILi64ELi64ELi32ELi1ELb1ELb0EEvPKcS1_S1_S1_S1_PKiPfP15HIP_vector_typeIfLj2EEffffjfiS5_IjLj3EEiiiiiiiiiiiliiliiiiil@rel32@lo+4
	s_addc_u32 s1, s1, __FUNCTION__._ZL18flash_attn_ext_f16ILi64ELi64ELi32ELi1ELb1ELb0EEvPKcS1_S1_S1_S1_PKiPfP15HIP_vector_typeIfLj2EEffffjfiS5_IjLj3EEiiiiiiiiiiiliiliiiiil@rel32@hi+12
	v_mov_b32_e32 v2, v0
	s_mov_b64 s[2:3], 0
	s_cmp_lg_u64 s[0:1], 0
	v_mbcnt_lo_u32_b32 v3, -1, 0
	s_cbranch_scc0 .LBB1_87
; %bb.1:
	s_load_dwordx2 s[4:5], s[8:9], 0x50
	v_and_b32_e32 v0, -3, v2
	s_getpc_b64 s[0:1]
	s_add_u32 s0, s0, __FUNCTION__._ZL18flash_attn_ext_f16ILi64ELi64ELi32ELi1ELb1ELb0EEvPKcS1_S1_S1_S1_PKiPfP15HIP_vector_typeIfLj2EEffffjfiS5_IjLj3EEiiiiiiiiiiiliiliiiiil@rel32@lo+4
	s_addc_u32 s1, s1, __FUNCTION__._ZL18flash_attn_ext_f16ILi64ELi64ELi32ELi1ELb1ELb0EEvPKcS1_S1_S1_S1_PKiPfP15HIP_vector_typeIfLj2EEffffjfiS5_IjLj3EEiiiiiiiiiiiliiliiiiil@rel32@hi+12
	v_and_b32_e32 v30, 2, v2
	s_mov_b32 s16, 0
	v_mov_b32_e32 v33, 0
	v_mbcnt_hi_u32_b32 v34, -1, v3
	v_mov_b64_e32 v[36:37], s[0:1]
	s_movk_i32 s17, 0x1e0
	v_mov_b32_e32 v12, 2
	v_mov_b32_e32 v13, 1
	v_mov_b64_e32 v[6:7], v[0:1]
	s_branch .LBB1_3
.LBB1_2:                                ;   in Loop: Header=BB1_3 Depth=1
	s_or_b64 exec, exec, s[10:11]
	v_sub_co_u32_e32 v4, vcc, v4, v38
	v_lshl_add_u64 v[36:37], v[36:37], 0, v[38:39]
	s_nop 0
	v_subb_co_u32_e32 v5, vcc, v5, v39, vcc
	v_cmp_eq_u64_e32 vcc, 0, v[4:5]
	s_or_b64 s[2:3], vcc, s[2:3]
	s_andn2_b64 exec, exec, s[2:3]
	s_cbranch_execz .LBB1_85
.LBB1_3:                                ; =>This Loop Header: Depth=1
                                        ;     Child Loop BB1_6 Depth 2
                                        ;     Child Loop BB1_14 Depth 2
	;; [unrolled: 1-line block ×11, first 2 shown]
	v_cmp_gt_u64_e32 vcc, 56, v[4:5]
	v_lshl_add_u64 v[16:17], v[36:37], 0, 8
	s_nop 0
	v_cndmask_b32_e32 v39, 0, v5, vcc
	v_cndmask_b32_e32 v38, 56, v4, vcc
	v_cmp_gt_u64_e32 vcc, 8, v[4:5]
	s_and_saveexec_b64 s[0:1], vcc
	s_xor_b64 s[0:1], exec, s[0:1]
	s_cbranch_execz .LBB1_9
; %bb.4:                                ;   in Loop: Header=BB1_3 Depth=1
	v_mov_b64_e32 v[8:9], 0
	v_cmp_ne_u64_e32 vcc, 0, v[4:5]
	s_and_saveexec_b64 s[6:7], vcc
	s_cbranch_execz .LBB1_8
; %bb.5:                                ;   in Loop: Header=BB1_3 Depth=1
	v_lshlrev_b64 v[10:11], 3, v[38:39]
	s_mov_b64 s[10:11], 0
	v_mov_b64_e32 v[8:9], 0
	v_mov_b64_e32 v[14:15], v[36:37]
	s_mov_b64 s[12:13], 0
.LBB1_6:                                ;   Parent Loop BB1_3 Depth=1
                                        ; =>  This Inner Loop Header: Depth=2
	global_load_ubyte v0, v[14:15], off
	v_mov_b32_e32 v17, s16
	v_lshl_add_u64 v[14:15], v[14:15], 0, 1
	s_waitcnt vmcnt(0)
	v_and_b32_e32 v16, 0xffff, v0
	v_lshlrev_b64 v[16:17], s12, v[16:17]
	s_add_u32 s12, s12, 8
	s_addc_u32 s13, s13, 0
	v_cmp_eq_u32_e32 vcc, s12, v10
	v_or_b32_e32 v9, v17, v9
	s_or_b64 s[10:11], vcc, s[10:11]
	v_or_b32_e32 v8, v16, v8
	s_andn2_b64 exec, exec, s[10:11]
	s_cbranch_execnz .LBB1_6
; %bb.7:                                ;   in Loop: Header=BB1_3 Depth=1
	s_or_b64 exec, exec, s[10:11]
.LBB1_8:                                ;   in Loop: Header=BB1_3 Depth=1
	s_or_b64 exec, exec, s[6:7]
	v_mov_b64_e32 v[16:17], v[36:37]
.LBB1_9:                                ;   in Loop: Header=BB1_3 Depth=1
	s_or_saveexec_b64 s[0:1], s[0:1]
	v_mov_b32_e32 v0, 0
	s_xor_b64 exec, exec, s[0:1]
	s_cbranch_execz .LBB1_11
; %bb.10:                               ;   in Loop: Header=BB1_3 Depth=1
	global_load_dwordx2 v[8:9], v[36:37], off
	v_add_u32_e32 v0, -8, v38
.LBB1_11:                               ;   in Loop: Header=BB1_3 Depth=1
	s_or_b64 exec, exec, s[0:1]
	v_cmp_gt_u32_e32 vcc, 8, v0
	v_lshl_add_u64 v[10:11], v[16:17], 0, 8
                                        ; implicit-def: $vgpr14_vgpr15
	s_and_saveexec_b64 s[0:1], vcc
	s_xor_b64 s[0:1], exec, s[0:1]
	s_cbranch_execz .LBB1_17
; %bb.12:                               ;   in Loop: Header=BB1_3 Depth=1
	v_cmp_ne_u32_e32 vcc, 0, v0
	v_mov_b64_e32 v[14:15], 0
	s_and_saveexec_b64 s[6:7], vcc
	s_cbranch_execz .LBB1_16
; %bb.13:                               ;   in Loop: Header=BB1_3 Depth=1
	s_mov_b64 s[10:11], 0
	v_mov_b64_e32 v[14:15], 0
	s_mov_b64 s[12:13], 0
	s_mov_b64 s[14:15], 0
.LBB1_14:                               ;   Parent Loop BB1_3 Depth=1
                                        ; =>  This Inner Loop Header: Depth=2
	v_lshl_add_u64 v[10:11], v[16:17], 0, s[14:15]
	global_load_ubyte v10, v[10:11], off
	s_add_u32 s14, s14, 1
	v_mov_b32_e32 v11, s16
	s_addc_u32 s15, s15, 0
	v_cmp_eq_u32_e32 vcc, s14, v0
	s_waitcnt vmcnt(0)
	v_and_b32_e32 v10, 0xffff, v10
	v_lshlrev_b64 v[10:11], s12, v[10:11]
	s_add_u32 s12, s12, 8
	s_addc_u32 s13, s13, 0
	v_or_b32_e32 v15, v11, v15
	s_or_b64 s[10:11], vcc, s[10:11]
	v_or_b32_e32 v14, v10, v14
	s_andn2_b64 exec, exec, s[10:11]
	s_cbranch_execnz .LBB1_14
; %bb.15:                               ;   in Loop: Header=BB1_3 Depth=1
	s_or_b64 exec, exec, s[10:11]
.LBB1_16:                               ;   in Loop: Header=BB1_3 Depth=1
	s_or_b64 exec, exec, s[6:7]
	v_mov_b64_e32 v[10:11], v[16:17]
                                        ; implicit-def: $vgpr0
.LBB1_17:                               ;   in Loop: Header=BB1_3 Depth=1
	s_or_saveexec_b64 s[0:1], s[0:1]
	v_mov_b32_e32 v18, 0
	s_xor_b64 exec, exec, s[0:1]
	s_cbranch_execz .LBB1_19
; %bb.18:                               ;   in Loop: Header=BB1_3 Depth=1
	global_load_dwordx2 v[14:15], v[16:17], off
	v_add_u32_e32 v18, -8, v0
.LBB1_19:                               ;   in Loop: Header=BB1_3 Depth=1
	s_or_b64 exec, exec, s[0:1]
	v_cmp_gt_u32_e32 vcc, 8, v18
	v_lshl_add_u64 v[20:21], v[10:11], 0, 8
	s_and_saveexec_b64 s[0:1], vcc
	s_xor_b64 s[0:1], exec, s[0:1]
	s_cbranch_execz .LBB1_25
; %bb.20:                               ;   in Loop: Header=BB1_3 Depth=1
	v_cmp_ne_u32_e32 vcc, 0, v18
	v_mov_b64_e32 v[16:17], 0
	s_and_saveexec_b64 s[6:7], vcc
	s_cbranch_execz .LBB1_24
; %bb.21:                               ;   in Loop: Header=BB1_3 Depth=1
	s_mov_b64 s[10:11], 0
	v_mov_b64_e32 v[16:17], 0
	s_mov_b64 s[12:13], 0
	s_mov_b64 s[14:15], 0
.LBB1_22:                               ;   Parent Loop BB1_3 Depth=1
                                        ; =>  This Inner Loop Header: Depth=2
	v_lshl_add_u64 v[20:21], v[10:11], 0, s[14:15]
	global_load_ubyte v0, v[20:21], off
	s_add_u32 s14, s14, 1
	v_mov_b32_e32 v21, s16
	s_addc_u32 s15, s15, 0
	v_cmp_eq_u32_e32 vcc, s14, v18
	s_waitcnt vmcnt(0)
	v_and_b32_e32 v20, 0xffff, v0
	v_lshlrev_b64 v[20:21], s12, v[20:21]
	s_add_u32 s12, s12, 8
	s_addc_u32 s13, s13, 0
	v_or_b32_e32 v17, v21, v17
	s_or_b64 s[10:11], vcc, s[10:11]
	v_or_b32_e32 v16, v20, v16
	s_andn2_b64 exec, exec, s[10:11]
	s_cbranch_execnz .LBB1_22
; %bb.23:                               ;   in Loop: Header=BB1_3 Depth=1
	s_or_b64 exec, exec, s[10:11]
.LBB1_24:                               ;   in Loop: Header=BB1_3 Depth=1
	s_or_b64 exec, exec, s[6:7]
	v_mov_b64_e32 v[20:21], v[10:11]
                                        ; implicit-def: $vgpr18
.LBB1_25:                               ;   in Loop: Header=BB1_3 Depth=1
	s_or_saveexec_b64 s[0:1], s[0:1]
	v_mov_b32_e32 v0, 0
	s_xor_b64 exec, exec, s[0:1]
	s_cbranch_execz .LBB1_27
; %bb.26:                               ;   in Loop: Header=BB1_3 Depth=1
	global_load_dwordx2 v[16:17], v[10:11], off
	v_add_u32_e32 v0, -8, v18
.LBB1_27:                               ;   in Loop: Header=BB1_3 Depth=1
	s_or_b64 exec, exec, s[0:1]
	v_cmp_gt_u32_e32 vcc, 8, v0
	v_lshl_add_u64 v[10:11], v[20:21], 0, 8
                                        ; implicit-def: $vgpr18_vgpr19
	s_and_saveexec_b64 s[0:1], vcc
	s_xor_b64 s[0:1], exec, s[0:1]
	s_cbranch_execz .LBB1_33
; %bb.28:                               ;   in Loop: Header=BB1_3 Depth=1
	v_cmp_ne_u32_e32 vcc, 0, v0
	v_mov_b64_e32 v[18:19], 0
	s_and_saveexec_b64 s[6:7], vcc
	s_cbranch_execz .LBB1_32
; %bb.29:                               ;   in Loop: Header=BB1_3 Depth=1
	s_mov_b64 s[10:11], 0
	v_mov_b64_e32 v[18:19], 0
	s_mov_b64 s[12:13], 0
	s_mov_b64 s[14:15], 0
.LBB1_30:                               ;   Parent Loop BB1_3 Depth=1
                                        ; =>  This Inner Loop Header: Depth=2
	v_lshl_add_u64 v[10:11], v[20:21], 0, s[14:15]
	global_load_ubyte v10, v[10:11], off
	s_add_u32 s14, s14, 1
	v_mov_b32_e32 v11, s16
	s_addc_u32 s15, s15, 0
	v_cmp_eq_u32_e32 vcc, s14, v0
	s_waitcnt vmcnt(0)
	v_and_b32_e32 v10, 0xffff, v10
	v_lshlrev_b64 v[10:11], s12, v[10:11]
	s_add_u32 s12, s12, 8
	s_addc_u32 s13, s13, 0
	v_or_b32_e32 v19, v11, v19
	s_or_b64 s[10:11], vcc, s[10:11]
	v_or_b32_e32 v18, v10, v18
	s_andn2_b64 exec, exec, s[10:11]
	s_cbranch_execnz .LBB1_30
; %bb.31:                               ;   in Loop: Header=BB1_3 Depth=1
	s_or_b64 exec, exec, s[10:11]
.LBB1_32:                               ;   in Loop: Header=BB1_3 Depth=1
	s_or_b64 exec, exec, s[6:7]
	v_mov_b64_e32 v[10:11], v[20:21]
                                        ; implicit-def: $vgpr0
.LBB1_33:                               ;   in Loop: Header=BB1_3 Depth=1
	s_or_saveexec_b64 s[0:1], s[0:1]
	v_mov_b32_e32 v22, 0
	s_xor_b64 exec, exec, s[0:1]
	s_cbranch_execz .LBB1_35
; %bb.34:                               ;   in Loop: Header=BB1_3 Depth=1
	global_load_dwordx2 v[18:19], v[20:21], off
	v_add_u32_e32 v22, -8, v0
.LBB1_35:                               ;   in Loop: Header=BB1_3 Depth=1
	s_or_b64 exec, exec, s[0:1]
	v_cmp_gt_u32_e32 vcc, 8, v22
	v_lshl_add_u64 v[24:25], v[10:11], 0, 8
	s_and_saveexec_b64 s[0:1], vcc
	s_xor_b64 s[0:1], exec, s[0:1]
	s_cbranch_execz .LBB1_41
; %bb.36:                               ;   in Loop: Header=BB1_3 Depth=1
	v_cmp_ne_u32_e32 vcc, 0, v22
	v_mov_b64_e32 v[20:21], 0
	s_and_saveexec_b64 s[6:7], vcc
	s_cbranch_execz .LBB1_40
; %bb.37:                               ;   in Loop: Header=BB1_3 Depth=1
	s_mov_b64 s[10:11], 0
	v_mov_b64_e32 v[20:21], 0
	s_mov_b64 s[12:13], 0
	s_mov_b64 s[14:15], 0
.LBB1_38:                               ;   Parent Loop BB1_3 Depth=1
                                        ; =>  This Inner Loop Header: Depth=2
	v_lshl_add_u64 v[24:25], v[10:11], 0, s[14:15]
	global_load_ubyte v0, v[24:25], off
	s_add_u32 s14, s14, 1
	v_mov_b32_e32 v25, s16
	s_addc_u32 s15, s15, 0
	v_cmp_eq_u32_e32 vcc, s14, v22
	s_waitcnt vmcnt(0)
	v_and_b32_e32 v24, 0xffff, v0
	v_lshlrev_b64 v[24:25], s12, v[24:25]
	s_add_u32 s12, s12, 8
	s_addc_u32 s13, s13, 0
	v_or_b32_e32 v21, v25, v21
	s_or_b64 s[10:11], vcc, s[10:11]
	v_or_b32_e32 v20, v24, v20
	s_andn2_b64 exec, exec, s[10:11]
	s_cbranch_execnz .LBB1_38
; %bb.39:                               ;   in Loop: Header=BB1_3 Depth=1
	s_or_b64 exec, exec, s[10:11]
.LBB1_40:                               ;   in Loop: Header=BB1_3 Depth=1
	s_or_b64 exec, exec, s[6:7]
	v_mov_b64_e32 v[24:25], v[10:11]
                                        ; implicit-def: $vgpr22
.LBB1_41:                               ;   in Loop: Header=BB1_3 Depth=1
	s_or_saveexec_b64 s[0:1], s[0:1]
	v_mov_b32_e32 v0, 0
	s_xor_b64 exec, exec, s[0:1]
	s_cbranch_execz .LBB1_43
; %bb.42:                               ;   in Loop: Header=BB1_3 Depth=1
	global_load_dwordx2 v[20:21], v[10:11], off
	v_add_u32_e32 v0, -8, v22
.LBB1_43:                               ;   in Loop: Header=BB1_3 Depth=1
	s_or_b64 exec, exec, s[0:1]
	v_cmp_gt_u32_e32 vcc, 8, v0
	v_lshl_add_u64 v[10:11], v[24:25], 0, 8
                                        ; implicit-def: $vgpr22_vgpr23
	s_and_saveexec_b64 s[0:1], vcc
	s_xor_b64 s[0:1], exec, s[0:1]
	s_cbranch_execz .LBB1_49
; %bb.44:                               ;   in Loop: Header=BB1_3 Depth=1
	v_cmp_ne_u32_e32 vcc, 0, v0
	v_mov_b64_e32 v[22:23], 0
	s_and_saveexec_b64 s[6:7], vcc
	s_cbranch_execz .LBB1_48
; %bb.45:                               ;   in Loop: Header=BB1_3 Depth=1
	s_mov_b64 s[10:11], 0
	v_mov_b64_e32 v[22:23], 0
	s_mov_b64 s[12:13], 0
	s_mov_b64 s[14:15], 0
.LBB1_46:                               ;   Parent Loop BB1_3 Depth=1
                                        ; =>  This Inner Loop Header: Depth=2
	v_lshl_add_u64 v[10:11], v[24:25], 0, s[14:15]
	global_load_ubyte v10, v[10:11], off
	s_add_u32 s14, s14, 1
	v_mov_b32_e32 v11, s16
	s_addc_u32 s15, s15, 0
	v_cmp_eq_u32_e32 vcc, s14, v0
	s_waitcnt vmcnt(0)
	v_and_b32_e32 v10, 0xffff, v10
	v_lshlrev_b64 v[10:11], s12, v[10:11]
	s_add_u32 s12, s12, 8
	s_addc_u32 s13, s13, 0
	v_or_b32_e32 v23, v11, v23
	s_or_b64 s[10:11], vcc, s[10:11]
	v_or_b32_e32 v22, v10, v22
	s_andn2_b64 exec, exec, s[10:11]
	s_cbranch_execnz .LBB1_46
; %bb.47:                               ;   in Loop: Header=BB1_3 Depth=1
	s_or_b64 exec, exec, s[10:11]
.LBB1_48:                               ;   in Loop: Header=BB1_3 Depth=1
	s_or_b64 exec, exec, s[6:7]
	v_mov_b64_e32 v[10:11], v[24:25]
                                        ; implicit-def: $vgpr0
.LBB1_49:                               ;   in Loop: Header=BB1_3 Depth=1
	s_or_saveexec_b64 s[0:1], s[0:1]
	v_mov_b32_e32 v26, 0
	s_xor_b64 exec, exec, s[0:1]
	s_cbranch_execz .LBB1_51
; %bb.50:                               ;   in Loop: Header=BB1_3 Depth=1
	global_load_dwordx2 v[22:23], v[24:25], off
	v_add_u32_e32 v26, -8, v0
.LBB1_51:                               ;   in Loop: Header=BB1_3 Depth=1
	s_or_b64 exec, exec, s[0:1]
	v_cmp_gt_u32_e32 vcc, 8, v26
	s_and_saveexec_b64 s[0:1], vcc
	s_xor_b64 s[0:1], exec, s[0:1]
	s_cbranch_execz .LBB1_57
; %bb.52:                               ;   in Loop: Header=BB1_3 Depth=1
	v_cmp_ne_u32_e32 vcc, 0, v26
	v_mov_b64_e32 v[24:25], 0
	s_and_saveexec_b64 s[6:7], vcc
	s_cbranch_execz .LBB1_56
; %bb.53:                               ;   in Loop: Header=BB1_3 Depth=1
	s_mov_b64 s[10:11], 0
	v_mov_b64_e32 v[24:25], 0
	s_mov_b64 s[12:13], 0
.LBB1_54:                               ;   Parent Loop BB1_3 Depth=1
                                        ; =>  This Inner Loop Header: Depth=2
	global_load_ubyte v0, v[10:11], off
	v_mov_b32_e32 v29, s16
	v_add_u32_e32 v26, -1, v26
	v_cmp_eq_u32_e32 vcc, 0, v26
	v_lshl_add_u64 v[10:11], v[10:11], 0, 1
	s_waitcnt vmcnt(0)
	v_and_b32_e32 v28, 0xffff, v0
	v_lshlrev_b64 v[28:29], s12, v[28:29]
	s_add_u32 s12, s12, 8
	s_addc_u32 s13, s13, 0
	v_or_b32_e32 v25, v29, v25
	s_or_b64 s[10:11], vcc, s[10:11]
	v_or_b32_e32 v24, v28, v24
	s_andn2_b64 exec, exec, s[10:11]
	s_cbranch_execnz .LBB1_54
; %bb.55:                               ;   in Loop: Header=BB1_3 Depth=1
	s_or_b64 exec, exec, s[10:11]
.LBB1_56:                               ;   in Loop: Header=BB1_3 Depth=1
	s_or_b64 exec, exec, s[6:7]
                                        ; implicit-def: $vgpr10_vgpr11
.LBB1_57:                               ;   in Loop: Header=BB1_3 Depth=1
	s_andn2_saveexec_b64 s[0:1], s[0:1]
	s_cbranch_execz .LBB1_59
; %bb.58:                               ;   in Loop: Header=BB1_3 Depth=1
	global_load_dwordx2 v[24:25], v[10:11], off
.LBB1_59:                               ;   in Loop: Header=BB1_3 Depth=1
	s_or_b64 exec, exec, s[0:1]
	v_readfirstlane_b32 s0, v34
	v_mov_b64_e32 v[10:11], 0
	s_nop 0
	v_cmp_eq_u32_e64 s[0:1], s0, v34
	s_and_saveexec_b64 s[6:7], s[0:1]
	s_cbranch_execz .LBB1_65
; %bb.60:                               ;   in Loop: Header=BB1_3 Depth=1
	s_waitcnt lgkmcnt(0)
	global_load_dwordx2 v[28:29], v33, s[4:5] offset:24 sc0 sc1
	s_waitcnt vmcnt(0)
	buffer_inv sc0 sc1
	global_load_dwordx2 v[10:11], v33, s[4:5] offset:40
	global_load_dwordx2 v[26:27], v33, s[4:5]
	s_waitcnt vmcnt(1)
	v_and_b32_e32 v0, v10, v28
	v_and_b32_e32 v10, v11, v29
	v_mul_lo_u32 v10, v10, 24
	v_mul_hi_u32 v11, v0, 24
	v_add_u32_e32 v11, v11, v10
	v_mul_lo_u32 v10, v0, 24
	s_waitcnt vmcnt(0)
	v_lshl_add_u64 v[10:11], v[26:27], 0, v[10:11]
	global_load_dwordx2 v[26:27], v[10:11], off sc0 sc1
	s_waitcnt vmcnt(0)
	global_atomic_cmpswap_x2 v[10:11], v33, v[26:29], s[4:5] offset:24 sc0 sc1
	s_waitcnt vmcnt(0)
	buffer_inv sc0 sc1
	v_cmp_ne_u64_e32 vcc, v[10:11], v[28:29]
	s_and_saveexec_b64 s[10:11], vcc
	s_cbranch_execz .LBB1_64
; %bb.61:                               ;   in Loop: Header=BB1_3 Depth=1
	s_mov_b64 s[12:13], 0
.LBB1_62:                               ;   Parent Loop BB1_3 Depth=1
                                        ; =>  This Inner Loop Header: Depth=2
	s_sleep 1
	global_load_dwordx2 v[26:27], v33, s[4:5] offset:40
	global_load_dwordx2 v[48:49], v33, s[4:5]
	v_mov_b64_e32 v[28:29], v[10:11]
	s_waitcnt vmcnt(1)
	v_and_b32_e32 v0, v26, v28
	s_waitcnt vmcnt(0)
	v_mad_u64_u32 v[10:11], s[14:15], v0, 24, v[48:49]
	v_and_b32_e32 v27, v27, v29
	v_mov_b32_e32 v0, v11
	v_mad_u64_u32 v[26:27], s[14:15], v27, 24, v[0:1]
	v_mov_b32_e32 v11, v26
	global_load_dwordx2 v[26:27], v[10:11], off sc0 sc1
	s_waitcnt vmcnt(0)
	global_atomic_cmpswap_x2 v[10:11], v33, v[26:29], s[4:5] offset:24 sc0 sc1
	s_waitcnt vmcnt(0)
	buffer_inv sc0 sc1
	v_cmp_eq_u64_e32 vcc, v[10:11], v[28:29]
	s_or_b64 s[12:13], vcc, s[12:13]
	s_andn2_b64 exec, exec, s[12:13]
	s_cbranch_execnz .LBB1_62
; %bb.63:                               ;   in Loop: Header=BB1_3 Depth=1
	s_or_b64 exec, exec, s[12:13]
.LBB1_64:                               ;   in Loop: Header=BB1_3 Depth=1
	s_or_b64 exec, exec, s[10:11]
.LBB1_65:                               ;   in Loop: Header=BB1_3 Depth=1
	s_or_b64 exec, exec, s[6:7]
	s_waitcnt lgkmcnt(0)
	global_load_dwordx2 v[48:49], v33, s[4:5] offset:40
	global_load_dwordx4 v[26:29], v33, s[4:5]
	v_readfirstlane_b32 s7, v11
	v_readfirstlane_b32 s6, v10
	s_mov_b64 s[10:11], exec
	s_waitcnt vmcnt(1)
	v_readfirstlane_b32 s12, v48
	v_readfirstlane_b32 s13, v49
	s_and_b64 s[12:13], s[12:13], s[6:7]
	s_mul_i32 s14, s13, 24
	s_mul_hi_u32 s15, s12, 24
	s_add_i32 s15, s15, s14
	s_mul_i32 s14, s12, 24
	s_waitcnt vmcnt(0)
	v_lshl_add_u64 v[48:49], v[26:27], 0, s[14:15]
	s_and_saveexec_b64 s[14:15], s[0:1]
	s_cbranch_execz .LBB1_67
; %bb.66:                               ;   in Loop: Header=BB1_3 Depth=1
	v_mov_b64_e32 v[10:11], s[10:11]
	global_store_dwordx4 v[48:49], v[10:13], off offset:8
.LBB1_67:                               ;   in Loop: Header=BB1_3 Depth=1
	s_or_b64 exec, exec, s[14:15]
	v_cmp_gt_u64_e32 vcc, 57, v[4:5]
	s_lshl_b64 s[10:11], s[12:13], 12
	v_and_b32_e32 v6, 0xffffff1f, v6
	v_cndmask_b32_e32 v0, 0, v30, vcc
	v_lshl_add_u64 v[10:11], v[28:29], 0, s[10:11]
	v_lshl_add_u32 v28, v38, 2, 28
	v_or_b32_e32 v0, v6, v0
	v_and_or_b32 v6, v28, s17, v0
	v_lshlrev_b32_e32 v32, 6, v34
	v_readfirstlane_b32 s10, v10
	v_readfirstlane_b32 s11, v11
	s_nop 4
	global_store_dwordx4 v32, v[6:9], s[10:11]
	global_store_dwordx4 v32, v[14:17], s[10:11] offset:16
	global_store_dwordx4 v32, v[18:21], s[10:11] offset:32
	;; [unrolled: 1-line block ×3, first 2 shown]
	s_and_saveexec_b64 s[10:11], s[0:1]
	s_cbranch_execz .LBB1_75
; %bb.68:                               ;   in Loop: Header=BB1_3 Depth=1
	global_load_dwordx2 v[18:19], v33, s[4:5] offset:32 sc0 sc1
	global_load_dwordx2 v[6:7], v33, s[4:5] offset:40
	v_mov_b32_e32 v16, s6
	v_mov_b32_e32 v17, s7
	s_waitcnt vmcnt(0)
	v_readfirstlane_b32 s12, v6
	v_readfirstlane_b32 s13, v7
	s_and_b64 s[12:13], s[12:13], s[6:7]
	s_mul_i32 s13, s13, 24
	s_mul_hi_u32 s14, s12, 24
	s_mul_i32 s12, s12, 24
	s_add_i32 s13, s14, s13
	v_lshl_add_u64 v[14:15], v[26:27], 0, s[12:13]
	global_store_dwordx2 v[14:15], v[18:19], off
	buffer_wbl2 sc0 sc1
	s_waitcnt vmcnt(0)
	global_atomic_cmpswap_x2 v[8:9], v33, v[16:19], s[4:5] offset:32 sc0 sc1
	s_waitcnt vmcnt(0)
	v_cmp_ne_u64_e32 vcc, v[8:9], v[18:19]
	s_and_saveexec_b64 s[12:13], vcc
	s_cbranch_execz .LBB1_71
; %bb.69:                               ;   in Loop: Header=BB1_3 Depth=1
	s_mov_b64 s[14:15], 0
.LBB1_70:                               ;   Parent Loop BB1_3 Depth=1
                                        ; =>  This Inner Loop Header: Depth=2
	s_sleep 1
	global_store_dwordx2 v[14:15], v[8:9], off
	v_mov_b32_e32 v6, s6
	v_mov_b32_e32 v7, s7
	buffer_wbl2 sc0 sc1
	s_waitcnt vmcnt(0)
	global_atomic_cmpswap_x2 v[6:7], v33, v[6:9], s[4:5] offset:32 sc0 sc1
	s_waitcnt vmcnt(0)
	v_cmp_eq_u64_e32 vcc, v[6:7], v[8:9]
	s_or_b64 s[14:15], vcc, s[14:15]
	v_mov_b64_e32 v[8:9], v[6:7]
	s_andn2_b64 exec, exec, s[14:15]
	s_cbranch_execnz .LBB1_70
.LBB1_71:                               ;   in Loop: Header=BB1_3 Depth=1
	s_or_b64 exec, exec, s[12:13]
	global_load_dwordx2 v[6:7], v33, s[4:5] offset:16
	s_mov_b64 s[14:15], exec
	v_mbcnt_lo_u32_b32 v0, s14, 0
	v_mbcnt_hi_u32_b32 v0, s15, v0
	v_cmp_eq_u32_e32 vcc, 0, v0
	s_and_saveexec_b64 s[12:13], vcc
	s_cbranch_execz .LBB1_73
; %bb.72:                               ;   in Loop: Header=BB1_3 Depth=1
	s_bcnt1_i32_b64 s14, s[14:15]
	v_mov_b32_e32 v8, s14
	v_mov_b32_e32 v9, v33
	buffer_wbl2 sc0 sc1
	s_waitcnt vmcnt(0)
	global_atomic_add_x2 v[6:7], v[8:9], off offset:8 sc1
.LBB1_73:                               ;   in Loop: Header=BB1_3 Depth=1
	s_or_b64 exec, exec, s[12:13]
	s_waitcnt vmcnt(0)
	global_load_dwordx2 v[8:9], v[6:7], off offset:16
	s_waitcnt vmcnt(0)
	v_cmp_eq_u64_e32 vcc, 0, v[8:9]
	s_cbranch_vccnz .LBB1_75
; %bb.74:                               ;   in Loop: Header=BB1_3 Depth=1
	global_load_dword v6, v[6:7], off offset:24
	v_mov_b32_e32 v7, v33
	s_waitcnt vmcnt(0)
	v_readfirstlane_b32 s12, v6
	s_and_b32 m0, s12, 0xffffff
	buffer_wbl2 sc0 sc1
	global_store_dwordx2 v[8:9], v[6:7], off sc0 sc1
	s_sendmsg sendmsg(MSG_INTERRUPT)
.LBB1_75:                               ;   in Loop: Header=BB1_3 Depth=1
	s_or_b64 exec, exec, s[10:11]
	v_lshl_add_u64 v[6:7], v[10:11], 0, v[32:33]
	s_branch .LBB1_79
.LBB1_76:                               ;   in Loop: Header=BB1_79 Depth=2
	s_or_b64 exec, exec, s[10:11]
	v_readfirstlane_b32 s10, v0
	s_cmp_eq_u32 s10, 0
	s_cbranch_scc1 .LBB1_78
; %bb.77:                               ;   in Loop: Header=BB1_79 Depth=2
	s_sleep 1
	s_cbranch_execnz .LBB1_79
	s_branch .LBB1_81
.LBB1_78:                               ;   in Loop: Header=BB1_3 Depth=1
	s_branch .LBB1_81
.LBB1_79:                               ;   Parent Loop BB1_3 Depth=1
                                        ; =>  This Inner Loop Header: Depth=2
	v_mov_b32_e32 v0, 1
	s_and_saveexec_b64 s[10:11], s[0:1]
	s_cbranch_execz .LBB1_76
; %bb.80:                               ;   in Loop: Header=BB1_79 Depth=2
	global_load_dword v0, v[48:49], off offset:20 sc0 sc1
	s_waitcnt vmcnt(0)
	buffer_inv sc0 sc1
	v_and_b32_e32 v0, 1, v0
	s_branch .LBB1_76
.LBB1_81:                               ;   in Loop: Header=BB1_3 Depth=1
	global_load_dwordx2 v[6:7], v[6:7], off
	s_and_saveexec_b64 s[10:11], s[0:1]
	s_cbranch_execz .LBB1_2
; %bb.82:                               ;   in Loop: Header=BB1_3 Depth=1
	global_load_dwordx2 v[8:9], v33, s[4:5] offset:40
	global_load_dwordx2 v[18:19], v33, s[4:5] offset:24 sc0 sc1
	global_load_dwordx2 v[10:11], v33, s[4:5]
	s_waitcnt vmcnt(2)
	v_readfirstlane_b32 s12, v8
	v_readfirstlane_b32 s13, v9
	s_add_u32 s14, s12, 1
	s_addc_u32 s15, s13, 0
	s_add_u32 s0, s14, s6
	s_addc_u32 s1, s15, s7
	s_cmp_eq_u64 s[0:1], 0
	s_cselect_b32 s1, s15, s1
	s_cselect_b32 s0, s14, s0
	s_and_b64 s[6:7], s[0:1], s[12:13]
	s_mul_i32 s7, s7, 24
	s_mul_hi_u32 s12, s6, 24
	s_mul_i32 s6, s6, 24
	s_add_i32 s7, s12, s7
	s_waitcnt vmcnt(0)
	v_lshl_add_u64 v[14:15], v[10:11], 0, s[6:7]
	v_mov_b32_e32 v16, s0
	global_store_dwordx2 v[14:15], v[18:19], off
	v_mov_b32_e32 v17, s1
	buffer_wbl2 sc0 sc1
	s_waitcnt vmcnt(0)
	global_atomic_cmpswap_x2 v[10:11], v33, v[16:19], s[4:5] offset:24 sc0 sc1
	s_waitcnt vmcnt(0)
	v_cmp_ne_u64_e32 vcc, v[10:11], v[18:19]
	s_and_b64 exec, exec, vcc
	s_cbranch_execz .LBB1_2
; %bb.83:                               ;   in Loop: Header=BB1_3 Depth=1
	s_mov_b64 s[6:7], 0
.LBB1_84:                               ;   Parent Loop BB1_3 Depth=1
                                        ; =>  This Inner Loop Header: Depth=2
	s_sleep 1
	global_store_dwordx2 v[14:15], v[10:11], off
	v_mov_b32_e32 v8, s0
	v_mov_b32_e32 v9, s1
	buffer_wbl2 sc0 sc1
	s_waitcnt vmcnt(0)
	global_atomic_cmpswap_x2 v[8:9], v33, v[8:11], s[4:5] offset:24 sc0 sc1
	s_waitcnt vmcnt(0)
	v_cmp_eq_u64_e32 vcc, v[8:9], v[10:11]
	s_or_b64 s[6:7], vcc, s[6:7]
	v_mov_b64_e32 v[10:11], v[8:9]
	s_andn2_b64 exec, exec, s[6:7]
	s_cbranch_execnz .LBB1_84
	s_branch .LBB1_2
.LBB1_85:
	s_or_b64 exec, exec, s[2:3]
.LBB1_86:
	s_waitcnt vmcnt(0)
	v_mov_b32_e32 v0, v6
	v_mov_b32_e32 v1, v7
	s_waitcnt lgkmcnt(0)
	s_setpc_b64 s[30:31]
.LBB1_87:
                                        ; implicit-def: $vgpr6_vgpr7
	s_cbranch_execz .LBB1_86
; %bb.88:
	s_load_dwordx2 s[2:3], s[8:9], 0x50
	v_mbcnt_hi_u32_b32 v3, -1, v3
	v_mov_b64_e32 v[8:9], 0
	v_readfirstlane_b32 s0, v3
	s_nop 1
	v_cmp_eq_u32_e64 s[0:1], s0, v3
	s_and_saveexec_b64 s[4:5], s[0:1]
	s_cbranch_execz .LBB1_94
; %bb.89:
	v_mov_b32_e32 v0, 0
	s_waitcnt lgkmcnt(0)
	global_load_dwordx2 v[6:7], v0, s[2:3] offset:24 sc0 sc1
	s_waitcnt vmcnt(0)
	buffer_inv sc0 sc1
	global_load_dwordx2 v[4:5], v0, s[2:3] offset:40
	global_load_dwordx2 v[8:9], v0, s[2:3]
	s_waitcnt vmcnt(1)
	v_and_b32_e32 v4, v4, v6
	v_and_b32_e32 v5, v5, v7
	v_mul_lo_u32 v5, v5, 24
	v_mul_hi_u32 v10, v4, 24
	v_add_u32_e32 v5, v10, v5
	v_mul_lo_u32 v4, v4, 24
	s_waitcnt vmcnt(0)
	v_lshl_add_u64 v[4:5], v[8:9], 0, v[4:5]
	global_load_dwordx2 v[4:5], v[4:5], off sc0 sc1
	s_waitcnt vmcnt(0)
	global_atomic_cmpswap_x2 v[8:9], v0, v[4:7], s[2:3] offset:24 sc0 sc1
	s_waitcnt vmcnt(0)
	buffer_inv sc0 sc1
	v_cmp_ne_u64_e32 vcc, v[8:9], v[6:7]
	s_and_saveexec_b64 s[6:7], vcc
	s_cbranch_execz .LBB1_93
; %bb.90:
	s_mov_b64 s[8:9], 0
.LBB1_91:                               ; =>This Inner Loop Header: Depth=1
	s_sleep 1
	global_load_dwordx2 v[4:5], v0, s[2:3] offset:40
	global_load_dwordx2 v[10:11], v0, s[2:3]
	v_mov_b64_e32 v[6:7], v[8:9]
	s_waitcnt vmcnt(1)
	v_and_b32_e32 v4, v4, v6
	v_and_b32_e32 v9, v5, v7
	s_waitcnt vmcnt(0)
	v_mad_u64_u32 v[4:5], s[10:11], v4, 24, v[10:11]
	v_mov_b32_e32 v8, v5
	v_mad_u64_u32 v[8:9], s[10:11], v9, 24, v[8:9]
	v_mov_b32_e32 v5, v8
	global_load_dwordx2 v[4:5], v[4:5], off sc0 sc1
	s_waitcnt vmcnt(0)
	global_atomic_cmpswap_x2 v[8:9], v0, v[4:7], s[2:3] offset:24 sc0 sc1
	s_waitcnt vmcnt(0)
	buffer_inv sc0 sc1
	v_cmp_eq_u64_e32 vcc, v[8:9], v[6:7]
	s_or_b64 s[8:9], vcc, s[8:9]
	s_andn2_b64 exec, exec, s[8:9]
	s_cbranch_execnz .LBB1_91
; %bb.92:
	s_or_b64 exec, exec, s[8:9]
.LBB1_93:
	s_or_b64 exec, exec, s[6:7]
.LBB1_94:
	s_or_b64 exec, exec, s[4:5]
	v_mov_b32_e32 v11, 0
	s_waitcnt lgkmcnt(0)
	global_load_dwordx2 v[12:13], v11, s[2:3] offset:40
	global_load_dwordx4 v[4:7], v11, s[2:3]
	v_readfirstlane_b32 s5, v9
	v_readfirstlane_b32 s4, v8
	s_mov_b64 s[6:7], exec
	s_waitcnt vmcnt(1)
	v_readfirstlane_b32 s8, v12
	v_readfirstlane_b32 s9, v13
	s_and_b64 s[8:9], s[8:9], s[4:5]
	s_mul_i32 s10, s9, 24
	s_mul_hi_u32 s11, s8, 24
	s_add_i32 s11, s11, s10
	s_mul_i32 s10, s8, 24
	s_waitcnt vmcnt(0)
	v_lshl_add_u64 v[8:9], v[4:5], 0, s[10:11]
	s_and_saveexec_b64 s[10:11], s[0:1]
	s_cbranch_execz .LBB1_96
; %bb.95:
	v_mov_b64_e32 v[12:13], s[6:7]
	v_mov_b32_e32 v14, 2
	v_mov_b32_e32 v15, 1
	global_store_dwordx4 v[8:9], v[12:15], off offset:8
.LBB1_96:
	s_or_b64 exec, exec, s[10:11]
	s_lshl_b64 s[6:7], s[8:9], 12
	v_lshl_add_u64 v[6:7], v[6:7], 0, s[6:7]
	s_movk_i32 s6, 0xff1f
	s_mov_b32 s8, 0
	v_and_or_b32 v0, v2, s6, 32
	v_lshlrev_b32_e32 v10, 6, v3
	v_mov_b32_e32 v2, v11
	v_mov_b32_e32 v3, v11
	v_readfirstlane_b32 s6, v6
	v_readfirstlane_b32 s7, v7
	s_mov_b32 s9, s8
	s_mov_b32 s10, s8
	s_mov_b32 s11, s8
	s_nop 1
	global_store_dwordx4 v10, v[0:3], s[6:7]
	s_nop 1
	v_mov_b64_e32 v[0:1], s[8:9]
	v_mov_b64_e32 v[2:3], s[10:11]
	global_store_dwordx4 v10, v[0:3], s[6:7] offset:16
	global_store_dwordx4 v10, v[0:3], s[6:7] offset:32
	;; [unrolled: 1-line block ×3, first 2 shown]
	s_and_saveexec_b64 s[6:7], s[0:1]
	s_cbranch_execz .LBB1_104
; %bb.97:
	v_mov_b32_e32 v12, 0
	global_load_dwordx2 v[16:17], v12, s[2:3] offset:32 sc0 sc1
	global_load_dwordx2 v[0:1], v12, s[2:3] offset:40
	v_mov_b32_e32 v14, s4
	v_mov_b32_e32 v15, s5
	s_waitcnt vmcnt(0)
	v_and_b32_e32 v0, s4, v0
	v_and_b32_e32 v1, s5, v1
	v_mul_lo_u32 v1, v1, 24
	v_mul_hi_u32 v2, v0, 24
	v_mul_lo_u32 v0, v0, 24
	v_add_u32_e32 v1, v2, v1
	v_lshl_add_u64 v[4:5], v[4:5], 0, v[0:1]
	global_store_dwordx2 v[4:5], v[16:17], off
	buffer_wbl2 sc0 sc1
	s_waitcnt vmcnt(0)
	global_atomic_cmpswap_x2 v[2:3], v12, v[14:17], s[2:3] offset:32 sc0 sc1
	s_waitcnt vmcnt(0)
	v_cmp_ne_u64_e32 vcc, v[2:3], v[16:17]
	s_and_saveexec_b64 s[8:9], vcc
	s_cbranch_execz .LBB1_100
; %bb.98:
	s_mov_b64 s[10:11], 0
.LBB1_99:                               ; =>This Inner Loop Header: Depth=1
	s_sleep 1
	global_store_dwordx2 v[4:5], v[2:3], off
	v_mov_b32_e32 v0, s4
	v_mov_b32_e32 v1, s5
	buffer_wbl2 sc0 sc1
	s_waitcnt vmcnt(0)
	global_atomic_cmpswap_x2 v[0:1], v12, v[0:3], s[2:3] offset:32 sc0 sc1
	s_waitcnt vmcnt(0)
	v_cmp_eq_u64_e32 vcc, v[0:1], v[2:3]
	s_or_b64 s[10:11], vcc, s[10:11]
	v_mov_b64_e32 v[2:3], v[0:1]
	s_andn2_b64 exec, exec, s[10:11]
	s_cbranch_execnz .LBB1_99
.LBB1_100:
	s_or_b64 exec, exec, s[8:9]
	v_mov_b32_e32 v3, 0
	global_load_dwordx2 v[0:1], v3, s[2:3] offset:16
	s_mov_b64 s[8:9], exec
	v_mbcnt_lo_u32_b32 v2, s8, 0
	v_mbcnt_hi_u32_b32 v2, s9, v2
	v_cmp_eq_u32_e32 vcc, 0, v2
	s_and_saveexec_b64 s[10:11], vcc
	s_cbranch_execz .LBB1_102
; %bb.101:
	s_bcnt1_i32_b64 s8, s[8:9]
	v_mov_b32_e32 v2, s8
	buffer_wbl2 sc0 sc1
	s_waitcnt vmcnt(0)
	global_atomic_add_x2 v[0:1], v[2:3], off offset:8 sc1
.LBB1_102:
	s_or_b64 exec, exec, s[10:11]
	s_waitcnt vmcnt(0)
	global_load_dwordx2 v[2:3], v[0:1], off offset:16
	s_waitcnt vmcnt(0)
	v_cmp_eq_u64_e32 vcc, 0, v[2:3]
	s_cbranch_vccnz .LBB1_104
; %bb.103:
	global_load_dword v0, v[0:1], off offset:24
	v_mov_b32_e32 v1, 0
	s_waitcnt vmcnt(0)
	v_readfirstlane_b32 s8, v0
	s_and_b32 m0, s8, 0xffffff
	buffer_wbl2 sc0 sc1
	global_store_dwordx2 v[2:3], v[0:1], off sc0 sc1
	s_sendmsg sendmsg(MSG_INTERRUPT)
.LBB1_104:
	s_or_b64 exec, exec, s[6:7]
	v_lshl_add_u64 v[0:1], v[6:7], 0, v[10:11]
	s_branch .LBB1_108
.LBB1_105:                              ;   in Loop: Header=BB1_108 Depth=1
	s_or_b64 exec, exec, s[6:7]
	v_readfirstlane_b32 s6, v2
	s_cmp_eq_u32 s6, 0
	s_cbranch_scc1 .LBB1_107
; %bb.106:                              ;   in Loop: Header=BB1_108 Depth=1
	s_sleep 1
	s_cbranch_execnz .LBB1_108
	s_branch .LBB1_110
.LBB1_107:
	s_branch .LBB1_110
.LBB1_108:                              ; =>This Inner Loop Header: Depth=1
	v_mov_b32_e32 v2, 1
	s_and_saveexec_b64 s[6:7], s[0:1]
	s_cbranch_execz .LBB1_105
; %bb.109:                              ;   in Loop: Header=BB1_108 Depth=1
	global_load_dword v2, v[8:9], off offset:20 sc0 sc1
	s_waitcnt vmcnt(0)
	buffer_inv sc0 sc1
	v_and_b32_e32 v2, 1, v2
	s_branch .LBB1_105
.LBB1_110:
	global_load_dwordx2 v[6:7], v[0:1], off
	s_and_saveexec_b64 s[6:7], s[0:1]
	s_cbranch_execz .LBB1_113
; %bb.111:
	v_mov_b32_e32 v8, 0
	global_load_dwordx2 v[0:1], v8, s[2:3] offset:40
	global_load_dwordx2 v[12:13], v8, s[2:3] offset:24 sc0 sc1
	global_load_dwordx2 v[2:3], v8, s[2:3]
	s_waitcnt vmcnt(2)
	v_readfirstlane_b32 s8, v0
	v_readfirstlane_b32 s9, v1
	s_add_u32 s10, s8, 1
	s_addc_u32 s11, s9, 0
	s_add_u32 s0, s10, s4
	s_addc_u32 s1, s11, s5
	s_cmp_eq_u64 s[0:1], 0
	s_cselect_b32 s1, s11, s1
	s_cselect_b32 s0, s10, s0
	s_and_b64 s[4:5], s[0:1], s[8:9]
	s_mul_i32 s5, s5, 24
	s_mul_hi_u32 s8, s4, 24
	s_mul_i32 s4, s4, 24
	s_add_i32 s5, s8, s5
	s_waitcnt vmcnt(0)
	v_lshl_add_u64 v[4:5], v[2:3], 0, s[4:5]
	v_mov_b32_e32 v10, s0
	global_store_dwordx2 v[4:5], v[12:13], off
	v_mov_b32_e32 v11, s1
	buffer_wbl2 sc0 sc1
	s_waitcnt vmcnt(0)
	global_atomic_cmpswap_x2 v[2:3], v8, v[10:13], s[2:3] offset:24 sc0 sc1
	s_mov_b64 s[4:5], 0
	s_waitcnt vmcnt(0)
	v_cmp_ne_u64_e32 vcc, v[2:3], v[12:13]
	s_and_b64 exec, exec, vcc
	s_cbranch_execz .LBB1_113
.LBB1_112:                              ; =>This Inner Loop Header: Depth=1
	s_sleep 1
	global_store_dwordx2 v[4:5], v[2:3], off
	v_mov_b32_e32 v0, s0
	v_mov_b32_e32 v1, s1
	buffer_wbl2 sc0 sc1
	s_waitcnt vmcnt(0)
	global_atomic_cmpswap_x2 v[0:1], v8, v[0:3], s[2:3] offset:24 sc0 sc1
	s_waitcnt vmcnt(0)
	v_cmp_eq_u64_e32 vcc, v[0:1], v[2:3]
	s_or_b64 s[4:5], vcc, s[4:5]
	v_mov_b64_e32 v[2:3], v[0:1]
	s_andn2_b64 exec, exec, s[4:5]
	s_cbranch_execnz .LBB1_112
.LBB1_113:
	s_or_b64 exec, exec, s[6:7]
	s_waitcnt vmcnt(0)
	v_mov_b32_e32 v0, v6
	v_mov_b32_e32 v1, v7
	s_waitcnt lgkmcnt(0)
	s_setpc_b64 s[30:31]
.Lfunc_end1:
	.size	__ockl_printf_append_string_n, .Lfunc_end1-__ockl_printf_append_string_n
                                        ; -- End function
	.set .L__ockl_printf_append_string_n.num_vgpr, 50
	.set .L__ockl_printf_append_string_n.num_agpr, 0
	.set .L__ockl_printf_append_string_n.numbered_sgpr, 32
	.set .L__ockl_printf_append_string_n.num_named_barrier, 0
	.set .L__ockl_printf_append_string_n.private_seg_size, 0
	.set .L__ockl_printf_append_string_n.uses_vcc, 1
	.set .L__ockl_printf_append_string_n.uses_flat_scratch, 0
	.set .L__ockl_printf_append_string_n.has_dyn_sized_stack, 0
	.set .L__ockl_printf_append_string_n.has_recursion, 0
	.set .L__ockl_printf_append_string_n.has_indirect_call, 0
	.section	.AMDGPU.csdata,"",@progbits
; Function info:
; codeLenInByte = 3812
; TotalNumSgprs: 38
; NumVgprs: 50
; NumAgprs: 0
; TotalNumVgprs: 50
; ScratchSize: 0
; MemoryBound: 0
	.text
	.p2align	2                               ; -- Begin function __ockl_printf_append_args
	.type	__ockl_printf_append_args,@function
__ockl_printf_append_args:              ; @__ockl_printf_append_args
; %bb.0:
	s_waitcnt vmcnt(0) expcnt(0) lgkmcnt(0)
	s_load_dwordx2 s[2:3], s[8:9], 0x50
	v_mbcnt_lo_u32_b32 v5, -1, 0
	v_mbcnt_hi_u32_b32 v5, -1, v5
	v_mov_b64_e32 v[10:11], 0
	v_readfirstlane_b32 s0, v5
	s_nop 1
	v_cmp_eq_u32_e64 s[0:1], s0, v5
	s_and_saveexec_b64 s[4:5], s[0:1]
	s_cbranch_execz .LBB2_6
; %bb.1:
	v_mov_b32_e32 v6, 0
	s_waitcnt lgkmcnt(0)
	global_load_dwordx2 v[12:13], v6, s[2:3] offset:24 sc0 sc1
	s_waitcnt vmcnt(0)
	buffer_inv sc0 sc1
	global_load_dwordx2 v[8:9], v6, s[2:3] offset:40
	global_load_dwordx2 v[10:11], v6, s[2:3]
	s_waitcnt vmcnt(1)
	v_and_b32_e32 v7, v8, v12
	v_and_b32_e32 v8, v9, v13
	v_mul_lo_u32 v8, v8, 24
	v_mul_hi_u32 v9, v7, 24
	v_add_u32_e32 v9, v9, v8
	v_mul_lo_u32 v8, v7, 24
	s_waitcnt vmcnt(0)
	v_lshl_add_u64 v[8:9], v[10:11], 0, v[8:9]
	global_load_dwordx2 v[10:11], v[8:9], off sc0 sc1
	s_waitcnt vmcnt(0)
	global_atomic_cmpswap_x2 v[10:11], v6, v[10:13], s[2:3] offset:24 sc0 sc1
	s_waitcnt vmcnt(0)
	buffer_inv sc0 sc1
	v_cmp_ne_u64_e32 vcc, v[10:11], v[12:13]
	s_and_saveexec_b64 s[6:7], vcc
	s_cbranch_execz .LBB2_5
; %bb.2:
	s_mov_b64 s[8:9], 0
.LBB2_3:                                ; =>This Inner Loop Header: Depth=1
	s_sleep 1
	global_load_dwordx2 v[8:9], v6, s[2:3] offset:40
	global_load_dwordx2 v[14:15], v6, s[2:3]
	v_mov_b64_e32 v[12:13], v[10:11]
	s_waitcnt vmcnt(1)
	v_and_b32_e32 v8, v8, v12
	v_and_b32_e32 v7, v9, v13
	s_waitcnt vmcnt(0)
	v_mad_u64_u32 v[8:9], s[10:11], v8, 24, v[14:15]
	v_mov_b32_e32 v10, v9
	v_mad_u64_u32 v[10:11], s[10:11], v7, 24, v[10:11]
	v_mov_b32_e32 v9, v10
	global_load_dwordx2 v[10:11], v[8:9], off sc0 sc1
	s_waitcnt vmcnt(0)
	global_atomic_cmpswap_x2 v[10:11], v6, v[10:13], s[2:3] offset:24 sc0 sc1
	s_waitcnt vmcnt(0)
	buffer_inv sc0 sc1
	v_cmp_eq_u64_e32 vcc, v[10:11], v[12:13]
	s_or_b64 s[8:9], vcc, s[8:9]
	s_andn2_b64 exec, exec, s[8:9]
	s_cbranch_execnz .LBB2_3
; %bb.4:
	s_or_b64 exec, exec, s[8:9]
.LBB2_5:
	s_or_b64 exec, exec, s[6:7]
.LBB2_6:
	s_or_b64 exec, exec, s[4:5]
	v_mov_b32_e32 v14, 0
	s_waitcnt lgkmcnt(0)
	global_load_dwordx2 v[12:13], v14, s[2:3] offset:40
	global_load_dwordx4 v[6:9], v14, s[2:3]
	v_readfirstlane_b32 s5, v11
	v_readfirstlane_b32 s4, v10
	s_mov_b64 s[6:7], exec
	s_waitcnt vmcnt(1)
	v_readfirstlane_b32 s8, v12
	v_readfirstlane_b32 s9, v13
	s_and_b64 s[8:9], s[8:9], s[4:5]
	s_mul_i32 s10, s9, 24
	s_mul_hi_u32 s11, s8, 24
	s_add_i32 s11, s11, s10
	s_mul_i32 s10, s8, 24
	s_waitcnt vmcnt(0)
	v_lshl_add_u64 v[10:11], v[6:7], 0, s[10:11]
	s_and_saveexec_b64 s[10:11], s[0:1]
	s_cbranch_execz .LBB2_8
; %bb.7:
	v_mov_b64_e32 v[12:13], s[6:7]
	v_mov_b32_e32 v14, 2
	v_mov_b32_e32 v15, 1
	global_store_dwordx4 v[10:11], v[12:15], off offset:8
.LBB2_8:
	s_or_b64 exec, exec, s[10:11]
	s_lshl_b64 s[6:7], s[8:9], 12
	v_or_b32_e32 v12, 2, v0
	v_cmp_eq_u32_e32 vcc, 0, v4
	v_lshl_add_u64 v[8:9], v[8:9], 0, s[6:7]
	s_mov_b32 s8, 0
	v_cndmask_b32_e32 v0, v12, v0, vcc
	s_movk_i32 s6, 0xff1f
	v_and_or_b32 v0, v0, s6, 32
	v_lshlrev_b32_e32 v4, 6, v5
	v_readfirstlane_b32 s6, v8
	v_readfirstlane_b32 s7, v9
	s_mov_b32 s9, s8
	s_mov_b32 s10, s8
	;; [unrolled: 1-line block ×3, first 2 shown]
	s_nop 1
	global_store_dwordx4 v4, v[0:3], s[6:7]
	s_nop 1
	v_mov_b64_e32 v[0:1], s[8:9]
	v_mov_b64_e32 v[2:3], s[10:11]
	global_store_dwordx4 v4, v[0:3], s[6:7] offset:16
	global_store_dwordx4 v4, v[0:3], s[6:7] offset:32
	;; [unrolled: 1-line block ×3, first 2 shown]
	s_and_saveexec_b64 s[6:7], s[0:1]
	s_cbranch_execz .LBB2_16
; %bb.9:
	v_mov_b32_e32 v8, 0
	global_load_dwordx2 v[14:15], v8, s[2:3] offset:32 sc0 sc1
	global_load_dwordx2 v[0:1], v8, s[2:3] offset:40
	v_mov_b32_e32 v12, s4
	v_mov_b32_e32 v13, s5
	s_waitcnt vmcnt(0)
	v_and_b32_e32 v0, s4, v0
	v_and_b32_e32 v1, s5, v1
	v_mul_lo_u32 v1, v1, 24
	v_mul_hi_u32 v2, v0, 24
	v_mul_lo_u32 v0, v0, 24
	v_add_u32_e32 v1, v2, v1
	v_lshl_add_u64 v[4:5], v[6:7], 0, v[0:1]
	global_store_dwordx2 v[4:5], v[14:15], off
	buffer_wbl2 sc0 sc1
	s_waitcnt vmcnt(0)
	global_atomic_cmpswap_x2 v[2:3], v8, v[12:15], s[2:3] offset:32 sc0 sc1
	s_waitcnt vmcnt(0)
	v_cmp_ne_u64_e32 vcc, v[2:3], v[14:15]
	s_and_saveexec_b64 s[8:9], vcc
	s_cbranch_execz .LBB2_12
; %bb.10:
	s_mov_b64 s[10:11], 0
.LBB2_11:                               ; =>This Inner Loop Header: Depth=1
	s_sleep 1
	global_store_dwordx2 v[4:5], v[2:3], off
	v_mov_b32_e32 v0, s4
	v_mov_b32_e32 v1, s5
	buffer_wbl2 sc0 sc1
	s_waitcnt vmcnt(0)
	global_atomic_cmpswap_x2 v[0:1], v8, v[0:3], s[2:3] offset:32 sc0 sc1
	s_waitcnt vmcnt(0)
	v_cmp_eq_u64_e32 vcc, v[0:1], v[2:3]
	s_or_b64 s[10:11], vcc, s[10:11]
	v_mov_b64_e32 v[2:3], v[0:1]
	s_andn2_b64 exec, exec, s[10:11]
	s_cbranch_execnz .LBB2_11
.LBB2_12:
	s_or_b64 exec, exec, s[8:9]
	v_mov_b32_e32 v3, 0
	global_load_dwordx2 v[0:1], v3, s[2:3] offset:16
	s_mov_b64 s[8:9], exec
	v_mbcnt_lo_u32_b32 v2, s8, 0
	v_mbcnt_hi_u32_b32 v2, s9, v2
	v_cmp_eq_u32_e32 vcc, 0, v2
	s_and_saveexec_b64 s[10:11], vcc
	s_cbranch_execz .LBB2_14
; %bb.13:
	s_bcnt1_i32_b64 s8, s[8:9]
	v_mov_b32_e32 v2, s8
	buffer_wbl2 sc0 sc1
	s_waitcnt vmcnt(0)
	global_atomic_add_x2 v[0:1], v[2:3], off offset:8 sc1
.LBB2_14:
	s_or_b64 exec, exec, s[10:11]
	s_waitcnt vmcnt(0)
	global_load_dwordx2 v[2:3], v[0:1], off offset:16
	s_waitcnt vmcnt(0)
	v_cmp_eq_u64_e32 vcc, 0, v[2:3]
	s_cbranch_vccnz .LBB2_16
; %bb.15:
	global_load_dword v0, v[0:1], off offset:24
	v_mov_b32_e32 v1, 0
	s_waitcnt vmcnt(0)
	v_readfirstlane_b32 s8, v0
	s_and_b32 m0, s8, 0xffffff
	buffer_wbl2 sc0 sc1
	global_store_dwordx2 v[2:3], v[0:1], off sc0 sc1
	s_sendmsg sendmsg(MSG_INTERRUPT)
.LBB2_16:
	s_or_b64 exec, exec, s[6:7]
	s_branch .LBB2_20
.LBB2_17:                               ;   in Loop: Header=BB2_20 Depth=1
	s_or_b64 exec, exec, s[6:7]
	v_readfirstlane_b32 s6, v0
	s_cmp_eq_u32 s6, 0
	s_cbranch_scc1 .LBB2_19
; %bb.18:                               ;   in Loop: Header=BB2_20 Depth=1
	s_sleep 1
	s_cbranch_execnz .LBB2_20
	s_branch .LBB2_22
.LBB2_19:
	s_branch .LBB2_22
.LBB2_20:                               ; =>This Inner Loop Header: Depth=1
	v_mov_b32_e32 v0, 1
	s_and_saveexec_b64 s[6:7], s[0:1]
	s_cbranch_execz .LBB2_17
; %bb.21:                               ;   in Loop: Header=BB2_20 Depth=1
	global_load_dword v0, v[10:11], off offset:20 sc0 sc1
	s_waitcnt vmcnt(0)
	buffer_inv sc0 sc1
	v_and_b32_e32 v0, 1, v0
	s_branch .LBB2_17
.LBB2_22:
	s_and_saveexec_b64 s[6:7], s[0:1]
	s_cbranch_execz .LBB2_25
; %bb.23:
	v_mov_b32_e32 v6, 0
	global_load_dwordx2 v[0:1], v6, s[2:3] offset:40
	global_load_dwordx2 v[10:11], v6, s[2:3] offset:24 sc0 sc1
	global_load_dwordx2 v[2:3], v6, s[2:3]
	s_waitcnt vmcnt(2)
	v_readfirstlane_b32 s8, v0
	v_readfirstlane_b32 s9, v1
	s_add_u32 s10, s8, 1
	s_addc_u32 s11, s9, 0
	s_add_u32 s0, s10, s4
	s_addc_u32 s1, s11, s5
	s_cmp_eq_u64 s[0:1], 0
	s_cselect_b32 s1, s11, s1
	s_cselect_b32 s0, s10, s0
	s_and_b64 s[4:5], s[0:1], s[8:9]
	s_mul_i32 s5, s5, 24
	s_mul_hi_u32 s8, s4, 24
	s_mul_i32 s4, s4, 24
	s_add_i32 s5, s8, s5
	s_waitcnt vmcnt(0)
	v_lshl_add_u64 v[4:5], v[2:3], 0, s[4:5]
	v_mov_b32_e32 v8, s0
	global_store_dwordx2 v[4:5], v[10:11], off
	v_mov_b32_e32 v9, s1
	buffer_wbl2 sc0 sc1
	s_waitcnt vmcnt(0)
	global_atomic_cmpswap_x2 v[2:3], v6, v[8:11], s[2:3] offset:24 sc0 sc1
	s_mov_b64 s[4:5], 0
	s_waitcnt vmcnt(0)
	v_cmp_ne_u64_e32 vcc, v[2:3], v[10:11]
	s_and_b64 exec, exec, vcc
	s_cbranch_execz .LBB2_25
.LBB2_24:                               ; =>This Inner Loop Header: Depth=1
	s_sleep 1
	global_store_dwordx2 v[4:5], v[2:3], off
	v_mov_b32_e32 v0, s0
	v_mov_b32_e32 v1, s1
	buffer_wbl2 sc0 sc1
	s_waitcnt vmcnt(0)
	global_atomic_cmpswap_x2 v[0:1], v6, v[0:3], s[2:3] offset:24 sc0 sc1
	s_waitcnt vmcnt(0)
	v_cmp_eq_u64_e32 vcc, v[0:1], v[2:3]
	s_or_b64 s[4:5], vcc, s[4:5]
	v_mov_b64_e32 v[2:3], v[0:1]
	s_andn2_b64 exec, exec, s[4:5]
	s_cbranch_execnz .LBB2_24
.LBB2_25:
	s_or_b64 exec, exec, s[6:7]
	s_waitcnt vmcnt(0) lgkmcnt(0)
	s_setpc_b64 s[30:31]
.Lfunc_end2:
	.size	__ockl_printf_append_args, .Lfunc_end2-__ockl_printf_append_args
                                        ; -- End function
	.set .L__ockl_printf_append_args.num_vgpr, 16
	.set .L__ockl_printf_append_args.num_agpr, 0
	.set .L__ockl_printf_append_args.numbered_sgpr, 32
	.set .L__ockl_printf_append_args.num_named_barrier, 0
	.set .L__ockl_printf_append_args.private_seg_size, 0
	.set .L__ockl_printf_append_args.uses_vcc, 1
	.set .L__ockl_printf_append_args.uses_flat_scratch, 0
	.set .L__ockl_printf_append_args.has_dyn_sized_stack, 0
	.set .L__ockl_printf_append_args.has_recursion, 0
	.set .L__ockl_printf_append_args.has_indirect_call, 0
	.section	.AMDGPU.csdata,"",@progbits
; Function info:
; codeLenInByte = 1216
; TotalNumSgprs: 38
; NumVgprs: 16
; NumAgprs: 0
; TotalNumVgprs: 16
; ScratchSize: 0
; MemoryBound: 0
	.text
	.p2align	2                               ; -- Begin function _ZL14no_device_codePKciS0_iS0_
	.type	_ZL14no_device_codePKciS0_iS0_,@function
_ZL14no_device_codePKciS0_iS0_:         ; @_ZL14no_device_codePKciS0_iS0_
; %bb.0:
	s_waitcnt vmcnt(0) expcnt(0) lgkmcnt(0)
	s_mov_b32 s20, s33
	s_mov_b32 s33, s32
	s_xor_saveexec_b64 s[0:1], -1
	scratch_store_dword off, v35, s33       ; 4-byte Folded Spill
	s_mov_b64 exec, s[0:1]
	v_writelane_b32 v35, s30, 0
	s_add_i32 s32, s32, 16
	s_nop 0
	v_writelane_b32 v35, s31, 1
	s_load_dwordx2 s[2:3], s[8:9], 0x50
	v_mbcnt_lo_u32_b32 v0, -1, 0
	v_mbcnt_hi_u32_b32 v29, -1, v0
	v_mov_b64_e32 v[4:5], 0
	v_readfirstlane_b32 s0, v29
	s_nop 1
	v_cmp_eq_u32_e64 s[0:1], s0, v29
	s_and_saveexec_b64 s[4:5], s[0:1]
	s_cbranch_execz .LBB3_6
; %bb.1:
	v_mov_b32_e32 v0, 0
	s_waitcnt lgkmcnt(0)
	global_load_dwordx2 v[6:7], v0, s[2:3] offset:24 sc0 sc1
	s_waitcnt vmcnt(0)
	buffer_inv sc0 sc1
	global_load_dwordx2 v[2:3], v0, s[2:3] offset:40
	global_load_dwordx2 v[4:5], v0, s[2:3]
	s_waitcnt vmcnt(1)
	v_and_b32_e32 v1, v2, v6
	v_and_b32_e32 v2, v3, v7
	v_mul_lo_u32 v2, v2, 24
	v_mul_hi_u32 v3, v1, 24
	v_add_u32_e32 v3, v3, v2
	v_mul_lo_u32 v2, v1, 24
	s_waitcnt vmcnt(0)
	v_lshl_add_u64 v[2:3], v[4:5], 0, v[2:3]
	global_load_dwordx2 v[4:5], v[2:3], off sc0 sc1
	s_waitcnt vmcnt(0)
	global_atomic_cmpswap_x2 v[4:5], v0, v[4:7], s[2:3] offset:24 sc0 sc1
	s_waitcnt vmcnt(0)
	buffer_inv sc0 sc1
	v_cmp_ne_u64_e32 vcc, v[4:5], v[6:7]
	s_and_saveexec_b64 s[6:7], vcc
	s_cbranch_execz .LBB3_5
; %bb.2:
	s_mov_b64 s[10:11], 0
.LBB3_3:                                ; =>This Inner Loop Header: Depth=1
	s_sleep 1
	global_load_dwordx2 v[2:3], v0, s[2:3] offset:40
	global_load_dwordx2 v[8:9], v0, s[2:3]
	v_mov_b64_e32 v[6:7], v[4:5]
	s_waitcnt vmcnt(1)
	v_and_b32_e32 v2, v2, v6
	v_and_b32_e32 v1, v3, v7
	s_waitcnt vmcnt(0)
	v_mad_u64_u32 v[2:3], s[12:13], v2, 24, v[8:9]
	v_mov_b32_e32 v4, v3
	v_mad_u64_u32 v[4:5], s[12:13], v1, 24, v[4:5]
	v_mov_b32_e32 v3, v4
	global_load_dwordx2 v[4:5], v[2:3], off sc0 sc1
	s_waitcnt vmcnt(0)
	global_atomic_cmpswap_x2 v[4:5], v0, v[4:7], s[2:3] offset:24 sc0 sc1
	s_waitcnt vmcnt(0)
	buffer_inv sc0 sc1
	v_cmp_eq_u64_e32 vcc, v[4:5], v[6:7]
	s_or_b64 s[10:11], vcc, s[10:11]
	s_andn2_b64 exec, exec, s[10:11]
	s_cbranch_execnz .LBB3_3
; %bb.4:
	s_or_b64 exec, exec, s[10:11]
.LBB3_5:
	s_or_b64 exec, exec, s[6:7]
.LBB3_6:
	s_or_b64 exec, exec, s[4:5]
	v_mov_b32_e32 v27, 0
	s_waitcnt lgkmcnt(0)
	global_load_dwordx2 v[6:7], v27, s[2:3] offset:40
	global_load_dwordx4 v[0:3], v27, s[2:3]
	v_readfirstlane_b32 s5, v5
	v_readfirstlane_b32 s4, v4
	s_mov_b64 s[6:7], exec
	s_waitcnt vmcnt(1)
	v_readfirstlane_b32 s10, v6
	v_readfirstlane_b32 s11, v7
	s_and_b64 s[10:11], s[10:11], s[4:5]
	s_mul_i32 s12, s11, 24
	s_mul_hi_u32 s13, s10, 24
	s_add_i32 s13, s13, s12
	s_mul_i32 s12, s10, 24
	s_waitcnt vmcnt(0)
	v_lshl_add_u64 v[4:5], v[0:1], 0, s[12:13]
	s_and_saveexec_b64 s[12:13], s[0:1]
	s_cbranch_execz .LBB3_8
; %bb.7:
	v_mov_b64_e32 v[6:7], s[6:7]
	v_mov_b32_e32 v8, 2
	v_mov_b32_e32 v9, 1
	global_store_dwordx4 v[4:5], v[6:9], off offset:8
.LBB3_8:
	s_or_b64 exec, exec, s[12:13]
	s_lshl_b64 s[6:7], s[10:11], 12
	v_lshl_add_u64 v[6:7], v[2:3], 0, s[6:7]
	s_mov_b32 s12, 0
	v_lshlrev_b32_e32 v26, 6, v29
	v_mov_b32_e32 v8, 33
	v_mov_b32_e32 v9, v27
	;; [unrolled: 1-line block ×4, first 2 shown]
	v_readfirstlane_b32 s6, v6
	v_readfirstlane_b32 s7, v7
	s_mov_b32 s13, s12
	s_mov_b32 s14, s12
	s_mov_b32 s15, s12
	s_nop 1
	global_store_dwordx4 v26, v[8:11], s[6:7]
	s_nop 1
	v_mov_b64_e32 v[8:9], s[12:13]
	v_mov_b64_e32 v[10:11], s[14:15]
	global_store_dwordx4 v26, v[8:11], s[6:7] offset:16
	global_store_dwordx4 v26, v[8:11], s[6:7] offset:32
	;; [unrolled: 1-line block ×3, first 2 shown]
	s_and_saveexec_b64 s[6:7], s[0:1]
	s_cbranch_execz .LBB3_16
; %bb.9:
	v_mov_b32_e32 v10, 0
	global_load_dwordx2 v[14:15], v10, s[2:3] offset:32 sc0 sc1
	global_load_dwordx2 v[2:3], v10, s[2:3] offset:40
	v_mov_b32_e32 v12, s4
	v_mov_b32_e32 v13, s5
	s_waitcnt vmcnt(0)
	v_and_b32_e32 v2, s4, v2
	v_and_b32_e32 v3, s5, v3
	v_mul_lo_u32 v3, v3, 24
	v_mul_hi_u32 v8, v2, 24
	v_mul_lo_u32 v2, v2, 24
	v_add_u32_e32 v3, v8, v3
	v_lshl_add_u64 v[8:9], v[0:1], 0, v[2:3]
	global_store_dwordx2 v[8:9], v[14:15], off
	buffer_wbl2 sc0 sc1
	s_waitcnt vmcnt(0)
	global_atomic_cmpswap_x2 v[2:3], v10, v[12:15], s[2:3] offset:32 sc0 sc1
	s_waitcnt vmcnt(0)
	v_cmp_ne_u64_e32 vcc, v[2:3], v[14:15]
	s_and_saveexec_b64 s[10:11], vcc
	s_cbranch_execz .LBB3_12
; %bb.10:
	s_mov_b64 s[12:13], 0
.LBB3_11:                               ; =>This Inner Loop Header: Depth=1
	s_sleep 1
	global_store_dwordx2 v[8:9], v[2:3], off
	v_mov_b32_e32 v0, s4
	v_mov_b32_e32 v1, s5
	buffer_wbl2 sc0 sc1
	s_waitcnt vmcnt(0)
	global_atomic_cmpswap_x2 v[0:1], v10, v[0:3], s[2:3] offset:32 sc0 sc1
	s_waitcnt vmcnt(0)
	v_cmp_eq_u64_e32 vcc, v[0:1], v[2:3]
	s_or_b64 s[12:13], vcc, s[12:13]
	v_mov_b64_e32 v[2:3], v[0:1]
	s_andn2_b64 exec, exec, s[12:13]
	s_cbranch_execnz .LBB3_11
.LBB3_12:
	s_or_b64 exec, exec, s[10:11]
	v_mov_b32_e32 v3, 0
	global_load_dwordx2 v[0:1], v3, s[2:3] offset:16
	s_mov_b64 s[10:11], exec
	v_mbcnt_lo_u32_b32 v2, s10, 0
	v_mbcnt_hi_u32_b32 v2, s11, v2
	v_cmp_eq_u32_e32 vcc, 0, v2
	s_and_saveexec_b64 s[12:13], vcc
	s_cbranch_execz .LBB3_14
; %bb.13:
	s_bcnt1_i32_b64 s10, s[10:11]
	v_mov_b32_e32 v2, s10
	buffer_wbl2 sc0 sc1
	s_waitcnt vmcnt(0)
	global_atomic_add_x2 v[0:1], v[2:3], off offset:8 sc1
.LBB3_14:
	s_or_b64 exec, exec, s[12:13]
	s_waitcnt vmcnt(0)
	global_load_dwordx2 v[2:3], v[0:1], off offset:16
	s_waitcnt vmcnt(0)
	v_cmp_eq_u64_e32 vcc, 0, v[2:3]
	s_cbranch_vccnz .LBB3_16
; %bb.15:
	global_load_dword v0, v[0:1], off offset:24
	v_mov_b32_e32 v1, 0
	s_waitcnt vmcnt(0)
	v_readfirstlane_b32 s10, v0
	s_and_b32 m0, s10, 0xffffff
	buffer_wbl2 sc0 sc1
	global_store_dwordx2 v[2:3], v[0:1], off sc0 sc1
	s_sendmsg sendmsg(MSG_INTERRUPT)
.LBB3_16:
	s_or_b64 exec, exec, s[6:7]
	v_lshl_add_u64 v[0:1], v[6:7], 0, v[26:27]
	s_branch .LBB3_20
.LBB3_17:                               ;   in Loop: Header=BB3_20 Depth=1
	s_or_b64 exec, exec, s[6:7]
	v_readfirstlane_b32 s6, v2
	s_cmp_eq_u32 s6, 0
	s_cbranch_scc1 .LBB3_19
; %bb.18:                               ;   in Loop: Header=BB3_20 Depth=1
	s_sleep 1
	s_cbranch_execnz .LBB3_20
	s_branch .LBB3_22
.LBB3_19:
	s_branch .LBB3_22
.LBB3_20:                               ; =>This Inner Loop Header: Depth=1
	v_mov_b32_e32 v2, 1
	s_and_saveexec_b64 s[6:7], s[0:1]
	s_cbranch_execz .LBB3_17
; %bb.21:                               ;   in Loop: Header=BB3_20 Depth=1
	global_load_dword v2, v[4:5], off offset:20 sc0 sc1
	s_waitcnt vmcnt(0)
	buffer_inv sc0 sc1
	v_and_b32_e32 v2, 1, v2
	s_branch .LBB3_17
.LBB3_22:
	global_load_dwordx2 v[4:5], v[0:1], off
	s_and_saveexec_b64 s[6:7], s[0:1]
	s_cbranch_execz .LBB3_25
; %bb.23:
	v_mov_b32_e32 v8, 0
	global_load_dwordx2 v[0:1], v8, s[2:3] offset:40
	global_load_dwordx2 v[12:13], v8, s[2:3] offset:24 sc0 sc1
	global_load_dwordx2 v[2:3], v8, s[2:3]
	s_waitcnt vmcnt(2)
	v_readfirstlane_b32 s10, v0
	v_readfirstlane_b32 s11, v1
	s_add_u32 s12, s10, 1
	s_addc_u32 s13, s11, 0
	s_add_u32 s0, s12, s4
	s_addc_u32 s1, s13, s5
	s_cmp_eq_u64 s[0:1], 0
	s_cselect_b32 s1, s13, s1
	s_cselect_b32 s0, s12, s0
	s_and_b64 s[4:5], s[0:1], s[10:11]
	s_mul_i32 s5, s5, 24
	s_mul_hi_u32 s10, s4, 24
	s_mul_i32 s4, s4, 24
	s_add_i32 s5, s10, s5
	s_waitcnt vmcnt(0)
	v_lshl_add_u64 v[6:7], v[2:3], 0, s[4:5]
	v_mov_b32_e32 v10, s0
	global_store_dwordx2 v[6:7], v[12:13], off
	v_mov_b32_e32 v11, s1
	buffer_wbl2 sc0 sc1
	s_waitcnt vmcnt(0)
	global_atomic_cmpswap_x2 v[2:3], v8, v[10:13], s[2:3] offset:24 sc0 sc1
	s_mov_b64 s[4:5], 0
	s_waitcnt vmcnt(0)
	v_cmp_ne_u64_e32 vcc, v[2:3], v[12:13]
	s_and_b64 exec, exec, vcc
	s_cbranch_execz .LBB3_25
.LBB3_24:                               ; =>This Inner Loop Header: Depth=1
	s_sleep 1
	global_store_dwordx2 v[6:7], v[2:3], off
	v_mov_b32_e32 v0, s0
	v_mov_b32_e32 v1, s1
	buffer_wbl2 sc0 sc1
	s_waitcnt vmcnt(0)
	global_atomic_cmpswap_x2 v[0:1], v8, v[0:3], s[2:3] offset:24 sc0 sc1
	s_waitcnt vmcnt(0)
	v_cmp_eq_u64_e32 vcc, v[0:1], v[2:3]
	s_or_b64 s[4:5], vcc, s[4:5]
	v_mov_b64_e32 v[2:3], v[0:1]
	s_andn2_b64 exec, exec, s[4:5]
	s_cbranch_execnz .LBB3_24
.LBB3_25:
	s_or_b64 exec, exec, s[6:7]
	s_getpc_b64 s[4:5]
	s_add_u32 s4, s4, .str.5@rel32@lo+4
	s_addc_u32 s5, s5, .str.5@rel32@hi+12
	s_cmp_lg_u64 s[4:5], 0
	s_cbranch_scc0 .LBB3_110
; %bb.26:
	s_waitcnt vmcnt(0)
	v_and_b32_e32 v28, 2, v4
	v_mov_b32_e32 v31, 0
	v_and_b32_e32 v0, -3, v4
	v_mov_b32_e32 v1, v5
	s_mov_b64 s[6:7], 0x4d
	v_mov_b32_e32 v8, 2
	v_mov_b32_e32 v9, 1
	s_branch .LBB3_28
.LBB3_27:                               ;   in Loop: Header=BB3_28 Depth=1
	s_or_b64 exec, exec, s[14:15]
	s_sub_u32 s6, s6, s10
	s_subb_u32 s7, s7, s11
	s_add_u32 s4, s4, s10
	s_addc_u32 s5, s5, s11
	s_cmp_lg_u64 s[6:7], 0
	s_cbranch_scc0 .LBB3_111
.LBB3_28:                               ; =>This Loop Header: Depth=1
                                        ;     Child Loop BB3_31 Depth 2
                                        ;     Child Loop BB3_39 Depth 2
	;; [unrolled: 1-line block ×11, first 2 shown]
	v_cmp_lt_u64_e64 s[0:1], s[6:7], 56
	s_and_b64 s[0:1], s[0:1], exec
	s_cselect_b32 s11, s7, 0
	s_cselect_b32 s10, s6, 56
	v_cmp_gt_u64_e64 s[12:13], s[6:7], 7
	s_add_u32 s0, s4, 8
	s_addc_u32 s1, s5, 0
	s_and_b64 vcc, exec, s[12:13]
	s_cbranch_vccnz .LBB3_32
; %bb.29:                               ;   in Loop: Header=BB3_28 Depth=1
	s_cmp_eq_u64 s[6:7], 0
	s_cbranch_scc1 .LBB3_33
; %bb.30:                               ;   in Loop: Header=BB3_28 Depth=1
	s_lshl_b64 s[0:1], s[10:11], 3
	s_mov_b64 s[12:13], 0
	v_mov_b64_e32 v[2:3], 0
	s_mov_b64 s[14:15], s[4:5]
.LBB3_31:                               ;   Parent Loop BB3_28 Depth=1
                                        ; =>  This Inner Loop Header: Depth=2
	global_load_ubyte v6, v31, s[14:15]
	s_waitcnt vmcnt(0)
	v_and_b32_e32 v30, 0xffff, v6
	v_lshlrev_b64 v[6:7], s12, v[30:31]
	s_add_u32 s12, s12, 8
	s_addc_u32 s13, s13, 0
	s_add_u32 s14, s14, 1
	s_addc_u32 s15, s15, 0
	v_or_b32_e32 v2, v6, v2
	s_cmp_lg_u32 s0, s12
	v_or_b32_e32 v3, v7, v3
	s_cbranch_scc1 .LBB3_31
	s_branch .LBB3_34
.LBB3_32:                               ;   in Loop: Header=BB3_28 Depth=1
	s_mov_b32 s16, 0
	s_branch .LBB3_35
.LBB3_33:                               ;   in Loop: Header=BB3_28 Depth=1
	v_mov_b64_e32 v[2:3], 0
.LBB3_34:                               ;   in Loop: Header=BB3_28 Depth=1
	s_mov_b64 s[0:1], s[4:5]
	s_mov_b32 s16, 0
	s_cbranch_execnz .LBB3_36
.LBB3_35:                               ;   in Loop: Header=BB3_28 Depth=1
	global_load_dwordx2 v[2:3], v31, s[4:5]
	s_add_i32 s16, s10, -8
.LBB3_36:                               ;   in Loop: Header=BB3_28 Depth=1
	s_add_u32 s12, s0, 8
	s_addc_u32 s13, s1, 0
	s_cmp_gt_u32 s16, 7
	s_cbranch_scc1 .LBB3_40
; %bb.37:                               ;   in Loop: Header=BB3_28 Depth=1
	s_cmp_eq_u32 s16, 0
	s_cbranch_scc1 .LBB3_41
; %bb.38:                               ;   in Loop: Header=BB3_28 Depth=1
	s_mov_b64 s[12:13], 0
	v_mov_b64_e32 v[10:11], 0
	s_mov_b64 s[14:15], 0
.LBB3_39:                               ;   Parent Loop BB3_28 Depth=1
                                        ; =>  This Inner Loop Header: Depth=2
	s_add_u32 s18, s0, s14
	s_addc_u32 s19, s1, s15
	global_load_ubyte v6, v31, s[18:19]
	s_add_u32 s14, s14, 1
	s_addc_u32 s15, s15, 0
	s_waitcnt vmcnt(0)
	v_and_b32_e32 v30, 0xffff, v6
	v_lshlrev_b64 v[6:7], s12, v[30:31]
	s_add_u32 s12, s12, 8
	s_addc_u32 s13, s13, 0
	v_or_b32_e32 v10, v6, v10
	s_cmp_lg_u32 s16, s14
	v_or_b32_e32 v11, v7, v11
	s_cbranch_scc1 .LBB3_39
	s_branch .LBB3_42
.LBB3_40:                               ;   in Loop: Header=BB3_28 Depth=1
                                        ; implicit-def: $vgpr10_vgpr11
	s_mov_b32 s17, 0
	s_branch .LBB3_43
.LBB3_41:                               ;   in Loop: Header=BB3_28 Depth=1
	v_mov_b64_e32 v[10:11], 0
.LBB3_42:                               ;   in Loop: Header=BB3_28 Depth=1
	s_mov_b64 s[12:13], s[0:1]
	s_mov_b32 s17, 0
	s_cbranch_execnz .LBB3_44
.LBB3_43:                               ;   in Loop: Header=BB3_28 Depth=1
	global_load_dwordx2 v[10:11], v31, s[0:1]
	s_add_i32 s17, s16, -8
.LBB3_44:                               ;   in Loop: Header=BB3_28 Depth=1
	s_add_u32 s0, s12, 8
	s_addc_u32 s1, s13, 0
	s_cmp_gt_u32 s17, 7
	s_cbranch_scc1 .LBB3_48
; %bb.45:                               ;   in Loop: Header=BB3_28 Depth=1
	s_cmp_eq_u32 s17, 0
	s_cbranch_scc1 .LBB3_49
; %bb.46:                               ;   in Loop: Header=BB3_28 Depth=1
	s_mov_b64 s[0:1], 0
	v_mov_b64_e32 v[12:13], 0
	s_mov_b64 s[14:15], 0
.LBB3_47:                               ;   Parent Loop BB3_28 Depth=1
                                        ; =>  This Inner Loop Header: Depth=2
	s_add_u32 s18, s12, s14
	s_addc_u32 s19, s13, s15
	global_load_ubyte v6, v31, s[18:19]
	s_add_u32 s14, s14, 1
	s_addc_u32 s15, s15, 0
	s_waitcnt vmcnt(0)
	v_and_b32_e32 v30, 0xffff, v6
	v_lshlrev_b64 v[6:7], s0, v[30:31]
	s_add_u32 s0, s0, 8
	s_addc_u32 s1, s1, 0
	v_or_b32_e32 v12, v6, v12
	s_cmp_lg_u32 s17, s14
	v_or_b32_e32 v13, v7, v13
	s_cbranch_scc1 .LBB3_47
	s_branch .LBB3_50
.LBB3_48:                               ;   in Loop: Header=BB3_28 Depth=1
	s_mov_b32 s16, 0
	s_branch .LBB3_51
.LBB3_49:                               ;   in Loop: Header=BB3_28 Depth=1
	v_mov_b64_e32 v[12:13], 0
.LBB3_50:                               ;   in Loop: Header=BB3_28 Depth=1
	s_mov_b64 s[0:1], s[12:13]
	s_mov_b32 s16, 0
	s_cbranch_execnz .LBB3_52
.LBB3_51:                               ;   in Loop: Header=BB3_28 Depth=1
	global_load_dwordx2 v[12:13], v31, s[12:13]
	s_add_i32 s16, s17, -8
.LBB3_52:                               ;   in Loop: Header=BB3_28 Depth=1
	s_add_u32 s12, s0, 8
	s_addc_u32 s13, s1, 0
	s_cmp_gt_u32 s16, 7
	s_cbranch_scc1 .LBB3_56
; %bb.53:                               ;   in Loop: Header=BB3_28 Depth=1
	s_cmp_eq_u32 s16, 0
	s_cbranch_scc1 .LBB3_57
; %bb.54:                               ;   in Loop: Header=BB3_28 Depth=1
	s_mov_b64 s[12:13], 0
	v_mov_b64_e32 v[14:15], 0
	s_mov_b64 s[14:15], 0
.LBB3_55:                               ;   Parent Loop BB3_28 Depth=1
                                        ; =>  This Inner Loop Header: Depth=2
	s_add_u32 s18, s0, s14
	s_addc_u32 s19, s1, s15
	global_load_ubyte v6, v31, s[18:19]
	s_add_u32 s14, s14, 1
	s_addc_u32 s15, s15, 0
	s_waitcnt vmcnt(0)
	v_and_b32_e32 v30, 0xffff, v6
	v_lshlrev_b64 v[6:7], s12, v[30:31]
	s_add_u32 s12, s12, 8
	s_addc_u32 s13, s13, 0
	v_or_b32_e32 v14, v6, v14
	s_cmp_lg_u32 s16, s14
	v_or_b32_e32 v15, v7, v15
	s_cbranch_scc1 .LBB3_55
	s_branch .LBB3_58
.LBB3_56:                               ;   in Loop: Header=BB3_28 Depth=1
                                        ; implicit-def: $vgpr14_vgpr15
	s_mov_b32 s17, 0
	s_branch .LBB3_59
.LBB3_57:                               ;   in Loop: Header=BB3_28 Depth=1
	v_mov_b64_e32 v[14:15], 0
.LBB3_58:                               ;   in Loop: Header=BB3_28 Depth=1
	s_mov_b64 s[12:13], s[0:1]
	s_mov_b32 s17, 0
	s_cbranch_execnz .LBB3_60
.LBB3_59:                               ;   in Loop: Header=BB3_28 Depth=1
	global_load_dwordx2 v[14:15], v31, s[0:1]
	s_add_i32 s17, s16, -8
.LBB3_60:                               ;   in Loop: Header=BB3_28 Depth=1
	s_add_u32 s0, s12, 8
	s_addc_u32 s1, s13, 0
	s_cmp_gt_u32 s17, 7
	s_cbranch_scc1 .LBB3_64
; %bb.61:                               ;   in Loop: Header=BB3_28 Depth=1
	s_cmp_eq_u32 s17, 0
	s_cbranch_scc1 .LBB3_65
; %bb.62:                               ;   in Loop: Header=BB3_28 Depth=1
	s_mov_b64 s[0:1], 0
	v_mov_b64_e32 v[16:17], 0
	s_mov_b64 s[14:15], 0
.LBB3_63:                               ;   Parent Loop BB3_28 Depth=1
                                        ; =>  This Inner Loop Header: Depth=2
	s_add_u32 s18, s12, s14
	s_addc_u32 s19, s13, s15
	global_load_ubyte v6, v31, s[18:19]
	s_add_u32 s14, s14, 1
	s_addc_u32 s15, s15, 0
	s_waitcnt vmcnt(0)
	v_and_b32_e32 v30, 0xffff, v6
	v_lshlrev_b64 v[6:7], s0, v[30:31]
	s_add_u32 s0, s0, 8
	s_addc_u32 s1, s1, 0
	v_or_b32_e32 v16, v6, v16
	s_cmp_lg_u32 s17, s14
	v_or_b32_e32 v17, v7, v17
	s_cbranch_scc1 .LBB3_63
	s_branch .LBB3_66
.LBB3_64:                               ;   in Loop: Header=BB3_28 Depth=1
	s_mov_b32 s16, 0
	s_branch .LBB3_67
.LBB3_65:                               ;   in Loop: Header=BB3_28 Depth=1
	v_mov_b64_e32 v[16:17], 0
.LBB3_66:                               ;   in Loop: Header=BB3_28 Depth=1
	s_mov_b64 s[0:1], s[12:13]
	s_mov_b32 s16, 0
	s_cbranch_execnz .LBB3_68
.LBB3_67:                               ;   in Loop: Header=BB3_28 Depth=1
	global_load_dwordx2 v[16:17], v31, s[12:13]
	s_add_i32 s16, s17, -8
.LBB3_68:                               ;   in Loop: Header=BB3_28 Depth=1
	s_add_u32 s12, s0, 8
	s_addc_u32 s13, s1, 0
	s_cmp_gt_u32 s16, 7
	s_cbranch_scc1 .LBB3_72
; %bb.69:                               ;   in Loop: Header=BB3_28 Depth=1
	s_cmp_eq_u32 s16, 0
	s_cbranch_scc1 .LBB3_73
; %bb.70:                               ;   in Loop: Header=BB3_28 Depth=1
	s_mov_b64 s[12:13], 0
	v_mov_b64_e32 v[18:19], 0
	s_mov_b64 s[14:15], 0
.LBB3_71:                               ;   Parent Loop BB3_28 Depth=1
                                        ; =>  This Inner Loop Header: Depth=2
	s_add_u32 s18, s0, s14
	s_addc_u32 s19, s1, s15
	global_load_ubyte v6, v31, s[18:19]
	s_add_u32 s14, s14, 1
	s_addc_u32 s15, s15, 0
	s_waitcnt vmcnt(0)
	v_and_b32_e32 v30, 0xffff, v6
	v_lshlrev_b64 v[6:7], s12, v[30:31]
	s_add_u32 s12, s12, 8
	s_addc_u32 s13, s13, 0
	v_or_b32_e32 v18, v6, v18
	s_cmp_lg_u32 s16, s14
	v_or_b32_e32 v19, v7, v19
	s_cbranch_scc1 .LBB3_71
	s_branch .LBB3_74
.LBB3_72:                               ;   in Loop: Header=BB3_28 Depth=1
                                        ; implicit-def: $vgpr18_vgpr19
	s_mov_b32 s17, 0
	s_branch .LBB3_75
.LBB3_73:                               ;   in Loop: Header=BB3_28 Depth=1
	v_mov_b64_e32 v[18:19], 0
.LBB3_74:                               ;   in Loop: Header=BB3_28 Depth=1
	s_mov_b64 s[12:13], s[0:1]
	s_mov_b32 s17, 0
	s_cbranch_execnz .LBB3_76
.LBB3_75:                               ;   in Loop: Header=BB3_28 Depth=1
	global_load_dwordx2 v[18:19], v31, s[0:1]
	s_add_i32 s17, s16, -8
.LBB3_76:                               ;   in Loop: Header=BB3_28 Depth=1
	s_cmp_gt_u32 s17, 7
	s_cbranch_scc1 .LBB3_80
; %bb.77:                               ;   in Loop: Header=BB3_28 Depth=1
	s_cmp_eq_u32 s17, 0
	s_cbranch_scc1 .LBB3_81
; %bb.78:                               ;   in Loop: Header=BB3_28 Depth=1
	s_mov_b64 s[0:1], 0
	v_mov_b64_e32 v[20:21], 0
	s_mov_b64 s[14:15], s[12:13]
.LBB3_79:                               ;   Parent Loop BB3_28 Depth=1
                                        ; =>  This Inner Loop Header: Depth=2
	global_load_ubyte v6, v31, s[14:15]
	s_add_i32 s17, s17, -1
	s_waitcnt vmcnt(0)
	v_and_b32_e32 v30, 0xffff, v6
	v_lshlrev_b64 v[6:7], s0, v[30:31]
	s_add_u32 s0, s0, 8
	s_addc_u32 s1, s1, 0
	s_add_u32 s14, s14, 1
	s_addc_u32 s15, s15, 0
	v_or_b32_e32 v20, v6, v20
	s_cmp_lg_u32 s17, 0
	v_or_b32_e32 v21, v7, v21
	s_cbranch_scc1 .LBB3_79
	s_branch .LBB3_82
.LBB3_80:                               ;   in Loop: Header=BB3_28 Depth=1
	s_branch .LBB3_83
.LBB3_81:                               ;   in Loop: Header=BB3_28 Depth=1
	v_mov_b64_e32 v[20:21], 0
.LBB3_82:                               ;   in Loop: Header=BB3_28 Depth=1
	s_cbranch_execnz .LBB3_84
.LBB3_83:                               ;   in Loop: Header=BB3_28 Depth=1
	global_load_dwordx2 v[20:21], v31, s[12:13]
.LBB3_84:                               ;   in Loop: Header=BB3_28 Depth=1
	v_readfirstlane_b32 s0, v29
	v_mov_b64_e32 v[6:7], 0
	s_nop 0
	v_cmp_eq_u32_e64 s[0:1], s0, v29
	s_and_saveexec_b64 s[12:13], s[0:1]
	s_cbranch_execz .LBB3_90
; %bb.85:                               ;   in Loop: Header=BB3_28 Depth=1
	global_load_dwordx2 v[24:25], v31, s[2:3] offset:24 sc0 sc1
	s_waitcnt vmcnt(0)
	buffer_inv sc0 sc1
	global_load_dwordx2 v[6:7], v31, s[2:3] offset:40
	global_load_dwordx2 v[22:23], v31, s[2:3]
	s_waitcnt vmcnt(1)
	v_and_b32_e32 v6, v6, v24
	v_and_b32_e32 v7, v7, v25
	v_mul_lo_u32 v7, v7, 24
	v_mul_hi_u32 v27, v6, 24
	v_add_u32_e32 v7, v27, v7
	v_mul_lo_u32 v6, v6, 24
	s_waitcnt vmcnt(0)
	v_lshl_add_u64 v[6:7], v[22:23], 0, v[6:7]
	global_load_dwordx2 v[22:23], v[6:7], off sc0 sc1
	s_waitcnt vmcnt(0)
	global_atomic_cmpswap_x2 v[6:7], v31, v[22:25], s[2:3] offset:24 sc0 sc1
	s_waitcnt vmcnt(0)
	buffer_inv sc0 sc1
	v_cmp_ne_u64_e32 vcc, v[6:7], v[24:25]
	s_and_saveexec_b64 s[14:15], vcc
	s_cbranch_execz .LBB3_89
; %bb.86:                               ;   in Loop: Header=BB3_28 Depth=1
	s_mov_b64 s[16:17], 0
.LBB3_87:                               ;   Parent Loop BB3_28 Depth=1
                                        ; =>  This Inner Loop Header: Depth=2
	s_sleep 1
	global_load_dwordx2 v[22:23], v31, s[2:3] offset:40
	global_load_dwordx2 v[32:33], v31, s[2:3]
	v_mov_b64_e32 v[24:25], v[6:7]
	s_waitcnt vmcnt(1)
	v_and_b32_e32 v6, v22, v24
	s_waitcnt vmcnt(0)
	v_mad_u64_u32 v[6:7], s[18:19], v6, 24, v[32:33]
	v_and_b32_e32 v23, v23, v25
	v_mov_b32_e32 v22, v7
	v_mad_u64_u32 v[22:23], s[18:19], v23, 24, v[22:23]
	v_mov_b32_e32 v7, v22
	global_load_dwordx2 v[22:23], v[6:7], off sc0 sc1
	s_waitcnt vmcnt(0)
	global_atomic_cmpswap_x2 v[6:7], v31, v[22:25], s[2:3] offset:24 sc0 sc1
	s_waitcnt vmcnt(0)
	buffer_inv sc0 sc1
	v_cmp_eq_u64_e32 vcc, v[6:7], v[24:25]
	s_or_b64 s[16:17], vcc, s[16:17]
	s_andn2_b64 exec, exec, s[16:17]
	s_cbranch_execnz .LBB3_87
; %bb.88:                               ;   in Loop: Header=BB3_28 Depth=1
	s_or_b64 exec, exec, s[16:17]
.LBB3_89:                               ;   in Loop: Header=BB3_28 Depth=1
	s_or_b64 exec, exec, s[14:15]
.LBB3_90:                               ;   in Loop: Header=BB3_28 Depth=1
	s_or_b64 exec, exec, s[12:13]
	global_load_dwordx2 v[32:33], v31, s[2:3] offset:40
	global_load_dwordx4 v[22:25], v31, s[2:3]
	v_readfirstlane_b32 s13, v7
	v_readfirstlane_b32 s12, v6
	s_mov_b64 s[14:15], exec
	s_waitcnt vmcnt(1)
	v_readfirstlane_b32 s16, v32
	v_readfirstlane_b32 s17, v33
	s_and_b64 s[16:17], s[16:17], s[12:13]
	s_mul_i32 s18, s17, 24
	s_mul_hi_u32 s19, s16, 24
	s_add_i32 s19, s19, s18
	s_mul_i32 s18, s16, 24
	s_waitcnt vmcnt(0)
	v_lshl_add_u64 v[32:33], v[22:23], 0, s[18:19]
	s_and_saveexec_b64 s[18:19], s[0:1]
	s_cbranch_execz .LBB3_92
; %bb.91:                               ;   in Loop: Header=BB3_28 Depth=1
	v_mov_b64_e32 v[6:7], s[14:15]
	global_store_dwordx4 v[32:33], v[6:9], off offset:8
.LBB3_92:                               ;   in Loop: Header=BB3_28 Depth=1
	s_or_b64 exec, exec, s[18:19]
	s_lshl_b64 s[14:15], s[16:17], 12
	v_lshl_add_u64 v[6:7], v[24:25], 0, s[14:15]
	v_cmp_lt_u64_e64 vcc, s[6:7], 57
	s_lshl_b32 s14, s10, 2
	s_add_i32 s14, s14, 28
	v_cndmask_b32_e32 v24, 0, v28, vcc
	v_and_b32_e32 v0, 0xffffff1f, v0
	s_and_b32 s14, s14, 0x1e0
	v_or_b32_e32 v0, v0, v24
	v_or_b32_e32 v0, s14, v0
	v_readfirstlane_b32 s14, v6
	v_readfirstlane_b32 s15, v7
	s_nop 4
	global_store_dwordx4 v26, v[0:3], s[14:15]
	global_store_dwordx4 v26, v[10:13], s[14:15] offset:16
	global_store_dwordx4 v26, v[14:17], s[14:15] offset:32
	global_store_dwordx4 v26, v[18:21], s[14:15] offset:48
	s_and_saveexec_b64 s[14:15], s[0:1]
	s_cbranch_execz .LBB3_100
; %bb.93:                               ;   in Loop: Header=BB3_28 Depth=1
	global_load_dwordx2 v[14:15], v31, s[2:3] offset:32 sc0 sc1
	global_load_dwordx2 v[0:1], v31, s[2:3] offset:40
	v_mov_b32_e32 v12, s12
	v_mov_b32_e32 v13, s13
	s_waitcnt vmcnt(0)
	v_readfirstlane_b32 s16, v0
	v_readfirstlane_b32 s17, v1
	s_and_b64 s[16:17], s[16:17], s[12:13]
	s_mul_i32 s17, s17, 24
	s_mul_hi_u32 s18, s16, 24
	s_mul_i32 s16, s16, 24
	s_add_i32 s17, s18, s17
	v_lshl_add_u64 v[10:11], v[22:23], 0, s[16:17]
	global_store_dwordx2 v[10:11], v[14:15], off
	buffer_wbl2 sc0 sc1
	s_waitcnt vmcnt(0)
	global_atomic_cmpswap_x2 v[2:3], v31, v[12:15], s[2:3] offset:32 sc0 sc1
	s_waitcnt vmcnt(0)
	v_cmp_ne_u64_e32 vcc, v[2:3], v[14:15]
	s_and_saveexec_b64 s[16:17], vcc
	s_cbranch_execz .LBB3_96
; %bb.94:                               ;   in Loop: Header=BB3_28 Depth=1
	s_mov_b64 s[18:19], 0
.LBB3_95:                               ;   Parent Loop BB3_28 Depth=1
                                        ; =>  This Inner Loop Header: Depth=2
	s_sleep 1
	global_store_dwordx2 v[10:11], v[2:3], off
	v_mov_b32_e32 v0, s12
	v_mov_b32_e32 v1, s13
	buffer_wbl2 sc0 sc1
	s_waitcnt vmcnt(0)
	global_atomic_cmpswap_x2 v[0:1], v31, v[0:3], s[2:3] offset:32 sc0 sc1
	s_waitcnt vmcnt(0)
	v_cmp_eq_u64_e32 vcc, v[0:1], v[2:3]
	s_or_b64 s[18:19], vcc, s[18:19]
	v_mov_b64_e32 v[2:3], v[0:1]
	s_andn2_b64 exec, exec, s[18:19]
	s_cbranch_execnz .LBB3_95
.LBB3_96:                               ;   in Loop: Header=BB3_28 Depth=1
	s_or_b64 exec, exec, s[16:17]
	global_load_dwordx2 v[0:1], v31, s[2:3] offset:16
	s_mov_b64 s[18:19], exec
	v_mbcnt_lo_u32_b32 v2, s18, 0
	v_mbcnt_hi_u32_b32 v2, s19, v2
	v_cmp_eq_u32_e32 vcc, 0, v2
	s_and_saveexec_b64 s[16:17], vcc
	s_cbranch_execz .LBB3_98
; %bb.97:                               ;   in Loop: Header=BB3_28 Depth=1
	s_bcnt1_i32_b64 s18, s[18:19]
	v_mov_b32_e32 v30, s18
	buffer_wbl2 sc0 sc1
	s_waitcnt vmcnt(0)
	global_atomic_add_x2 v[0:1], v[30:31], off offset:8 sc1
.LBB3_98:                               ;   in Loop: Header=BB3_28 Depth=1
	s_or_b64 exec, exec, s[16:17]
	s_waitcnt vmcnt(0)
	global_load_dwordx2 v[2:3], v[0:1], off offset:16
	s_waitcnt vmcnt(0)
	v_cmp_eq_u64_e32 vcc, 0, v[2:3]
	s_cbranch_vccnz .LBB3_100
; %bb.99:                               ;   in Loop: Header=BB3_28 Depth=1
	global_load_dword v30, v[0:1], off offset:24
	s_waitcnt vmcnt(0)
	v_readfirstlane_b32 s16, v30
	s_and_b32 m0, s16, 0xffffff
	buffer_wbl2 sc0 sc1
	global_store_dwordx2 v[2:3], v[30:31], off sc0 sc1
	s_sendmsg sendmsg(MSG_INTERRUPT)
.LBB3_100:                              ;   in Loop: Header=BB3_28 Depth=1
	s_or_b64 exec, exec, s[14:15]
	v_mov_b32_e32 v27, v31
	v_lshl_add_u64 v[0:1], v[6:7], 0, v[26:27]
	s_branch .LBB3_104
.LBB3_101:                              ;   in Loop: Header=BB3_104 Depth=2
	s_or_b64 exec, exec, s[14:15]
	v_readfirstlane_b32 s14, v2
	s_cmp_eq_u32 s14, 0
	s_cbranch_scc1 .LBB3_103
; %bb.102:                              ;   in Loop: Header=BB3_104 Depth=2
	s_sleep 1
	s_cbranch_execnz .LBB3_104
	s_branch .LBB3_106
.LBB3_103:                              ;   in Loop: Header=BB3_28 Depth=1
	s_branch .LBB3_106
.LBB3_104:                              ;   Parent Loop BB3_28 Depth=1
                                        ; =>  This Inner Loop Header: Depth=2
	v_mov_b32_e32 v2, 1
	s_and_saveexec_b64 s[14:15], s[0:1]
	s_cbranch_execz .LBB3_101
; %bb.105:                              ;   in Loop: Header=BB3_104 Depth=2
	global_load_dword v2, v[32:33], off offset:20 sc0 sc1
	s_waitcnt vmcnt(0)
	buffer_inv sc0 sc1
	v_and_b32_e32 v2, 1, v2
	s_branch .LBB3_101
.LBB3_106:                              ;   in Loop: Header=BB3_28 Depth=1
	global_load_dwordx2 v[0:1], v[0:1], off
	s_and_saveexec_b64 s[14:15], s[0:1]
	s_cbranch_execz .LBB3_27
; %bb.107:                              ;   in Loop: Header=BB3_28 Depth=1
	global_load_dwordx2 v[2:3], v31, s[2:3] offset:40
	global_load_dwordx2 v[14:15], v31, s[2:3] offset:24 sc0 sc1
	global_load_dwordx2 v[6:7], v31, s[2:3]
	s_waitcnt vmcnt(2)
	v_readfirstlane_b32 s16, v2
	v_readfirstlane_b32 s17, v3
	s_add_u32 s18, s16, 1
	s_addc_u32 s19, s17, 0
	s_add_u32 s0, s18, s12
	s_addc_u32 s1, s19, s13
	s_cmp_eq_u64 s[0:1], 0
	s_cselect_b32 s1, s19, s1
	s_cselect_b32 s0, s18, s0
	s_and_b64 s[12:13], s[0:1], s[16:17]
	s_mul_i32 s13, s13, 24
	s_mul_hi_u32 s16, s12, 24
	s_mul_i32 s12, s12, 24
	s_add_i32 s13, s16, s13
	s_waitcnt vmcnt(0)
	v_lshl_add_u64 v[2:3], v[6:7], 0, s[12:13]
	v_mov_b32_e32 v12, s0
	global_store_dwordx2 v[2:3], v[14:15], off
	v_mov_b32_e32 v13, s1
	buffer_wbl2 sc0 sc1
	s_waitcnt vmcnt(0)
	global_atomic_cmpswap_x2 v[12:13], v31, v[12:15], s[2:3] offset:24 sc0 sc1
	s_waitcnt vmcnt(0)
	v_cmp_ne_u64_e32 vcc, v[12:13], v[14:15]
	s_and_b64 exec, exec, vcc
	s_cbranch_execz .LBB3_27
; %bb.108:                              ;   in Loop: Header=BB3_28 Depth=1
	s_mov_b64 s[12:13], 0
.LBB3_109:                              ;   Parent Loop BB3_28 Depth=1
                                        ; =>  This Inner Loop Header: Depth=2
	s_sleep 1
	global_store_dwordx2 v[2:3], v[12:13], off
	v_mov_b32_e32 v10, s0
	v_mov_b32_e32 v11, s1
	buffer_wbl2 sc0 sc1
	s_waitcnt vmcnt(0)
	global_atomic_cmpswap_x2 v[6:7], v31, v[10:13], s[2:3] offset:24 sc0 sc1
	s_waitcnt vmcnt(0)
	v_cmp_eq_u64_e32 vcc, v[6:7], v[12:13]
	s_or_b64 s[12:13], vcc, s[12:13]
	v_mov_b64_e32 v[12:13], v[6:7]
	s_andn2_b64 exec, exec, s[12:13]
	s_cbranch_execnz .LBB3_109
	s_branch .LBB3_27
.LBB3_110:
                                        ; implicit-def: $vgpr0_vgpr1
	s_cbranch_execnz .LBB3_112
	s_branch .LBB3_138
.LBB3_111:
	s_branch .LBB3_138
.LBB3_112:
	v_readfirstlane_b32 s0, v29
	v_mov_b64_e32 v[6:7], 0
	s_nop 0
	v_cmp_eq_u32_e64 s[0:1], s0, v29
	s_and_saveexec_b64 s[4:5], s[0:1]
	s_cbranch_execz .LBB3_118
; %bb.113:
	s_waitcnt vmcnt(0)
	v_mov_b32_e32 v0, 0
	global_load_dwordx2 v[8:9], v0, s[2:3] offset:24 sc0 sc1
	s_waitcnt vmcnt(0)
	buffer_inv sc0 sc1
	global_load_dwordx2 v[2:3], v0, s[2:3] offset:40
	global_load_dwordx2 v[6:7], v0, s[2:3]
	s_waitcnt vmcnt(1)
	v_and_b32_e32 v1, v2, v8
	v_and_b32_e32 v2, v3, v9
	v_mul_lo_u32 v2, v2, 24
	v_mul_hi_u32 v3, v1, 24
	v_add_u32_e32 v3, v3, v2
	v_mul_lo_u32 v2, v1, 24
	s_waitcnt vmcnt(0)
	v_lshl_add_u64 v[2:3], v[6:7], 0, v[2:3]
	global_load_dwordx2 v[6:7], v[2:3], off sc0 sc1
	s_waitcnt vmcnt(0)
	global_atomic_cmpswap_x2 v[6:7], v0, v[6:9], s[2:3] offset:24 sc0 sc1
	s_waitcnt vmcnt(0)
	buffer_inv sc0 sc1
	v_cmp_ne_u64_e32 vcc, v[6:7], v[8:9]
	s_and_saveexec_b64 s[6:7], vcc
	s_cbranch_execz .LBB3_117
; %bb.114:
	s_mov_b64 s[10:11], 0
.LBB3_115:                              ; =>This Inner Loop Header: Depth=1
	s_sleep 1
	global_load_dwordx2 v[2:3], v0, s[2:3] offset:40
	global_load_dwordx2 v[10:11], v0, s[2:3]
	v_mov_b64_e32 v[8:9], v[6:7]
	s_waitcnt vmcnt(1)
	v_and_b32_e32 v2, v2, v8
	v_and_b32_e32 v1, v3, v9
	s_waitcnt vmcnt(0)
	v_mad_u64_u32 v[2:3], s[12:13], v2, 24, v[10:11]
	v_mov_b32_e32 v6, v3
	v_mad_u64_u32 v[6:7], s[12:13], v1, 24, v[6:7]
	v_mov_b32_e32 v3, v6
	global_load_dwordx2 v[6:7], v[2:3], off sc0 sc1
	s_waitcnt vmcnt(0)
	global_atomic_cmpswap_x2 v[6:7], v0, v[6:9], s[2:3] offset:24 sc0 sc1
	s_waitcnt vmcnt(0)
	buffer_inv sc0 sc1
	v_cmp_eq_u64_e32 vcc, v[6:7], v[8:9]
	s_or_b64 s[10:11], vcc, s[10:11]
	s_andn2_b64 exec, exec, s[10:11]
	s_cbranch_execnz .LBB3_115
; %bb.116:
	s_or_b64 exec, exec, s[10:11]
.LBB3_117:
	s_or_b64 exec, exec, s[6:7]
.LBB3_118:
	s_or_b64 exec, exec, s[4:5]
	v_mov_b32_e32 v27, 0
	global_load_dwordx2 v[8:9], v27, s[2:3] offset:40
	global_load_dwordx4 v[0:3], v27, s[2:3]
	v_readfirstlane_b32 s5, v7
	v_readfirstlane_b32 s4, v6
	s_mov_b64 s[6:7], exec
	s_waitcnt vmcnt(1)
	v_readfirstlane_b32 s10, v8
	v_readfirstlane_b32 s11, v9
	s_and_b64 s[10:11], s[10:11], s[4:5]
	s_mul_i32 s12, s11, 24
	s_mul_hi_u32 s13, s10, 24
	s_add_i32 s13, s13, s12
	s_mul_i32 s12, s10, 24
	s_waitcnt vmcnt(0)
	v_lshl_add_u64 v[8:9], v[0:1], 0, s[12:13]
	s_and_saveexec_b64 s[12:13], s[0:1]
	s_cbranch_execz .LBB3_120
; %bb.119:
	v_mov_b64_e32 v[10:11], s[6:7]
	v_mov_b32_e32 v12, 2
	v_mov_b32_e32 v13, 1
	global_store_dwordx4 v[8:9], v[10:13], off offset:8
.LBB3_120:
	s_or_b64 exec, exec, s[12:13]
	s_lshl_b64 s[6:7], s[10:11], 12
	v_lshl_add_u64 v[10:11], v[2:3], 0, s[6:7]
	s_movk_i32 s6, 0xff1f
	s_mov_b32 s12, 0
	v_and_or_b32 v4, v4, s6, 32
	v_mov_b32_e32 v6, v27
	v_mov_b32_e32 v7, v27
	v_readfirstlane_b32 s6, v10
	v_readfirstlane_b32 s7, v11
	s_mov_b32 s13, s12
	s_mov_b32 s14, s12
	;; [unrolled: 1-line block ×3, first 2 shown]
	s_nop 1
	global_store_dwordx4 v26, v[4:7], s[6:7]
	v_mov_b64_e32 v[2:3], s[12:13]
	s_nop 0
	v_mov_b64_e32 v[4:5], s[14:15]
	global_store_dwordx4 v26, v[2:5], s[6:7] offset:16
	global_store_dwordx4 v26, v[2:5], s[6:7] offset:32
	;; [unrolled: 1-line block ×3, first 2 shown]
	s_and_saveexec_b64 s[6:7], s[0:1]
	s_cbranch_execz .LBB3_128
; %bb.121:
	v_mov_b32_e32 v6, 0
	global_load_dwordx2 v[14:15], v6, s[2:3] offset:32 sc0 sc1
	global_load_dwordx2 v[2:3], v6, s[2:3] offset:40
	v_mov_b32_e32 v12, s4
	v_mov_b32_e32 v13, s5
	s_waitcnt vmcnt(0)
	v_readfirstlane_b32 s10, v2
	v_readfirstlane_b32 s11, v3
	s_and_b64 s[10:11], s[10:11], s[4:5]
	s_mul_i32 s11, s11, 24
	s_mul_hi_u32 s12, s10, 24
	s_mul_i32 s10, s10, 24
	s_add_i32 s11, s12, s11
	v_lshl_add_u64 v[4:5], v[0:1], 0, s[10:11]
	global_store_dwordx2 v[4:5], v[14:15], off
	buffer_wbl2 sc0 sc1
	s_waitcnt vmcnt(0)
	global_atomic_cmpswap_x2 v[2:3], v6, v[12:15], s[2:3] offset:32 sc0 sc1
	s_waitcnt vmcnt(0)
	v_cmp_ne_u64_e32 vcc, v[2:3], v[14:15]
	s_and_saveexec_b64 s[10:11], vcc
	s_cbranch_execz .LBB3_124
; %bb.122:
	s_mov_b64 s[12:13], 0
.LBB3_123:                              ; =>This Inner Loop Header: Depth=1
	s_sleep 1
	global_store_dwordx2 v[4:5], v[2:3], off
	v_mov_b32_e32 v0, s4
	v_mov_b32_e32 v1, s5
	buffer_wbl2 sc0 sc1
	s_waitcnt vmcnt(0)
	global_atomic_cmpswap_x2 v[0:1], v6, v[0:3], s[2:3] offset:32 sc0 sc1
	s_waitcnt vmcnt(0)
	v_cmp_eq_u64_e32 vcc, v[0:1], v[2:3]
	s_or_b64 s[12:13], vcc, s[12:13]
	v_mov_b64_e32 v[2:3], v[0:1]
	s_andn2_b64 exec, exec, s[12:13]
	s_cbranch_execnz .LBB3_123
.LBB3_124:
	s_or_b64 exec, exec, s[10:11]
	v_mov_b32_e32 v3, 0
	global_load_dwordx2 v[0:1], v3, s[2:3] offset:16
	s_mov_b64 s[10:11], exec
	v_mbcnt_lo_u32_b32 v2, s10, 0
	v_mbcnt_hi_u32_b32 v2, s11, v2
	v_cmp_eq_u32_e32 vcc, 0, v2
	s_and_saveexec_b64 s[12:13], vcc
	s_cbranch_execz .LBB3_126
; %bb.125:
	s_bcnt1_i32_b64 s10, s[10:11]
	v_mov_b32_e32 v2, s10
	buffer_wbl2 sc0 sc1
	s_waitcnt vmcnt(0)
	global_atomic_add_x2 v[0:1], v[2:3], off offset:8 sc1
.LBB3_126:
	s_or_b64 exec, exec, s[12:13]
	s_waitcnt vmcnt(0)
	global_load_dwordx2 v[2:3], v[0:1], off offset:16
	s_waitcnt vmcnt(0)
	v_cmp_eq_u64_e32 vcc, 0, v[2:3]
	s_cbranch_vccnz .LBB3_128
; %bb.127:
	global_load_dword v0, v[0:1], off offset:24
	v_mov_b32_e32 v1, 0
	s_waitcnt vmcnt(0)
	v_readfirstlane_b32 s10, v0
	s_and_b32 m0, s10, 0xffffff
	buffer_wbl2 sc0 sc1
	global_store_dwordx2 v[2:3], v[0:1], off sc0 sc1
	s_sendmsg sendmsg(MSG_INTERRUPT)
.LBB3_128:
	s_or_b64 exec, exec, s[6:7]
	v_lshl_add_u64 v[0:1], v[10:11], 0, v[26:27]
	s_branch .LBB3_132
.LBB3_129:                              ;   in Loop: Header=BB3_132 Depth=1
	s_or_b64 exec, exec, s[6:7]
	v_readfirstlane_b32 s6, v2
	s_cmp_eq_u32 s6, 0
	s_cbranch_scc1 .LBB3_131
; %bb.130:                              ;   in Loop: Header=BB3_132 Depth=1
	s_sleep 1
	s_cbranch_execnz .LBB3_132
	s_branch .LBB3_134
.LBB3_131:
	s_branch .LBB3_134
.LBB3_132:                              ; =>This Inner Loop Header: Depth=1
	v_mov_b32_e32 v2, 1
	s_and_saveexec_b64 s[6:7], s[0:1]
	s_cbranch_execz .LBB3_129
; %bb.133:                              ;   in Loop: Header=BB3_132 Depth=1
	global_load_dword v2, v[8:9], off offset:20 sc0 sc1
	s_waitcnt vmcnt(0)
	buffer_inv sc0 sc1
	v_and_b32_e32 v2, 1, v2
	s_branch .LBB3_129
.LBB3_134:
	global_load_dwordx2 v[0:1], v[0:1], off
	s_and_saveexec_b64 s[6:7], s[0:1]
	s_cbranch_execz .LBB3_137
; %bb.135:
	v_mov_b32_e32 v8, 0
	global_load_dwordx2 v[2:3], v8, s[2:3] offset:40
	global_load_dwordx2 v[12:13], v8, s[2:3] offset:24 sc0 sc1
	global_load_dwordx2 v[4:5], v8, s[2:3]
	s_waitcnt vmcnt(2)
	v_readfirstlane_b32 s10, v2
	v_readfirstlane_b32 s11, v3
	s_add_u32 s12, s10, 1
	s_addc_u32 s13, s11, 0
	s_add_u32 s0, s12, s4
	s_addc_u32 s1, s13, s5
	s_cmp_eq_u64 s[0:1], 0
	s_cselect_b32 s1, s13, s1
	s_cselect_b32 s0, s12, s0
	s_and_b64 s[4:5], s[0:1], s[10:11]
	s_mul_i32 s5, s5, 24
	s_mul_hi_u32 s10, s4, 24
	s_mul_i32 s4, s4, 24
	s_add_i32 s5, s10, s5
	s_waitcnt vmcnt(0)
	v_lshl_add_u64 v[6:7], v[4:5], 0, s[4:5]
	v_mov_b32_e32 v10, s0
	global_store_dwordx2 v[6:7], v[12:13], off
	v_mov_b32_e32 v11, s1
	buffer_wbl2 sc0 sc1
	s_waitcnt vmcnt(0)
	global_atomic_cmpswap_x2 v[4:5], v8, v[10:13], s[2:3] offset:24 sc0 sc1
	s_mov_b64 s[4:5], 0
	s_waitcnt vmcnt(0)
	v_cmp_ne_u64_e32 vcc, v[4:5], v[12:13]
	s_and_b64 exec, exec, vcc
	s_cbranch_execz .LBB3_137
.LBB3_136:                              ; =>This Inner Loop Header: Depth=1
	s_sleep 1
	global_store_dwordx2 v[6:7], v[4:5], off
	v_mov_b32_e32 v2, s0
	v_mov_b32_e32 v3, s1
	buffer_wbl2 sc0 sc1
	s_waitcnt vmcnt(0)
	global_atomic_cmpswap_x2 v[2:3], v8, v[2:5], s[2:3] offset:24 sc0 sc1
	s_waitcnt vmcnt(0)
	v_cmp_eq_u64_e32 vcc, v[2:3], v[4:5]
	s_or_b64 s[4:5], vcc, s[4:5]
	v_mov_b64_e32 v[4:5], v[2:3]
	s_andn2_b64 exec, exec, s[4:5]
	s_cbranch_execnz .LBB3_136
.LBB3_137:
	s_or_b64 exec, exec, s[6:7]
.LBB3_138:
	s_getpc_b64 s[4:5]
	s_add_u32 s4, s4, .str.3@rel32@lo+4
	s_addc_u32 s5, s5, .str.3@rel32@hi+12
	s_cmp_lg_u64 s[4:5], 0
	s_cselect_b64 s[0:1], -1, 0
	s_cmp_eq_u64 s[4:5], 0
	s_mov_b64 s[4:5], 0
	s_cbranch_scc1 .LBB3_142
; %bb.139:
	v_mov_b32_e32 v2, 0
	s_getpc_b64 s[4:5]
	s_add_u32 s4, s4, .str.3@rel32@lo+3
	s_addc_u32 s5, s5, .str.3@rel32@hi+11
.LBB3_140:                              ; =>This Inner Loop Header: Depth=1
	global_load_ubyte v3, v2, s[4:5] offset:1
	s_add_u32 s6, s4, 1
	s_addc_u32 s7, s5, 0
	s_mov_b64 s[4:5], s[6:7]
	s_waitcnt vmcnt(0)
	v_cmp_ne_u32_e32 vcc, 0, v3
	s_cbranch_vccnz .LBB3_140
; %bb.141:
	s_getpc_b64 s[4:5]
	s_add_u32 s4, s4, .str.3@rel32@lo+4
	s_addc_u32 s5, s5, .str.3@rel32@hi+12
	s_sub_u32 s4, s6, s4
	s_subb_u32 s5, s7, s5
	s_add_u32 s4, s4, 1
	s_addc_u32 s5, s5, 0
.LBB3_142:
	s_and_b64 vcc, exec, s[0:1]
	s_cbranch_vccz .LBB3_227
; %bb.143:
	s_waitcnt vmcnt(0)
	v_and_b32_e32 v28, 2, v0
	v_mov_b32_e32 v31, 0
	v_and_b32_e32 v2, -3, v0
	v_mov_b32_e32 v3, v1
	v_mov_b32_e32 v8, 2
	;; [unrolled: 1-line block ×3, first 2 shown]
	s_getpc_b64 s[6:7]
	s_add_u32 s6, s6, .str.3@rel32@lo+4
	s_addc_u32 s7, s7, .str.3@rel32@hi+12
	s_branch .LBB3_145
.LBB3_144:                              ;   in Loop: Header=BB3_145 Depth=1
	s_or_b64 exec, exec, s[14:15]
	s_sub_u32 s4, s4, s10
	s_subb_u32 s5, s5, s11
	s_add_u32 s6, s6, s10
	s_addc_u32 s7, s7, s11
	s_cmp_lg_u64 s[4:5], 0
	s_cbranch_scc0 .LBB3_228
.LBB3_145:                              ; =>This Loop Header: Depth=1
                                        ;     Child Loop BB3_148 Depth 2
                                        ;     Child Loop BB3_156 Depth 2
	;; [unrolled: 1-line block ×11, first 2 shown]
	v_cmp_lt_u64_e64 s[0:1], s[4:5], 56
	s_and_b64 s[0:1], s[0:1], exec
	s_cselect_b32 s11, s5, 0
	s_cselect_b32 s10, s4, 56
	v_cmp_gt_u64_e64 s[12:13], s[4:5], 7
	s_add_u32 s0, s6, 8
	s_addc_u32 s1, s7, 0
	s_and_b64 vcc, exec, s[12:13]
	s_cbranch_vccnz .LBB3_149
; %bb.146:                              ;   in Loop: Header=BB3_145 Depth=1
	s_cmp_eq_u64 s[4:5], 0
	s_cbranch_scc1 .LBB3_150
; %bb.147:                              ;   in Loop: Header=BB3_145 Depth=1
	s_lshl_b64 s[0:1], s[10:11], 3
	s_mov_b64 s[12:13], 0
	v_mov_b64_e32 v[4:5], 0
	s_mov_b64 s[14:15], s[6:7]
.LBB3_148:                              ;   Parent Loop BB3_145 Depth=1
                                        ; =>  This Inner Loop Header: Depth=2
	global_load_ubyte v6, v31, s[14:15]
	s_waitcnt vmcnt(0)
	v_and_b32_e32 v30, 0xffff, v6
	v_lshlrev_b64 v[6:7], s12, v[30:31]
	s_add_u32 s12, s12, 8
	s_addc_u32 s13, s13, 0
	s_add_u32 s14, s14, 1
	s_addc_u32 s15, s15, 0
	v_or_b32_e32 v4, v6, v4
	s_cmp_lg_u32 s0, s12
	v_or_b32_e32 v5, v7, v5
	s_cbranch_scc1 .LBB3_148
	s_branch .LBB3_151
.LBB3_149:                              ;   in Loop: Header=BB3_145 Depth=1
	s_mov_b32 s16, 0
	s_branch .LBB3_152
.LBB3_150:                              ;   in Loop: Header=BB3_145 Depth=1
	v_mov_b64_e32 v[4:5], 0
.LBB3_151:                              ;   in Loop: Header=BB3_145 Depth=1
	s_mov_b64 s[0:1], s[6:7]
	s_mov_b32 s16, 0
	s_cbranch_execnz .LBB3_153
.LBB3_152:                              ;   in Loop: Header=BB3_145 Depth=1
	global_load_dwordx2 v[4:5], v31, s[6:7]
	s_add_i32 s16, s10, -8
.LBB3_153:                              ;   in Loop: Header=BB3_145 Depth=1
	s_add_u32 s12, s0, 8
	s_addc_u32 s13, s1, 0
	s_cmp_gt_u32 s16, 7
	s_cbranch_scc1 .LBB3_157
; %bb.154:                              ;   in Loop: Header=BB3_145 Depth=1
	s_cmp_eq_u32 s16, 0
	s_cbranch_scc1 .LBB3_158
; %bb.155:                              ;   in Loop: Header=BB3_145 Depth=1
	s_mov_b64 s[12:13], 0
	v_mov_b64_e32 v[10:11], 0
	s_mov_b64 s[14:15], 0
.LBB3_156:                              ;   Parent Loop BB3_145 Depth=1
                                        ; =>  This Inner Loop Header: Depth=2
	s_add_u32 s18, s0, s14
	s_addc_u32 s19, s1, s15
	global_load_ubyte v6, v31, s[18:19]
	s_add_u32 s14, s14, 1
	s_addc_u32 s15, s15, 0
	s_waitcnt vmcnt(0)
	v_and_b32_e32 v30, 0xffff, v6
	v_lshlrev_b64 v[6:7], s12, v[30:31]
	s_add_u32 s12, s12, 8
	s_addc_u32 s13, s13, 0
	v_or_b32_e32 v10, v6, v10
	s_cmp_lg_u32 s16, s14
	v_or_b32_e32 v11, v7, v11
	s_cbranch_scc1 .LBB3_156
	s_branch .LBB3_159
.LBB3_157:                              ;   in Loop: Header=BB3_145 Depth=1
                                        ; implicit-def: $vgpr10_vgpr11
	s_mov_b32 s17, 0
	s_branch .LBB3_160
.LBB3_158:                              ;   in Loop: Header=BB3_145 Depth=1
	v_mov_b64_e32 v[10:11], 0
.LBB3_159:                              ;   in Loop: Header=BB3_145 Depth=1
	s_mov_b64 s[12:13], s[0:1]
	s_mov_b32 s17, 0
	s_cbranch_execnz .LBB3_161
.LBB3_160:                              ;   in Loop: Header=BB3_145 Depth=1
	global_load_dwordx2 v[10:11], v31, s[0:1]
	s_add_i32 s17, s16, -8
.LBB3_161:                              ;   in Loop: Header=BB3_145 Depth=1
	s_add_u32 s0, s12, 8
	s_addc_u32 s1, s13, 0
	s_cmp_gt_u32 s17, 7
	s_cbranch_scc1 .LBB3_165
; %bb.162:                              ;   in Loop: Header=BB3_145 Depth=1
	s_cmp_eq_u32 s17, 0
	s_cbranch_scc1 .LBB3_166
; %bb.163:                              ;   in Loop: Header=BB3_145 Depth=1
	s_mov_b64 s[0:1], 0
	v_mov_b64_e32 v[12:13], 0
	s_mov_b64 s[14:15], 0
.LBB3_164:                              ;   Parent Loop BB3_145 Depth=1
                                        ; =>  This Inner Loop Header: Depth=2
	s_add_u32 s18, s12, s14
	s_addc_u32 s19, s13, s15
	global_load_ubyte v6, v31, s[18:19]
	s_add_u32 s14, s14, 1
	s_addc_u32 s15, s15, 0
	s_waitcnt vmcnt(0)
	v_and_b32_e32 v30, 0xffff, v6
	v_lshlrev_b64 v[6:7], s0, v[30:31]
	s_add_u32 s0, s0, 8
	s_addc_u32 s1, s1, 0
	v_or_b32_e32 v12, v6, v12
	s_cmp_lg_u32 s17, s14
	v_or_b32_e32 v13, v7, v13
	s_cbranch_scc1 .LBB3_164
	s_branch .LBB3_167
.LBB3_165:                              ;   in Loop: Header=BB3_145 Depth=1
	s_mov_b32 s16, 0
	s_branch .LBB3_168
.LBB3_166:                              ;   in Loop: Header=BB3_145 Depth=1
	v_mov_b64_e32 v[12:13], 0
.LBB3_167:                              ;   in Loop: Header=BB3_145 Depth=1
	s_mov_b64 s[0:1], s[12:13]
	s_mov_b32 s16, 0
	s_cbranch_execnz .LBB3_169
.LBB3_168:                              ;   in Loop: Header=BB3_145 Depth=1
	global_load_dwordx2 v[12:13], v31, s[12:13]
	s_add_i32 s16, s17, -8
.LBB3_169:                              ;   in Loop: Header=BB3_145 Depth=1
	s_add_u32 s12, s0, 8
	s_addc_u32 s13, s1, 0
	s_cmp_gt_u32 s16, 7
	s_cbranch_scc1 .LBB3_173
; %bb.170:                              ;   in Loop: Header=BB3_145 Depth=1
	s_cmp_eq_u32 s16, 0
	s_cbranch_scc1 .LBB3_174
; %bb.171:                              ;   in Loop: Header=BB3_145 Depth=1
	s_mov_b64 s[12:13], 0
	v_mov_b64_e32 v[14:15], 0
	s_mov_b64 s[14:15], 0
.LBB3_172:                              ;   Parent Loop BB3_145 Depth=1
                                        ; =>  This Inner Loop Header: Depth=2
	s_add_u32 s18, s0, s14
	s_addc_u32 s19, s1, s15
	global_load_ubyte v6, v31, s[18:19]
	s_add_u32 s14, s14, 1
	s_addc_u32 s15, s15, 0
	s_waitcnt vmcnt(0)
	v_and_b32_e32 v30, 0xffff, v6
	v_lshlrev_b64 v[6:7], s12, v[30:31]
	s_add_u32 s12, s12, 8
	s_addc_u32 s13, s13, 0
	v_or_b32_e32 v14, v6, v14
	s_cmp_lg_u32 s16, s14
	v_or_b32_e32 v15, v7, v15
	s_cbranch_scc1 .LBB3_172
	s_branch .LBB3_175
.LBB3_173:                              ;   in Loop: Header=BB3_145 Depth=1
                                        ; implicit-def: $vgpr14_vgpr15
	s_mov_b32 s17, 0
	s_branch .LBB3_176
.LBB3_174:                              ;   in Loop: Header=BB3_145 Depth=1
	v_mov_b64_e32 v[14:15], 0
.LBB3_175:                              ;   in Loop: Header=BB3_145 Depth=1
	s_mov_b64 s[12:13], s[0:1]
	s_mov_b32 s17, 0
	s_cbranch_execnz .LBB3_177
.LBB3_176:                              ;   in Loop: Header=BB3_145 Depth=1
	global_load_dwordx2 v[14:15], v31, s[0:1]
	s_add_i32 s17, s16, -8
.LBB3_177:                              ;   in Loop: Header=BB3_145 Depth=1
	s_add_u32 s0, s12, 8
	s_addc_u32 s1, s13, 0
	s_cmp_gt_u32 s17, 7
	s_cbranch_scc1 .LBB3_181
; %bb.178:                              ;   in Loop: Header=BB3_145 Depth=1
	s_cmp_eq_u32 s17, 0
	s_cbranch_scc1 .LBB3_182
; %bb.179:                              ;   in Loop: Header=BB3_145 Depth=1
	s_mov_b64 s[0:1], 0
	v_mov_b64_e32 v[16:17], 0
	s_mov_b64 s[14:15], 0
.LBB3_180:                              ;   Parent Loop BB3_145 Depth=1
                                        ; =>  This Inner Loop Header: Depth=2
	s_add_u32 s18, s12, s14
	s_addc_u32 s19, s13, s15
	global_load_ubyte v6, v31, s[18:19]
	s_add_u32 s14, s14, 1
	s_addc_u32 s15, s15, 0
	s_waitcnt vmcnt(0)
	v_and_b32_e32 v30, 0xffff, v6
	v_lshlrev_b64 v[6:7], s0, v[30:31]
	s_add_u32 s0, s0, 8
	s_addc_u32 s1, s1, 0
	v_or_b32_e32 v16, v6, v16
	s_cmp_lg_u32 s17, s14
	v_or_b32_e32 v17, v7, v17
	s_cbranch_scc1 .LBB3_180
	s_branch .LBB3_183
.LBB3_181:                              ;   in Loop: Header=BB3_145 Depth=1
	s_mov_b32 s16, 0
	s_branch .LBB3_184
.LBB3_182:                              ;   in Loop: Header=BB3_145 Depth=1
	v_mov_b64_e32 v[16:17], 0
.LBB3_183:                              ;   in Loop: Header=BB3_145 Depth=1
	s_mov_b64 s[0:1], s[12:13]
	s_mov_b32 s16, 0
	s_cbranch_execnz .LBB3_185
.LBB3_184:                              ;   in Loop: Header=BB3_145 Depth=1
	global_load_dwordx2 v[16:17], v31, s[12:13]
	s_add_i32 s16, s17, -8
.LBB3_185:                              ;   in Loop: Header=BB3_145 Depth=1
	s_add_u32 s12, s0, 8
	s_addc_u32 s13, s1, 0
	s_cmp_gt_u32 s16, 7
	s_cbranch_scc1 .LBB3_189
; %bb.186:                              ;   in Loop: Header=BB3_145 Depth=1
	s_cmp_eq_u32 s16, 0
	s_cbranch_scc1 .LBB3_190
; %bb.187:                              ;   in Loop: Header=BB3_145 Depth=1
	s_mov_b64 s[12:13], 0
	v_mov_b64_e32 v[18:19], 0
	s_mov_b64 s[14:15], 0
.LBB3_188:                              ;   Parent Loop BB3_145 Depth=1
                                        ; =>  This Inner Loop Header: Depth=2
	s_add_u32 s18, s0, s14
	s_addc_u32 s19, s1, s15
	global_load_ubyte v6, v31, s[18:19]
	s_add_u32 s14, s14, 1
	s_addc_u32 s15, s15, 0
	s_waitcnt vmcnt(0)
	v_and_b32_e32 v30, 0xffff, v6
	v_lshlrev_b64 v[6:7], s12, v[30:31]
	s_add_u32 s12, s12, 8
	s_addc_u32 s13, s13, 0
	v_or_b32_e32 v18, v6, v18
	s_cmp_lg_u32 s16, s14
	v_or_b32_e32 v19, v7, v19
	s_cbranch_scc1 .LBB3_188
	s_branch .LBB3_191
.LBB3_189:                              ;   in Loop: Header=BB3_145 Depth=1
                                        ; implicit-def: $vgpr18_vgpr19
	s_mov_b32 s17, 0
	s_branch .LBB3_192
.LBB3_190:                              ;   in Loop: Header=BB3_145 Depth=1
	v_mov_b64_e32 v[18:19], 0
.LBB3_191:                              ;   in Loop: Header=BB3_145 Depth=1
	s_mov_b64 s[12:13], s[0:1]
	s_mov_b32 s17, 0
	s_cbranch_execnz .LBB3_193
.LBB3_192:                              ;   in Loop: Header=BB3_145 Depth=1
	global_load_dwordx2 v[18:19], v31, s[0:1]
	s_add_i32 s17, s16, -8
.LBB3_193:                              ;   in Loop: Header=BB3_145 Depth=1
	s_cmp_gt_u32 s17, 7
	s_cbranch_scc1 .LBB3_197
; %bb.194:                              ;   in Loop: Header=BB3_145 Depth=1
	s_cmp_eq_u32 s17, 0
	s_cbranch_scc1 .LBB3_198
; %bb.195:                              ;   in Loop: Header=BB3_145 Depth=1
	s_mov_b64 s[0:1], 0
	v_mov_b64_e32 v[20:21], 0
	s_mov_b64 s[14:15], s[12:13]
.LBB3_196:                              ;   Parent Loop BB3_145 Depth=1
                                        ; =>  This Inner Loop Header: Depth=2
	global_load_ubyte v6, v31, s[14:15]
	s_add_i32 s17, s17, -1
	s_waitcnt vmcnt(0)
	v_and_b32_e32 v30, 0xffff, v6
	v_lshlrev_b64 v[6:7], s0, v[30:31]
	s_add_u32 s0, s0, 8
	s_addc_u32 s1, s1, 0
	s_add_u32 s14, s14, 1
	s_addc_u32 s15, s15, 0
	v_or_b32_e32 v20, v6, v20
	s_cmp_lg_u32 s17, 0
	v_or_b32_e32 v21, v7, v21
	s_cbranch_scc1 .LBB3_196
	s_branch .LBB3_199
.LBB3_197:                              ;   in Loop: Header=BB3_145 Depth=1
	s_branch .LBB3_200
.LBB3_198:                              ;   in Loop: Header=BB3_145 Depth=1
	v_mov_b64_e32 v[20:21], 0
.LBB3_199:                              ;   in Loop: Header=BB3_145 Depth=1
	s_cbranch_execnz .LBB3_201
.LBB3_200:                              ;   in Loop: Header=BB3_145 Depth=1
	global_load_dwordx2 v[20:21], v31, s[12:13]
.LBB3_201:                              ;   in Loop: Header=BB3_145 Depth=1
	v_readfirstlane_b32 s0, v29
	v_mov_b64_e32 v[6:7], 0
	s_nop 0
	v_cmp_eq_u32_e64 s[0:1], s0, v29
	s_and_saveexec_b64 s[12:13], s[0:1]
	s_cbranch_execz .LBB3_207
; %bb.202:                              ;   in Loop: Header=BB3_145 Depth=1
	global_load_dwordx2 v[24:25], v31, s[2:3] offset:24 sc0 sc1
	s_waitcnt vmcnt(0)
	buffer_inv sc0 sc1
	global_load_dwordx2 v[6:7], v31, s[2:3] offset:40
	global_load_dwordx2 v[22:23], v31, s[2:3]
	s_waitcnt vmcnt(1)
	v_and_b32_e32 v6, v6, v24
	v_and_b32_e32 v7, v7, v25
	v_mul_lo_u32 v7, v7, 24
	v_mul_hi_u32 v27, v6, 24
	v_add_u32_e32 v7, v27, v7
	v_mul_lo_u32 v6, v6, 24
	s_waitcnt vmcnt(0)
	v_lshl_add_u64 v[6:7], v[22:23], 0, v[6:7]
	global_load_dwordx2 v[22:23], v[6:7], off sc0 sc1
	s_waitcnt vmcnt(0)
	global_atomic_cmpswap_x2 v[6:7], v31, v[22:25], s[2:3] offset:24 sc0 sc1
	s_waitcnt vmcnt(0)
	buffer_inv sc0 sc1
	v_cmp_ne_u64_e32 vcc, v[6:7], v[24:25]
	s_and_saveexec_b64 s[14:15], vcc
	s_cbranch_execz .LBB3_206
; %bb.203:                              ;   in Loop: Header=BB3_145 Depth=1
	s_mov_b64 s[16:17], 0
.LBB3_204:                              ;   Parent Loop BB3_145 Depth=1
                                        ; =>  This Inner Loop Header: Depth=2
	s_sleep 1
	global_load_dwordx2 v[22:23], v31, s[2:3] offset:40
	global_load_dwordx2 v[32:33], v31, s[2:3]
	v_mov_b64_e32 v[24:25], v[6:7]
	s_waitcnt vmcnt(1)
	v_and_b32_e32 v6, v22, v24
	s_waitcnt vmcnt(0)
	v_mad_u64_u32 v[6:7], s[18:19], v6, 24, v[32:33]
	v_and_b32_e32 v23, v23, v25
	v_mov_b32_e32 v22, v7
	v_mad_u64_u32 v[22:23], s[18:19], v23, 24, v[22:23]
	v_mov_b32_e32 v7, v22
	global_load_dwordx2 v[22:23], v[6:7], off sc0 sc1
	s_waitcnt vmcnt(0)
	global_atomic_cmpswap_x2 v[6:7], v31, v[22:25], s[2:3] offset:24 sc0 sc1
	s_waitcnt vmcnt(0)
	buffer_inv sc0 sc1
	v_cmp_eq_u64_e32 vcc, v[6:7], v[24:25]
	s_or_b64 s[16:17], vcc, s[16:17]
	s_andn2_b64 exec, exec, s[16:17]
	s_cbranch_execnz .LBB3_204
; %bb.205:                              ;   in Loop: Header=BB3_145 Depth=1
	s_or_b64 exec, exec, s[16:17]
.LBB3_206:                              ;   in Loop: Header=BB3_145 Depth=1
	s_or_b64 exec, exec, s[14:15]
.LBB3_207:                              ;   in Loop: Header=BB3_145 Depth=1
	s_or_b64 exec, exec, s[12:13]
	global_load_dwordx2 v[32:33], v31, s[2:3] offset:40
	global_load_dwordx4 v[22:25], v31, s[2:3]
	v_readfirstlane_b32 s13, v7
	v_readfirstlane_b32 s12, v6
	s_mov_b64 s[14:15], exec
	s_waitcnt vmcnt(1)
	v_readfirstlane_b32 s16, v32
	v_readfirstlane_b32 s17, v33
	s_and_b64 s[16:17], s[16:17], s[12:13]
	s_mul_i32 s18, s17, 24
	s_mul_hi_u32 s19, s16, 24
	s_add_i32 s19, s19, s18
	s_mul_i32 s18, s16, 24
	s_waitcnt vmcnt(0)
	v_lshl_add_u64 v[32:33], v[22:23], 0, s[18:19]
	s_and_saveexec_b64 s[18:19], s[0:1]
	s_cbranch_execz .LBB3_209
; %bb.208:                              ;   in Loop: Header=BB3_145 Depth=1
	v_mov_b64_e32 v[6:7], s[14:15]
	global_store_dwordx4 v[32:33], v[6:9], off offset:8
.LBB3_209:                              ;   in Loop: Header=BB3_145 Depth=1
	s_or_b64 exec, exec, s[18:19]
	s_lshl_b64 s[14:15], s[16:17], 12
	v_lshl_add_u64 v[6:7], v[24:25], 0, s[14:15]
	v_cmp_lt_u64_e64 vcc, s[4:5], 57
	s_lshl_b32 s14, s10, 2
	s_add_i32 s14, s14, 28
	v_cndmask_b32_e32 v24, 0, v28, vcc
	v_and_b32_e32 v2, 0xffffff1f, v2
	s_and_b32 s14, s14, 0x1e0
	v_or_b32_e32 v2, v2, v24
	v_or_b32_e32 v2, s14, v2
	v_readfirstlane_b32 s14, v6
	v_readfirstlane_b32 s15, v7
	s_nop 4
	global_store_dwordx4 v26, v[2:5], s[14:15]
	global_store_dwordx4 v26, v[10:13], s[14:15] offset:16
	global_store_dwordx4 v26, v[14:17], s[14:15] offset:32
	;; [unrolled: 1-line block ×3, first 2 shown]
	s_and_saveexec_b64 s[14:15], s[0:1]
	s_cbranch_execz .LBB3_217
; %bb.210:                              ;   in Loop: Header=BB3_145 Depth=1
	global_load_dwordx2 v[14:15], v31, s[2:3] offset:32 sc0 sc1
	global_load_dwordx2 v[2:3], v31, s[2:3] offset:40
	v_mov_b32_e32 v12, s12
	v_mov_b32_e32 v13, s13
	s_waitcnt vmcnt(0)
	v_readfirstlane_b32 s16, v2
	v_readfirstlane_b32 s17, v3
	s_and_b64 s[16:17], s[16:17], s[12:13]
	s_mul_i32 s17, s17, 24
	s_mul_hi_u32 s18, s16, 24
	s_mul_i32 s16, s16, 24
	s_add_i32 s17, s18, s17
	v_lshl_add_u64 v[10:11], v[22:23], 0, s[16:17]
	global_store_dwordx2 v[10:11], v[14:15], off
	buffer_wbl2 sc0 sc1
	s_waitcnt vmcnt(0)
	global_atomic_cmpswap_x2 v[4:5], v31, v[12:15], s[2:3] offset:32 sc0 sc1
	s_waitcnt vmcnt(0)
	v_cmp_ne_u64_e32 vcc, v[4:5], v[14:15]
	s_and_saveexec_b64 s[16:17], vcc
	s_cbranch_execz .LBB3_213
; %bb.211:                              ;   in Loop: Header=BB3_145 Depth=1
	s_mov_b64 s[18:19], 0
.LBB3_212:                              ;   Parent Loop BB3_145 Depth=1
                                        ; =>  This Inner Loop Header: Depth=2
	s_sleep 1
	global_store_dwordx2 v[10:11], v[4:5], off
	v_mov_b32_e32 v2, s12
	v_mov_b32_e32 v3, s13
	buffer_wbl2 sc0 sc1
	s_waitcnt vmcnt(0)
	global_atomic_cmpswap_x2 v[2:3], v31, v[2:5], s[2:3] offset:32 sc0 sc1
	s_waitcnt vmcnt(0)
	v_cmp_eq_u64_e32 vcc, v[2:3], v[4:5]
	s_or_b64 s[18:19], vcc, s[18:19]
	v_mov_b64_e32 v[4:5], v[2:3]
	s_andn2_b64 exec, exec, s[18:19]
	s_cbranch_execnz .LBB3_212
.LBB3_213:                              ;   in Loop: Header=BB3_145 Depth=1
	s_or_b64 exec, exec, s[16:17]
	global_load_dwordx2 v[2:3], v31, s[2:3] offset:16
	s_mov_b64 s[18:19], exec
	v_mbcnt_lo_u32_b32 v4, s18, 0
	v_mbcnt_hi_u32_b32 v4, s19, v4
	v_cmp_eq_u32_e32 vcc, 0, v4
	s_and_saveexec_b64 s[16:17], vcc
	s_cbranch_execz .LBB3_215
; %bb.214:                              ;   in Loop: Header=BB3_145 Depth=1
	s_bcnt1_i32_b64 s18, s[18:19]
	v_mov_b32_e32 v30, s18
	buffer_wbl2 sc0 sc1
	s_waitcnt vmcnt(0)
	global_atomic_add_x2 v[2:3], v[30:31], off offset:8 sc1
.LBB3_215:                              ;   in Loop: Header=BB3_145 Depth=1
	s_or_b64 exec, exec, s[16:17]
	s_waitcnt vmcnt(0)
	global_load_dwordx2 v[4:5], v[2:3], off offset:16
	s_waitcnt vmcnt(0)
	v_cmp_eq_u64_e32 vcc, 0, v[4:5]
	s_cbranch_vccnz .LBB3_217
; %bb.216:                              ;   in Loop: Header=BB3_145 Depth=1
	global_load_dword v30, v[2:3], off offset:24
	s_waitcnt vmcnt(0)
	v_readfirstlane_b32 s16, v30
	s_and_b32 m0, s16, 0xffffff
	buffer_wbl2 sc0 sc1
	global_store_dwordx2 v[4:5], v[30:31], off sc0 sc1
	s_sendmsg sendmsg(MSG_INTERRUPT)
.LBB3_217:                              ;   in Loop: Header=BB3_145 Depth=1
	s_or_b64 exec, exec, s[14:15]
	v_mov_b32_e32 v27, v31
	v_lshl_add_u64 v[2:3], v[6:7], 0, v[26:27]
	s_branch .LBB3_221
.LBB3_218:                              ;   in Loop: Header=BB3_221 Depth=2
	s_or_b64 exec, exec, s[14:15]
	v_readfirstlane_b32 s14, v4
	s_cmp_eq_u32 s14, 0
	s_cbranch_scc1 .LBB3_220
; %bb.219:                              ;   in Loop: Header=BB3_221 Depth=2
	s_sleep 1
	s_cbranch_execnz .LBB3_221
	s_branch .LBB3_223
.LBB3_220:                              ;   in Loop: Header=BB3_145 Depth=1
	s_branch .LBB3_223
.LBB3_221:                              ;   Parent Loop BB3_145 Depth=1
                                        ; =>  This Inner Loop Header: Depth=2
	v_mov_b32_e32 v4, 1
	s_and_saveexec_b64 s[14:15], s[0:1]
	s_cbranch_execz .LBB3_218
; %bb.222:                              ;   in Loop: Header=BB3_221 Depth=2
	global_load_dword v4, v[32:33], off offset:20 sc0 sc1
	s_waitcnt vmcnt(0)
	buffer_inv sc0 sc1
	v_and_b32_e32 v4, 1, v4
	s_branch .LBB3_218
.LBB3_223:                              ;   in Loop: Header=BB3_145 Depth=1
	global_load_dwordx2 v[2:3], v[2:3], off
	s_and_saveexec_b64 s[14:15], s[0:1]
	s_cbranch_execz .LBB3_144
; %bb.224:                              ;   in Loop: Header=BB3_145 Depth=1
	global_load_dwordx2 v[4:5], v31, s[2:3] offset:40
	global_load_dwordx2 v[14:15], v31, s[2:3] offset:24 sc0 sc1
	global_load_dwordx2 v[6:7], v31, s[2:3]
	s_waitcnt vmcnt(2)
	v_readfirstlane_b32 s16, v4
	v_readfirstlane_b32 s17, v5
	s_add_u32 s18, s16, 1
	s_addc_u32 s19, s17, 0
	s_add_u32 s0, s18, s12
	s_addc_u32 s1, s19, s13
	s_cmp_eq_u64 s[0:1], 0
	s_cselect_b32 s1, s19, s1
	s_cselect_b32 s0, s18, s0
	s_and_b64 s[12:13], s[0:1], s[16:17]
	s_mul_i32 s13, s13, 24
	s_mul_hi_u32 s16, s12, 24
	s_mul_i32 s12, s12, 24
	s_add_i32 s13, s16, s13
	s_waitcnt vmcnt(0)
	v_lshl_add_u64 v[10:11], v[6:7], 0, s[12:13]
	v_mov_b32_e32 v12, s0
	global_store_dwordx2 v[10:11], v[14:15], off
	v_mov_b32_e32 v13, s1
	buffer_wbl2 sc0 sc1
	s_waitcnt vmcnt(0)
	global_atomic_cmpswap_x2 v[6:7], v31, v[12:15], s[2:3] offset:24 sc0 sc1
	s_waitcnt vmcnt(0)
	v_cmp_ne_u64_e32 vcc, v[6:7], v[14:15]
	s_and_b64 exec, exec, vcc
	s_cbranch_execz .LBB3_144
; %bb.225:                              ;   in Loop: Header=BB3_145 Depth=1
	s_mov_b64 s[12:13], 0
.LBB3_226:                              ;   Parent Loop BB3_145 Depth=1
                                        ; =>  This Inner Loop Header: Depth=2
	s_sleep 1
	global_store_dwordx2 v[10:11], v[6:7], off
	v_mov_b32_e32 v4, s0
	v_mov_b32_e32 v5, s1
	buffer_wbl2 sc0 sc1
	s_waitcnt vmcnt(0)
	global_atomic_cmpswap_x2 v[4:5], v31, v[4:7], s[2:3] offset:24 sc0 sc1
	s_waitcnt vmcnt(0)
	v_cmp_eq_u64_e32 vcc, v[4:5], v[6:7]
	s_or_b64 s[12:13], vcc, s[12:13]
	v_mov_b64_e32 v[6:7], v[4:5]
	s_andn2_b64 exec, exec, s[12:13]
	s_cbranch_execnz .LBB3_226
	s_branch .LBB3_144
.LBB3_227:
                                        ; implicit-def: $vgpr2_vgpr3
	s_cbranch_execnz .LBB3_229
	s_branch .LBB3_255
.LBB3_228:
	s_branch .LBB3_255
.LBB3_229:
	v_readfirstlane_b32 s0, v29
	s_waitcnt vmcnt(0)
	v_mov_b64_e32 v[2:3], 0
	v_cmp_eq_u32_e64 s[0:1], s0, v29
	s_and_saveexec_b64 s[4:5], s[0:1]
	s_cbranch_execz .LBB3_235
; %bb.230:
	v_mov_b32_e32 v4, 0
	global_load_dwordx2 v[8:9], v4, s[2:3] offset:24 sc0 sc1
	s_waitcnt vmcnt(0)
	buffer_inv sc0 sc1
	global_load_dwordx2 v[2:3], v4, s[2:3] offset:40
	global_load_dwordx2 v[6:7], v4, s[2:3]
	s_waitcnt vmcnt(1)
	v_and_b32_e32 v2, v2, v8
	v_and_b32_e32 v3, v3, v9
	v_mul_lo_u32 v3, v3, 24
	v_mul_hi_u32 v5, v2, 24
	v_add_u32_e32 v3, v5, v3
	v_mul_lo_u32 v2, v2, 24
	s_waitcnt vmcnt(0)
	v_lshl_add_u64 v[2:3], v[6:7], 0, v[2:3]
	global_load_dwordx2 v[6:7], v[2:3], off sc0 sc1
	s_waitcnt vmcnt(0)
	global_atomic_cmpswap_x2 v[2:3], v4, v[6:9], s[2:3] offset:24 sc0 sc1
	s_waitcnt vmcnt(0)
	buffer_inv sc0 sc1
	v_cmp_ne_u64_e32 vcc, v[2:3], v[8:9]
	s_and_saveexec_b64 s[6:7], vcc
	s_cbranch_execz .LBB3_234
; %bb.231:
	s_mov_b64 s[10:11], 0
.LBB3_232:                              ; =>This Inner Loop Header: Depth=1
	s_sleep 1
	global_load_dwordx2 v[6:7], v4, s[2:3] offset:40
	global_load_dwordx2 v[10:11], v4, s[2:3]
	v_mov_b64_e32 v[8:9], v[2:3]
	s_waitcnt vmcnt(1)
	v_and_b32_e32 v2, v6, v8
	s_waitcnt vmcnt(0)
	v_mad_u64_u32 v[2:3], s[12:13], v2, 24, v[10:11]
	v_and_b32_e32 v5, v7, v9
	v_mov_b32_e32 v6, v3
	v_mad_u64_u32 v[6:7], s[12:13], v5, 24, v[6:7]
	v_mov_b32_e32 v3, v6
	global_load_dwordx2 v[6:7], v[2:3], off sc0 sc1
	s_waitcnt vmcnt(0)
	global_atomic_cmpswap_x2 v[2:3], v4, v[6:9], s[2:3] offset:24 sc0 sc1
	s_waitcnt vmcnt(0)
	buffer_inv sc0 sc1
	v_cmp_eq_u64_e32 vcc, v[2:3], v[8:9]
	s_or_b64 s[10:11], vcc, s[10:11]
	s_andn2_b64 exec, exec, s[10:11]
	s_cbranch_execnz .LBB3_232
; %bb.233:
	s_or_b64 exec, exec, s[10:11]
.LBB3_234:
	s_or_b64 exec, exec, s[6:7]
.LBB3_235:
	s_or_b64 exec, exec, s[4:5]
	v_mov_b32_e32 v27, 0
	global_load_dwordx2 v[8:9], v27, s[2:3] offset:40
	global_load_dwordx4 v[4:7], v27, s[2:3]
	v_readfirstlane_b32 s5, v3
	v_readfirstlane_b32 s4, v2
	s_mov_b64 s[6:7], exec
	s_waitcnt vmcnt(1)
	v_readfirstlane_b32 s10, v8
	v_readfirstlane_b32 s11, v9
	s_and_b64 s[10:11], s[10:11], s[4:5]
	s_mul_i32 s12, s11, 24
	s_mul_hi_u32 s13, s10, 24
	s_add_i32 s13, s13, s12
	s_mul_i32 s12, s10, 24
	s_waitcnt vmcnt(0)
	v_lshl_add_u64 v[8:9], v[4:5], 0, s[12:13]
	s_and_saveexec_b64 s[12:13], s[0:1]
	s_cbranch_execz .LBB3_237
; %bb.236:
	v_mov_b64_e32 v[10:11], s[6:7]
	v_mov_b32_e32 v12, 2
	v_mov_b32_e32 v13, 1
	global_store_dwordx4 v[8:9], v[10:13], off offset:8
.LBB3_237:
	s_or_b64 exec, exec, s[12:13]
	s_lshl_b64 s[6:7], s[10:11], 12
	v_lshl_add_u64 v[6:7], v[6:7], 0, s[6:7]
	s_movk_i32 s6, 0xff1f
	s_mov_b32 s12, 0
	v_and_or_b32 v0, v0, s6, 32
	v_mov_b32_e32 v2, v27
	v_mov_b32_e32 v3, v27
	v_readfirstlane_b32 s6, v6
	v_readfirstlane_b32 s7, v7
	s_mov_b32 s13, s12
	s_mov_b32 s14, s12
	;; [unrolled: 1-line block ×3, first 2 shown]
	s_nop 1
	global_store_dwordx4 v26, v[0:3], s[6:7]
	s_nop 1
	v_mov_b64_e32 v[0:1], s[12:13]
	v_mov_b64_e32 v[2:3], s[14:15]
	global_store_dwordx4 v26, v[0:3], s[6:7] offset:16
	global_store_dwordx4 v26, v[0:3], s[6:7] offset:32
	;; [unrolled: 1-line block ×3, first 2 shown]
	s_and_saveexec_b64 s[6:7], s[0:1]
	s_cbranch_execz .LBB3_245
; %bb.238:
	v_mov_b32_e32 v10, 0
	global_load_dwordx2 v[14:15], v10, s[2:3] offset:32 sc0 sc1
	global_load_dwordx2 v[0:1], v10, s[2:3] offset:40
	v_mov_b32_e32 v12, s4
	v_mov_b32_e32 v13, s5
	s_waitcnt vmcnt(0)
	v_readfirstlane_b32 s10, v0
	v_readfirstlane_b32 s11, v1
	s_and_b64 s[10:11], s[10:11], s[4:5]
	s_mul_i32 s11, s11, 24
	s_mul_hi_u32 s12, s10, 24
	s_mul_i32 s10, s10, 24
	s_add_i32 s11, s12, s11
	v_lshl_add_u64 v[4:5], v[4:5], 0, s[10:11]
	global_store_dwordx2 v[4:5], v[14:15], off
	buffer_wbl2 sc0 sc1
	s_waitcnt vmcnt(0)
	global_atomic_cmpswap_x2 v[2:3], v10, v[12:15], s[2:3] offset:32 sc0 sc1
	s_waitcnt vmcnt(0)
	v_cmp_ne_u64_e32 vcc, v[2:3], v[14:15]
	s_and_saveexec_b64 s[10:11], vcc
	s_cbranch_execz .LBB3_241
; %bb.239:
	s_mov_b64 s[12:13], 0
.LBB3_240:                              ; =>This Inner Loop Header: Depth=1
	s_sleep 1
	global_store_dwordx2 v[4:5], v[2:3], off
	v_mov_b32_e32 v0, s4
	v_mov_b32_e32 v1, s5
	buffer_wbl2 sc0 sc1
	s_waitcnt vmcnt(0)
	global_atomic_cmpswap_x2 v[0:1], v10, v[0:3], s[2:3] offset:32 sc0 sc1
	s_waitcnt vmcnt(0)
	v_cmp_eq_u64_e32 vcc, v[0:1], v[2:3]
	s_or_b64 s[12:13], vcc, s[12:13]
	v_mov_b64_e32 v[2:3], v[0:1]
	s_andn2_b64 exec, exec, s[12:13]
	s_cbranch_execnz .LBB3_240
.LBB3_241:
	s_or_b64 exec, exec, s[10:11]
	v_mov_b32_e32 v3, 0
	global_load_dwordx2 v[0:1], v3, s[2:3] offset:16
	s_mov_b64 s[10:11], exec
	v_mbcnt_lo_u32_b32 v2, s10, 0
	v_mbcnt_hi_u32_b32 v2, s11, v2
	v_cmp_eq_u32_e32 vcc, 0, v2
	s_and_saveexec_b64 s[12:13], vcc
	s_cbranch_execz .LBB3_243
; %bb.242:
	s_bcnt1_i32_b64 s10, s[10:11]
	v_mov_b32_e32 v2, s10
	buffer_wbl2 sc0 sc1
	s_waitcnt vmcnt(0)
	global_atomic_add_x2 v[0:1], v[2:3], off offset:8 sc1
.LBB3_243:
	s_or_b64 exec, exec, s[12:13]
	s_waitcnt vmcnt(0)
	global_load_dwordx2 v[2:3], v[0:1], off offset:16
	s_waitcnt vmcnt(0)
	v_cmp_eq_u64_e32 vcc, 0, v[2:3]
	s_cbranch_vccnz .LBB3_245
; %bb.244:
	global_load_dword v0, v[0:1], off offset:24
	v_mov_b32_e32 v1, 0
	s_waitcnt vmcnt(0)
	v_readfirstlane_b32 s10, v0
	s_and_b32 m0, s10, 0xffffff
	buffer_wbl2 sc0 sc1
	global_store_dwordx2 v[2:3], v[0:1], off sc0 sc1
	s_sendmsg sendmsg(MSG_INTERRUPT)
.LBB3_245:
	s_or_b64 exec, exec, s[6:7]
	v_lshl_add_u64 v[0:1], v[6:7], 0, v[26:27]
	s_branch .LBB3_249
.LBB3_246:                              ;   in Loop: Header=BB3_249 Depth=1
	s_or_b64 exec, exec, s[6:7]
	v_readfirstlane_b32 s6, v2
	s_cmp_eq_u32 s6, 0
	s_cbranch_scc1 .LBB3_248
; %bb.247:                              ;   in Loop: Header=BB3_249 Depth=1
	s_sleep 1
	s_cbranch_execnz .LBB3_249
	s_branch .LBB3_251
.LBB3_248:
	s_branch .LBB3_251
.LBB3_249:                              ; =>This Inner Loop Header: Depth=1
	v_mov_b32_e32 v2, 1
	s_and_saveexec_b64 s[6:7], s[0:1]
	s_cbranch_execz .LBB3_246
; %bb.250:                              ;   in Loop: Header=BB3_249 Depth=1
	global_load_dword v2, v[8:9], off offset:20 sc0 sc1
	s_waitcnt vmcnt(0)
	buffer_inv sc0 sc1
	v_and_b32_e32 v2, 1, v2
	s_branch .LBB3_246
.LBB3_251:
	global_load_dwordx2 v[2:3], v[0:1], off
	s_and_saveexec_b64 s[6:7], s[0:1]
	s_cbranch_execz .LBB3_254
; %bb.252:
	v_mov_b32_e32 v8, 0
	global_load_dwordx2 v[0:1], v8, s[2:3] offset:40
	global_load_dwordx2 v[12:13], v8, s[2:3] offset:24 sc0 sc1
	global_load_dwordx2 v[4:5], v8, s[2:3]
	s_waitcnt vmcnt(2)
	v_readfirstlane_b32 s10, v0
	v_readfirstlane_b32 s11, v1
	s_add_u32 s12, s10, 1
	s_addc_u32 s13, s11, 0
	s_add_u32 s0, s12, s4
	s_addc_u32 s1, s13, s5
	s_cmp_eq_u64 s[0:1], 0
	s_cselect_b32 s1, s13, s1
	s_cselect_b32 s0, s12, s0
	s_and_b64 s[4:5], s[0:1], s[10:11]
	s_mul_i32 s5, s5, 24
	s_mul_hi_u32 s10, s4, 24
	s_mul_i32 s4, s4, 24
	s_add_i32 s5, s10, s5
	s_waitcnt vmcnt(0)
	v_lshl_add_u64 v[0:1], v[4:5], 0, s[4:5]
	v_mov_b32_e32 v10, s0
	global_store_dwordx2 v[0:1], v[12:13], off
	v_mov_b32_e32 v11, s1
	buffer_wbl2 sc0 sc1
	s_waitcnt vmcnt(0)
	global_atomic_cmpswap_x2 v[6:7], v8, v[10:13], s[2:3] offset:24 sc0 sc1
	s_mov_b64 s[4:5], 0
	s_waitcnt vmcnt(0)
	v_cmp_ne_u64_e32 vcc, v[6:7], v[12:13]
	s_and_b64 exec, exec, vcc
	s_cbranch_execz .LBB3_254
.LBB3_253:                              ; =>This Inner Loop Header: Depth=1
	s_sleep 1
	global_store_dwordx2 v[0:1], v[6:7], off
	v_mov_b32_e32 v4, s0
	v_mov_b32_e32 v5, s1
	buffer_wbl2 sc0 sc1
	s_waitcnt vmcnt(0)
	global_atomic_cmpswap_x2 v[4:5], v8, v[4:7], s[2:3] offset:24 sc0 sc1
	s_waitcnt vmcnt(0)
	v_cmp_eq_u64_e32 vcc, v[4:5], v[6:7]
	s_or_b64 s[4:5], vcc, s[4:5]
	v_mov_b64_e32 v[6:7], v[4:5]
	s_andn2_b64 exec, exec, s[4:5]
	s_cbranch_execnz .LBB3_253
.LBB3_254:
	s_or_b64 exec, exec, s[6:7]
.LBB3_255:
	v_readfirstlane_b32 s0, v29
	s_waitcnt vmcnt(0)
	v_mov_b64_e32 v[0:1], 0
	v_cmp_eq_u32_e64 s[0:1], s0, v29
	s_and_saveexec_b64 s[4:5], s[0:1]
	s_cbranch_execz .LBB3_261
; %bb.256:
	v_mov_b32_e32 v4, 0
	global_load_dwordx2 v[8:9], v4, s[2:3] offset:24 sc0 sc1
	s_waitcnt vmcnt(0)
	buffer_inv sc0 sc1
	global_load_dwordx2 v[0:1], v4, s[2:3] offset:40
	global_load_dwordx2 v[6:7], v4, s[2:3]
	s_waitcnt vmcnt(1)
	v_and_b32_e32 v0, v0, v8
	v_and_b32_e32 v1, v1, v9
	v_mul_lo_u32 v1, v1, 24
	v_mul_hi_u32 v5, v0, 24
	v_add_u32_e32 v1, v5, v1
	v_mul_lo_u32 v0, v0, 24
	s_waitcnt vmcnt(0)
	v_lshl_add_u64 v[0:1], v[6:7], 0, v[0:1]
	global_load_dwordx2 v[6:7], v[0:1], off sc0 sc1
	s_waitcnt vmcnt(0)
	global_atomic_cmpswap_x2 v[0:1], v4, v[6:9], s[2:3] offset:24 sc0 sc1
	s_waitcnt vmcnt(0)
	buffer_inv sc0 sc1
	v_cmp_ne_u64_e32 vcc, v[0:1], v[8:9]
	s_and_saveexec_b64 s[6:7], vcc
	s_cbranch_execz .LBB3_260
; %bb.257:
	s_mov_b64 s[10:11], 0
.LBB3_258:                              ; =>This Inner Loop Header: Depth=1
	s_sleep 1
	global_load_dwordx2 v[6:7], v4, s[2:3] offset:40
	global_load_dwordx2 v[10:11], v4, s[2:3]
	v_mov_b64_e32 v[8:9], v[0:1]
	s_waitcnt vmcnt(1)
	v_and_b32_e32 v0, v6, v8
	s_waitcnt vmcnt(0)
	v_mad_u64_u32 v[0:1], s[12:13], v0, 24, v[10:11]
	v_and_b32_e32 v5, v7, v9
	v_mov_b32_e32 v6, v1
	v_mad_u64_u32 v[6:7], s[12:13], v5, 24, v[6:7]
	v_mov_b32_e32 v1, v6
	global_load_dwordx2 v[6:7], v[0:1], off sc0 sc1
	s_waitcnt vmcnt(0)
	global_atomic_cmpswap_x2 v[0:1], v4, v[6:9], s[2:3] offset:24 sc0 sc1
	s_waitcnt vmcnt(0)
	buffer_inv sc0 sc1
	v_cmp_eq_u64_e32 vcc, v[0:1], v[8:9]
	s_or_b64 s[10:11], vcc, s[10:11]
	s_andn2_b64 exec, exec, s[10:11]
	s_cbranch_execnz .LBB3_258
; %bb.259:
	s_or_b64 exec, exec, s[10:11]
.LBB3_260:
	s_or_b64 exec, exec, s[6:7]
.LBB3_261:
	s_or_b64 exec, exec, s[4:5]
	v_mov_b32_e32 v27, 0
	global_load_dwordx2 v[4:5], v27, s[2:3] offset:40
	global_load_dwordx4 v[6:9], v27, s[2:3]
	v_readfirstlane_b32 s5, v1
	v_readfirstlane_b32 s4, v0
	s_mov_b64 s[6:7], exec
	s_waitcnt vmcnt(1)
	v_readfirstlane_b32 s10, v4
	v_readfirstlane_b32 s11, v5
	s_and_b64 s[10:11], s[10:11], s[4:5]
	s_mul_i32 s12, s11, 24
	s_mul_hi_u32 s13, s10, 24
	s_add_i32 s13, s13, s12
	s_mul_i32 s12, s10, 24
	s_waitcnt vmcnt(0)
	v_lshl_add_u64 v[10:11], v[6:7], 0, s[12:13]
	s_and_saveexec_b64 s[12:13], s[0:1]
	s_cbranch_execz .LBB3_263
; %bb.262:
	v_mov_b64_e32 v[12:13], s[6:7]
	v_mov_b32_e32 v14, 2
	v_mov_b32_e32 v15, 1
	global_store_dwordx4 v[10:11], v[12:15], off offset:8
.LBB3_263:
	s_or_b64 exec, exec, s[12:13]
	s_lshl_b64 s[6:7], s[10:11], 12
	v_lshl_add_u64 v[8:9], v[8:9], 0, s[6:7]
	s_movk_i32 s6, 0xff1f
	s_mov_b32 s12, 0
	v_and_or_b32 v2, v2, s6, 32
	v_mov_b32_e32 v4, 0x6cc
	v_mov_b32_e32 v5, v27
	v_readfirstlane_b32 s6, v8
	v_readfirstlane_b32 s7, v9
	s_mov_b32 s13, s12
	s_mov_b32 s14, s12
	;; [unrolled: 1-line block ×3, first 2 shown]
	s_nop 1
	global_store_dwordx4 v26, v[2:5], s[6:7]
	v_mov_b64_e32 v[0:1], s[12:13]
	s_nop 0
	v_mov_b64_e32 v[2:3], s[14:15]
	global_store_dwordx4 v26, v[0:3], s[6:7] offset:16
	global_store_dwordx4 v26, v[0:3], s[6:7] offset:32
	;; [unrolled: 1-line block ×3, first 2 shown]
	s_and_saveexec_b64 s[6:7], s[0:1]
	s_cbranch_execz .LBB3_271
; %bb.264:
	v_mov_b32_e32 v12, 0
	global_load_dwordx2 v[16:17], v12, s[2:3] offset:32 sc0 sc1
	global_load_dwordx2 v[0:1], v12, s[2:3] offset:40
	v_mov_b32_e32 v14, s4
	v_mov_b32_e32 v15, s5
	s_waitcnt vmcnt(0)
	v_readfirstlane_b32 s10, v0
	v_readfirstlane_b32 s11, v1
	s_and_b64 s[10:11], s[10:11], s[4:5]
	s_mul_i32 s11, s11, 24
	s_mul_hi_u32 s12, s10, 24
	s_mul_i32 s10, s10, 24
	s_add_i32 s11, s12, s11
	v_lshl_add_u64 v[4:5], v[6:7], 0, s[10:11]
	global_store_dwordx2 v[4:5], v[16:17], off
	buffer_wbl2 sc0 sc1
	s_waitcnt vmcnt(0)
	global_atomic_cmpswap_x2 v[2:3], v12, v[14:17], s[2:3] offset:32 sc0 sc1
	s_waitcnt vmcnt(0)
	v_cmp_ne_u64_e32 vcc, v[2:3], v[16:17]
	s_and_saveexec_b64 s[10:11], vcc
	s_cbranch_execz .LBB3_267
; %bb.265:
	s_mov_b64 s[12:13], 0
.LBB3_266:                              ; =>This Inner Loop Header: Depth=1
	s_sleep 1
	global_store_dwordx2 v[4:5], v[2:3], off
	v_mov_b32_e32 v0, s4
	v_mov_b32_e32 v1, s5
	buffer_wbl2 sc0 sc1
	s_waitcnt vmcnt(0)
	global_atomic_cmpswap_x2 v[0:1], v12, v[0:3], s[2:3] offset:32 sc0 sc1
	s_waitcnt vmcnt(0)
	v_cmp_eq_u64_e32 vcc, v[0:1], v[2:3]
	s_or_b64 s[12:13], vcc, s[12:13]
	v_mov_b64_e32 v[2:3], v[0:1]
	s_andn2_b64 exec, exec, s[12:13]
	s_cbranch_execnz .LBB3_266
.LBB3_267:
	s_or_b64 exec, exec, s[10:11]
	v_mov_b32_e32 v3, 0
	global_load_dwordx2 v[0:1], v3, s[2:3] offset:16
	s_mov_b64 s[10:11], exec
	v_mbcnt_lo_u32_b32 v2, s10, 0
	v_mbcnt_hi_u32_b32 v2, s11, v2
	v_cmp_eq_u32_e32 vcc, 0, v2
	s_and_saveexec_b64 s[12:13], vcc
	s_cbranch_execz .LBB3_269
; %bb.268:
	s_bcnt1_i32_b64 s10, s[10:11]
	v_mov_b32_e32 v2, s10
	buffer_wbl2 sc0 sc1
	s_waitcnt vmcnt(0)
	global_atomic_add_x2 v[0:1], v[2:3], off offset:8 sc1
.LBB3_269:
	s_or_b64 exec, exec, s[12:13]
	s_waitcnt vmcnt(0)
	global_load_dwordx2 v[2:3], v[0:1], off offset:16
	s_waitcnt vmcnt(0)
	v_cmp_eq_u64_e32 vcc, 0, v[2:3]
	s_cbranch_vccnz .LBB3_271
; %bb.270:
	global_load_dword v0, v[0:1], off offset:24
	v_mov_b32_e32 v1, 0
	s_waitcnt vmcnt(0)
	v_readfirstlane_b32 s10, v0
	s_and_b32 m0, s10, 0xffffff
	buffer_wbl2 sc0 sc1
	global_store_dwordx2 v[2:3], v[0:1], off sc0 sc1
	s_sendmsg sendmsg(MSG_INTERRUPT)
.LBB3_271:
	s_or_b64 exec, exec, s[6:7]
	v_lshl_add_u64 v[0:1], v[8:9], 0, v[26:27]
	s_branch .LBB3_275
.LBB3_272:                              ;   in Loop: Header=BB3_275 Depth=1
	s_or_b64 exec, exec, s[6:7]
	v_readfirstlane_b32 s6, v2
	s_cmp_eq_u32 s6, 0
	s_cbranch_scc1 .LBB3_274
; %bb.273:                              ;   in Loop: Header=BB3_275 Depth=1
	s_sleep 1
	s_cbranch_execnz .LBB3_275
	s_branch .LBB3_277
.LBB3_274:
	s_branch .LBB3_277
.LBB3_275:                              ; =>This Inner Loop Header: Depth=1
	v_mov_b32_e32 v2, 1
	s_and_saveexec_b64 s[6:7], s[0:1]
	s_cbranch_execz .LBB3_272
; %bb.276:                              ;   in Loop: Header=BB3_275 Depth=1
	global_load_dword v2, v[10:11], off offset:20 sc0 sc1
	s_waitcnt vmcnt(0)
	buffer_inv sc0 sc1
	v_and_b32_e32 v2, 1, v2
	s_branch .LBB3_272
.LBB3_277:
	global_load_dwordx2 v[0:1], v[0:1], off
	s_and_saveexec_b64 s[6:7], s[0:1]
	s_cbranch_execz .LBB3_280
; %bb.278:
	v_mov_b32_e32 v8, 0
	global_load_dwordx2 v[2:3], v8, s[2:3] offset:40
	global_load_dwordx2 v[12:13], v8, s[2:3] offset:24 sc0 sc1
	global_load_dwordx2 v[4:5], v8, s[2:3]
	s_waitcnt vmcnt(2)
	v_readfirstlane_b32 s10, v2
	v_readfirstlane_b32 s11, v3
	s_add_u32 s12, s10, 1
	s_addc_u32 s13, s11, 0
	s_add_u32 s0, s12, s4
	s_addc_u32 s1, s13, s5
	s_cmp_eq_u64 s[0:1], 0
	s_cselect_b32 s1, s13, s1
	s_cselect_b32 s0, s12, s0
	s_and_b64 s[4:5], s[0:1], s[10:11]
	s_mul_i32 s5, s5, 24
	s_mul_hi_u32 s10, s4, 24
	s_mul_i32 s4, s4, 24
	s_add_i32 s5, s10, s5
	s_waitcnt vmcnt(0)
	v_lshl_add_u64 v[6:7], v[4:5], 0, s[4:5]
	v_mov_b32_e32 v10, s0
	global_store_dwordx2 v[6:7], v[12:13], off
	v_mov_b32_e32 v11, s1
	buffer_wbl2 sc0 sc1
	s_waitcnt vmcnt(0)
	global_atomic_cmpswap_x2 v[4:5], v8, v[10:13], s[2:3] offset:24 sc0 sc1
	s_mov_b64 s[4:5], 0
	s_waitcnt vmcnt(0)
	v_cmp_ne_u64_e32 vcc, v[4:5], v[12:13]
	s_and_b64 exec, exec, vcc
	s_cbranch_execz .LBB3_280
.LBB3_279:                              ; =>This Inner Loop Header: Depth=1
	s_sleep 1
	global_store_dwordx2 v[6:7], v[4:5], off
	v_mov_b32_e32 v2, s0
	v_mov_b32_e32 v3, s1
	buffer_wbl2 sc0 sc1
	s_waitcnt vmcnt(0)
	global_atomic_cmpswap_x2 v[2:3], v8, v[2:5], s[2:3] offset:24 sc0 sc1
	s_waitcnt vmcnt(0)
	v_cmp_eq_u64_e32 vcc, v[2:3], v[4:5]
	s_or_b64 s[4:5], vcc, s[4:5]
	v_mov_b64_e32 v[4:5], v[2:3]
	s_andn2_b64 exec, exec, s[4:5]
	s_cbranch_execnz .LBB3_279
.LBB3_280:
	s_or_b64 exec, exec, s[6:7]
	s_getpc_b64 s[0:1]
	s_add_u32 s0, s0, __FUNCTION__._ZL18flash_attn_ext_f16ILi64ELi64ELi32ELi1ELb1ELb0EEvPKcS1_S1_S1_S1_PKiPfP15HIP_vector_typeIfLj2EEffffjfiS5_IjLj3EEiiiiiiiiiiiliiliiiiil@rel32@lo+4
	s_addc_u32 s1, s1, __FUNCTION__._ZL18flash_attn_ext_f16ILi64ELi64ELi32ELi1ELb1ELb0EEvPKcS1_S1_S1_S1_PKiPfP15HIP_vector_typeIfLj2EEffffjfiS5_IjLj3EEiiiiiiiiiiiliiliiiiil@rel32@hi+12
	s_cmp_lg_u64 s[0:1], 0
	s_cselect_b32 s4, 19, 0
	s_getpc_b64 s[2:3]
	s_add_u32 s2, s2, __ockl_printf_append_string_n@rel32@lo+4
	s_addc_u32 s3, s3, __ockl_printf_append_string_n@rel32@hi+12
	v_mov_b32_e32 v2, s0
	v_mov_b32_e32 v3, s1
	;; [unrolled: 1-line block ×4, first 2 shown]
	s_mov_b64 s[18:19], s[8:9]
	s_swappc_b64 s[30:31], s[2:3]
	s_getpc_b64 s[0:1]
	s_add_u32 s0, s0, __ockl_printf_append_args@rel32@lo+4
	s_addc_u32 s1, s1, __ockl_printf_append_args@rel32@hi+12
	s_mov_b64 s[8:9], s[18:19]
	v_mov_b32_e32 v2, 0x514
	v_mov_b32_e32 v3, 0
	;; [unrolled: 1-line block ×3, first 2 shown]
	s_swappc_b64 s[30:31], s[0:1]
	s_trap 2
.Lfunc_end3:
	.size	_ZL14no_device_codePKciS0_iS0_, .Lfunc_end3-_ZL14no_device_codePKciS0_iS0_
                                        ; -- End function
	.set .L_ZL14no_device_codePKciS0_iS0_.num_vgpr, max(36, .L__ockl_printf_append_string_n.num_vgpr, .L__ockl_printf_append_args.num_vgpr)
	.set .L_ZL14no_device_codePKciS0_iS0_.num_agpr, max(0, .L__ockl_printf_append_string_n.num_agpr, .L__ockl_printf_append_args.num_agpr)
	.set .L_ZL14no_device_codePKciS0_iS0_.numbered_sgpr, max(34, .L__ockl_printf_append_string_n.numbered_sgpr, .L__ockl_printf_append_args.numbered_sgpr)
	.set .L_ZL14no_device_codePKciS0_iS0_.num_named_barrier, max(0, .L__ockl_printf_append_string_n.num_named_barrier, .L__ockl_printf_append_args.num_named_barrier)
	.set .L_ZL14no_device_codePKciS0_iS0_.private_seg_size, 16+max(.L__ockl_printf_append_string_n.private_seg_size, .L__ockl_printf_append_args.private_seg_size)
	.set .L_ZL14no_device_codePKciS0_iS0_.uses_vcc, or(1, .L__ockl_printf_append_string_n.uses_vcc, .L__ockl_printf_append_args.uses_vcc)
	.set .L_ZL14no_device_codePKciS0_iS0_.uses_flat_scratch, or(0, .L__ockl_printf_append_string_n.uses_flat_scratch, .L__ockl_printf_append_args.uses_flat_scratch)
	.set .L_ZL14no_device_codePKciS0_iS0_.has_dyn_sized_stack, or(0, .L__ockl_printf_append_string_n.has_dyn_sized_stack, .L__ockl_printf_append_args.has_dyn_sized_stack)
	.set .L_ZL14no_device_codePKciS0_iS0_.has_recursion, or(0, .L__ockl_printf_append_string_n.has_recursion, .L__ockl_printf_append_args.has_recursion)
	.set .L_ZL14no_device_codePKciS0_iS0_.has_indirect_call, or(0, .L__ockl_printf_append_string_n.has_indirect_call, .L__ockl_printf_append_args.has_indirect_call)
	.section	.AMDGPU.csdata,"",@progbits
; Function info:
; codeLenInByte = 9536
; TotalNumSgprs: 40
; NumVgprs: 50
; NumAgprs: 0
; TotalNumVgprs: 50
; ScratchSize: 16
; MemoryBound: 0
	.section	.text._ZL18flash_attn_ext_f16ILi64ELi64ELi32ELi1ELb1ELb0EEvPKcS1_S1_S1_S1_PKiPfP15HIP_vector_typeIfLj2EEffffjfiS5_IjLj3EEiiiiiiiiiiiliiliiiiil,"axG",@progbits,_ZL18flash_attn_ext_f16ILi64ELi64ELi32ELi1ELb1ELb0EEvPKcS1_S1_S1_S1_PKiPfP15HIP_vector_typeIfLj2EEffffjfiS5_IjLj3EEiiiiiiiiiiiliiliiiiil,comdat
	.globl	_ZL18flash_attn_ext_f16ILi64ELi64ELi32ELi1ELb1ELb0EEvPKcS1_S1_S1_S1_PKiPfP15HIP_vector_typeIfLj2EEffffjfiS5_IjLj3EEiiiiiiiiiiiliiliiiiil ; -- Begin function _ZL18flash_attn_ext_f16ILi64ELi64ELi32ELi1ELb1ELb0EEvPKcS1_S1_S1_S1_PKiPfP15HIP_vector_typeIfLj2EEffffjfiS5_IjLj3EEiiiiiiiiiiiliiliiiiil
	.p2align	8
	.type	_ZL18flash_attn_ext_f16ILi64ELi64ELi32ELi1ELb1ELb0EEvPKcS1_S1_S1_S1_PKiPfP15HIP_vector_typeIfLj2EEffffjfiS5_IjLj3EEiiiiiiiiiiiliiliiiiil,@function
_ZL18flash_attn_ext_f16ILi64ELi64ELi32ELi1ELb1ELb0EEvPKcS1_S1_S1_S1_PKiPfP15HIP_vector_typeIfLj2EEffffjfiS5_IjLj3EEiiiiiiiiiiiliiliiiiil: ; @_ZL18flash_attn_ext_f16ILi64ELi64ELi32ELi1ELb1ELb0EEvPKcS1_S1_S1_S1_PKiPfP15HIP_vector_typeIfLj2EEffffjfiS5_IjLj3EEiiiiiiiiiiiliiliiiiil
; %bb.0:
	s_add_u32 s8, s0, 0xd0
	s_addc_u32 s9, s1, 0
	s_getpc_b64 s[0:1]
	s_add_u32 s0, s0, _ZL14no_device_codePKciS0_iS0_@rel32@lo+4
	s_addc_u32 s1, s1, _ZL14no_device_codePKciS0_iS0_@rel32@hi+12
	s_mov_b32 s32, 0
	s_swappc_b64 s[30:31], s[0:1]
	.section	.rodata,"a",@progbits
	.p2align	6, 0x0
	.amdhsa_kernel _ZL18flash_attn_ext_f16ILi64ELi64ELi32ELi1ELb1ELb0EEvPKcS1_S1_S1_S1_PKiPfP15HIP_vector_typeIfLj2EEffffjfiS5_IjLj3EEiiiiiiiiiiiliiliiiiil
		.amdhsa_group_segment_fixed_size 0
		.amdhsa_private_segment_fixed_size 16
		.amdhsa_kernarg_size 464
		.amdhsa_user_sgpr_count 2
		.amdhsa_user_sgpr_dispatch_ptr 0
		.amdhsa_user_sgpr_queue_ptr 0
		.amdhsa_user_sgpr_kernarg_segment_ptr 1
		.amdhsa_user_sgpr_dispatch_id 0
		.amdhsa_user_sgpr_kernarg_preload_length 0
		.amdhsa_user_sgpr_kernarg_preload_offset 0
		.amdhsa_user_sgpr_private_segment_size 0
		.amdhsa_uses_dynamic_stack 0
		.amdhsa_enable_private_segment 1
		.amdhsa_system_sgpr_workgroup_id_x 1
		.amdhsa_system_sgpr_workgroup_id_y 0
		.amdhsa_system_sgpr_workgroup_id_z 0
		.amdhsa_system_sgpr_workgroup_info 0
		.amdhsa_system_vgpr_workitem_id 0
		.amdhsa_next_free_vgpr 50
		.amdhsa_next_free_sgpr 34
		.amdhsa_accum_offset 52
		.amdhsa_reserve_vcc 1
		.amdhsa_float_round_mode_32 0
		.amdhsa_float_round_mode_16_64 0
		.amdhsa_float_denorm_mode_32 3
		.amdhsa_float_denorm_mode_16_64 3
		.amdhsa_dx10_clamp 1
		.amdhsa_ieee_mode 1
		.amdhsa_fp16_overflow 0
		.amdhsa_tg_split 0
		.amdhsa_exception_fp_ieee_invalid_op 0
		.amdhsa_exception_fp_denorm_src 0
		.amdhsa_exception_fp_ieee_div_zero 0
		.amdhsa_exception_fp_ieee_overflow 0
		.amdhsa_exception_fp_ieee_underflow 0
		.amdhsa_exception_fp_ieee_inexact 0
		.amdhsa_exception_int_div_zero 0
	.end_amdhsa_kernel
	.section	.text._ZL18flash_attn_ext_f16ILi64ELi64ELi32ELi1ELb1ELb0EEvPKcS1_S1_S1_S1_PKiPfP15HIP_vector_typeIfLj2EEffffjfiS5_IjLj3EEiiiiiiiiiiiliiliiiiil,"axG",@progbits,_ZL18flash_attn_ext_f16ILi64ELi64ELi32ELi1ELb1ELb0EEvPKcS1_S1_S1_S1_PKiPfP15HIP_vector_typeIfLj2EEffffjfiS5_IjLj3EEiiiiiiiiiiiliiliiiiil,comdat
.Lfunc_end4:
	.size	_ZL18flash_attn_ext_f16ILi64ELi64ELi32ELi1ELb1ELb0EEvPKcS1_S1_S1_S1_PKiPfP15HIP_vector_typeIfLj2EEffffjfiS5_IjLj3EEiiiiiiiiiiiliiliiiiil, .Lfunc_end4-_ZL18flash_attn_ext_f16ILi64ELi64ELi32ELi1ELb1ELb0EEvPKcS1_S1_S1_S1_PKiPfP15HIP_vector_typeIfLj2EEffffjfiS5_IjLj3EEiiiiiiiiiiiliiliiiiil
                                        ; -- End function
	.set _ZL18flash_attn_ext_f16ILi64ELi64ELi32ELi1ELb1ELb0EEvPKcS1_S1_S1_S1_PKiPfP15HIP_vector_typeIfLj2EEffffjfiS5_IjLj3EEiiiiiiiiiiiliiliiiiil.num_vgpr, max(0, .L_ZL14no_device_codePKciS0_iS0_.num_vgpr)
	.set _ZL18flash_attn_ext_f16ILi64ELi64ELi32ELi1ELb1ELb0EEvPKcS1_S1_S1_S1_PKiPfP15HIP_vector_typeIfLj2EEffffjfiS5_IjLj3EEiiiiiiiiiiiliiliiiiil.num_agpr, max(0, .L_ZL14no_device_codePKciS0_iS0_.num_agpr)
	.set _ZL18flash_attn_ext_f16ILi64ELi64ELi32ELi1ELb1ELb0EEvPKcS1_S1_S1_S1_PKiPfP15HIP_vector_typeIfLj2EEffffjfiS5_IjLj3EEiiiiiiiiiiiliiliiiiil.numbered_sgpr, max(33, .L_ZL14no_device_codePKciS0_iS0_.numbered_sgpr)
	.set _ZL18flash_attn_ext_f16ILi64ELi64ELi32ELi1ELb1ELb0EEvPKcS1_S1_S1_S1_PKiPfP15HIP_vector_typeIfLj2EEffffjfiS5_IjLj3EEiiiiiiiiiiiliiliiiiil.num_named_barrier, max(0, .L_ZL14no_device_codePKciS0_iS0_.num_named_barrier)
	.set _ZL18flash_attn_ext_f16ILi64ELi64ELi32ELi1ELb1ELb0EEvPKcS1_S1_S1_S1_PKiPfP15HIP_vector_typeIfLj2EEffffjfiS5_IjLj3EEiiiiiiiiiiiliiliiiiil.private_seg_size, 0+max(.L_ZL14no_device_codePKciS0_iS0_.private_seg_size)
	.set _ZL18flash_attn_ext_f16ILi64ELi64ELi32ELi1ELb1ELb0EEvPKcS1_S1_S1_S1_PKiPfP15HIP_vector_typeIfLj2EEffffjfiS5_IjLj3EEiiiiiiiiiiiliiliiiiil.uses_vcc, or(1, .L_ZL14no_device_codePKciS0_iS0_.uses_vcc)
	.set _ZL18flash_attn_ext_f16ILi64ELi64ELi32ELi1ELb1ELb0EEvPKcS1_S1_S1_S1_PKiPfP15HIP_vector_typeIfLj2EEffffjfiS5_IjLj3EEiiiiiiiiiiiliiliiiiil.uses_flat_scratch, or(0, .L_ZL14no_device_codePKciS0_iS0_.uses_flat_scratch)
	.set _ZL18flash_attn_ext_f16ILi64ELi64ELi32ELi1ELb1ELb0EEvPKcS1_S1_S1_S1_PKiPfP15HIP_vector_typeIfLj2EEffffjfiS5_IjLj3EEiiiiiiiiiiiliiliiiiil.has_dyn_sized_stack, or(0, .L_ZL14no_device_codePKciS0_iS0_.has_dyn_sized_stack)
	.set _ZL18flash_attn_ext_f16ILi64ELi64ELi32ELi1ELb1ELb0EEvPKcS1_S1_S1_S1_PKiPfP15HIP_vector_typeIfLj2EEffffjfiS5_IjLj3EEiiiiiiiiiiiliiliiiiil.has_recursion, or(0, .L_ZL14no_device_codePKciS0_iS0_.has_recursion)
	.set _ZL18flash_attn_ext_f16ILi64ELi64ELi32ELi1ELb1ELb0EEvPKcS1_S1_S1_S1_PKiPfP15HIP_vector_typeIfLj2EEffffjfiS5_IjLj3EEiiiiiiiiiiiliiliiiiil.has_indirect_call, or(0, .L_ZL14no_device_codePKciS0_iS0_.has_indirect_call)
	.section	.AMDGPU.csdata,"",@progbits
; Kernel info:
; codeLenInByte = 40
; TotalNumSgprs: 40
; NumVgprs: 50
; NumAgprs: 0
; TotalNumVgprs: 50
; ScratchSize: 16
; MemoryBound: 0
; FloatMode: 240
; IeeeMode: 1
; LDSByteSize: 0 bytes/workgroup (compile time only)
; SGPRBlocks: 4
; VGPRBlocks: 6
; NumSGPRsForWavesPerEU: 40
; NumVGPRsForWavesPerEU: 50
; AccumOffset: 52
; Occupancy: 8
; WaveLimiterHint : 1
; COMPUTE_PGM_RSRC2:SCRATCH_EN: 1
; COMPUTE_PGM_RSRC2:USER_SGPR: 2
; COMPUTE_PGM_RSRC2:TRAP_HANDLER: 0
; COMPUTE_PGM_RSRC2:TGID_X_EN: 1
; COMPUTE_PGM_RSRC2:TGID_Y_EN: 0
; COMPUTE_PGM_RSRC2:TGID_Z_EN: 0
; COMPUTE_PGM_RSRC2:TIDIG_COMP_CNT: 0
; COMPUTE_PGM_RSRC3_GFX90A:ACCUM_OFFSET: 12
; COMPUTE_PGM_RSRC3_GFX90A:TG_SPLIT: 0
	.section	.text._ZL25flash_attn_mask_to_KV_maxILi32EEvPK7__half2Piiii,"axG",@progbits,_ZL25flash_attn_mask_to_KV_maxILi32EEvPK7__half2Piiii,comdat
	.globl	_ZL25flash_attn_mask_to_KV_maxILi32EEvPK7__half2Piiii ; -- Begin function _ZL25flash_attn_mask_to_KV_maxILi32EEvPK7__half2Piiii
	.p2align	8
	.type	_ZL25flash_attn_mask_to_KV_maxILi32EEvPK7__half2Piiii,@function
_ZL25flash_attn_mask_to_KV_maxILi32EEvPK7__half2Piiii: ; @_ZL25flash_attn_mask_to_KV_maxILi32EEvPK7__half2Piiii
; %bb.0:
	s_load_dwordx4 s[4:7], s[0:1], 0x0
	v_cmp_gt_u32_e32 vcc, 32, v0
	s_and_saveexec_b64 s[8:9], vcc
; %bb.1:
	v_lshlrev_b32_e32 v1, 2, v0
	v_mov_b32_e32 v2, 1
	ds_write_b32 v1, v2
; %bb.2:
	s_or_b64 exec, exec, s[8:9]
	s_load_dwordx4 s[8:11], s[0:1], 0x10
	s_load_dword s33, s[0:1], 0x20
	v_and_b32_e32 v2, 31, v0
	v_lshlrev_b32_e32 v6, 2, v2
	v_lshrrev_b32_e32 v1, 3, v0
	s_waitcnt lgkmcnt(0)
	s_mul_i32 s1, s2, s9
	s_mul_i32 s0, s10, s3
	s_lshl_b32 s1, s1, 5
	s_add_i32 s0, s0, s1
	s_ashr_i32 s1, s0, 31
	s_lshl_b64 s[0:1], s[0:1], 2
	s_add_u32 s10, s4, s0
	s_addc_u32 s11, s5, s1
	v_cmp_eq_u32_e64 s[0:1], 0, v2
	v_mbcnt_lo_u32_b32 v2, -1, 0
	s_lshl_b32 s8, s8, 8
	s_mov_b64 s[12:13], 0
	v_mov_b32_e32 v3, 0
	s_movk_i32 s98, 0x204
	v_mbcnt_hi_u32_b32 v7, -1, v2
	s_barrier
                                        ; implicit-def: $sgpr4_sgpr5
	s_branch .LBB5_5
.LBB5_3:                                ;   in Loop: Header=BB5_5 Depth=1
	s_or_b64 exec, exec, s[14:15]
	s_waitcnt lgkmcnt(0)
	s_barrier
	ds_read_b32 v10, v6
	s_waitcnt lgkmcnt(0)
	s_barrier
	ds_bpermute_b32 v2, v2, v10
	v_cmp_ne_u32_e32 vcc, 0, v10
	s_waitcnt lgkmcnt(0)
	v_cmp_ne_u32_e64 s[4:5], 0, v2
	s_and_b64 s[4:5], vcc, s[4:5]
	s_nop 0
	v_cndmask_b32_e64 v2, 0, 1, s[4:5]
	ds_bpermute_b32 v2, v4, v2
	s_waitcnt lgkmcnt(0)
	v_cmp_ne_u32_e32 vcc, 0, v2
	s_and_b64 s[4:5], vcc, s[4:5]
	v_cndmask_b32_e64 v2, 0, 1, s[4:5]
	ds_bpermute_b32 v2, v5, v2
	s_waitcnt lgkmcnt(0)
	v_cmp_ne_u32_e32 vcc, 0, v2
	s_and_b64 s[4:5], vcc, s[4:5]
	v_cndmask_b32_e64 v2, 0, 1, s[4:5]
	ds_bpermute_b32 v2, v8, v2
	s_waitcnt lgkmcnt(0)
	v_cmp_ne_u32_e32 vcc, 0, v2
	s_and_b64 s[4:5], vcc, s[4:5]
	v_cndmask_b32_e64 v2, 0, 1, s[4:5]
	ds_bpermute_b32 v2, v9, v2
	s_xor_b64 s[4:5], s[4:5], -1
	s_waitcnt lgkmcnt(0)
	v_cmp_eq_u32_e32 vcc, 0, v2
	s_or_b64 s[4:5], vcc, s[4:5]
.LBB5_4:                                ;   in Loop: Header=BB5_5 Depth=1
	s_and_b64 s[14:15], exec, s[4:5]
	s_or_b64 s[12:13], s[14:15], s[12:13]
	v_mov_b32_e32 v2, s8
	s_mov_b32 s8, s99
	s_andn2_b64 exec, exec, s[12:13]
	s_cbranch_execz .LBB5_132
.LBB5_5:                                ; =>This Inner Loop Header: Depth=1
	s_add_i32 s99, s8, 0xffffff00
	s_or_b64 s[4:5], s[4:5], exec
	s_cmp_lt_i32 s99, 0
	s_cbranch_scc1 .LBB5_4
; %bb.6:                                ;   in Loop: Header=BB5_5 Depth=1
	s_lshr_b32 s4, s99, 1
	v_add_u32_e32 v2, s4, v0
	v_lshl_add_u64 v[4:5], v[2:3], 2, s[10:11]
	global_load_dword v4, v[4:5], off
	v_mov_b32_e32 v5, 0
	s_waitcnt vmcnt(0)
	v_cmp_class_f16_e64 s[4:5], v4, s98
	v_cmp_class_f16_sdwa s[14:15], v4, s98 src0_sel:WORD_1 src1_sel:DWORD
	s_and_b64 s[14:15], s[4:5], s[14:15]
	s_and_saveexec_b64 s[4:5], s[14:15]
	s_cbranch_execz .LBB5_130
; %bb.7:                                ;   in Loop: Header=BB5_5 Depth=1
	v_add_u32_e32 v4, s9, v2
	v_ashrrev_i32_e32 v5, 31, v4
	v_lshl_add_u64 v[8:9], v[4:5], 2, s[10:11]
	global_load_dword v2, v[8:9], off
	v_mov_b32_e32 v5, 0
	s_waitcnt vmcnt(0)
	v_cmp_class_f16_e64 s[16:17], v2, s98
	s_and_saveexec_b64 s[14:15], s[16:17]
	s_cbranch_execz .LBB5_129
; %bb.8:                                ;   in Loop: Header=BB5_5 Depth=1
	v_cmp_class_f16_sdwa s[18:19], v2, s98 src0_sel:WORD_1 src1_sel:DWORD
	v_mov_b32_e32 v5, 0
	s_and_saveexec_b64 s[16:17], s[18:19]
	s_cbranch_execz .LBB5_128
; %bb.9:                                ;   in Loop: Header=BB5_5 Depth=1
	v_add_u32_e32 v4, s9, v4
	v_ashrrev_i32_e32 v5, 31, v4
	v_lshl_add_u64 v[8:9], v[4:5], 2, s[10:11]
	global_load_dword v2, v[8:9], off
	v_mov_b32_e32 v5, 0
	s_waitcnt vmcnt(0)
	v_cmp_class_f16_e64 s[20:21], v2, s98
	s_and_saveexec_b64 s[18:19], s[20:21]
	s_cbranch_execz .LBB5_127
; %bb.10:                               ;   in Loop: Header=BB5_5 Depth=1
	v_cmp_class_f16_sdwa s[22:23], v2, s98 src0_sel:WORD_1 src1_sel:DWORD
	v_mov_b32_e32 v5, 0
	s_and_saveexec_b64 s[20:21], s[22:23]
	s_cbranch_execz .LBB5_126
; %bb.11:                               ;   in Loop: Header=BB5_5 Depth=1
	v_add_u32_e32 v4, s9, v4
	v_ashrrev_i32_e32 v5, 31, v4
	v_lshl_add_u64 v[8:9], v[4:5], 2, s[10:11]
	global_load_dword v2, v[8:9], off
	v_mov_b32_e32 v5, 0
	s_waitcnt vmcnt(0)
	v_cmp_class_f16_e64 s[24:25], v2, s98
	s_and_saveexec_b64 s[22:23], s[24:25]
	s_cbranch_execz .LBB5_125
; %bb.12:                               ;   in Loop: Header=BB5_5 Depth=1
	v_cmp_class_f16_sdwa s[26:27], v2, s98 src0_sel:WORD_1 src1_sel:DWORD
	v_mov_b32_e32 v5, 0
	s_and_saveexec_b64 s[24:25], s[26:27]
	s_cbranch_execz .LBB5_124
; %bb.13:                               ;   in Loop: Header=BB5_5 Depth=1
	;; [unrolled: 15-line block ×19, first 2 shown]
	v_add_u32_e32 v4, s9, v4
	v_ashrrev_i32_e32 v5, 31, v4
	v_lshl_add_u64 v[8:9], v[4:5], 2, s[10:11]
	global_load_dword v2, v[8:9], off
	v_mov_b32_e32 v5, 0
	s_waitcnt vmcnt(0)
	v_cmp_class_f16_e64 vcc, v2, s98
	s_mov_b64 s[96:97], exec
                                        ; implicit-def: $vgpr12 : SGPR spill to VGPR lane
	v_writelane_b32 v12, s96, 0
	s_and_b64 vcc, s[96:97], vcc
	s_nop 0
	v_writelane_b32 v12, s97, 1
	s_mov_b64 exec, vcc
	s_cbranch_execz .LBB5_89
; %bb.48:                               ;   in Loop: Header=BB5_5 Depth=1
	v_mov_b32_e32 v5, 0
	v_cmp_class_f16_sdwa s[96:97], v2, s98 src0_sel:WORD_1 src1_sel:DWORD
	s_mov_b64 vcc, exec
	s_nop 0
	v_writelane_b32 v12, vcc_lo, 2
	s_and_b64 s[96:97], vcc, s[96:97]
	s_nop 0
	v_writelane_b32 v12, vcc_hi, 3
	s_mov_b64 exec, s[96:97]
	s_cbranch_execz .LBB5_88
; %bb.49:                               ;   in Loop: Header=BB5_5 Depth=1
	v_add_u32_e32 v4, s9, v4
	v_ashrrev_i32_e32 v5, 31, v4
	v_lshl_add_u64 v[8:9], v[4:5], 2, s[10:11]
	global_load_dword v2, v[8:9], off
	v_mov_b32_e32 v5, 0
	s_waitcnt vmcnt(0)
	v_cmp_class_f16_e64 s[96:97], v2, s98
	s_mov_b64 vcc, exec
	v_writelane_b32 v12, vcc_lo, 4
	s_and_b64 s[96:97], vcc, s[96:97]
	s_nop 0
	v_writelane_b32 v12, vcc_hi, 5
	s_mov_b64 exec, s[96:97]
	s_cbranch_execz .LBB5_87
; %bb.50:                               ;   in Loop: Header=BB5_5 Depth=1
	v_mov_b32_e32 v5, 0
	v_cmp_class_f16_sdwa s[96:97], v2, s98 src0_sel:WORD_1 src1_sel:DWORD
	s_mov_b64 vcc, exec
	s_nop 0
	v_writelane_b32 v12, vcc_lo, 6
	s_and_b64 s[96:97], vcc, s[96:97]
	s_nop 0
	v_writelane_b32 v12, vcc_hi, 7
	s_mov_b64 exec, s[96:97]
	s_cbranch_execz .LBB5_86
; %bb.51:                               ;   in Loop: Header=BB5_5 Depth=1
	v_add_u32_e32 v4, s9, v4
	v_ashrrev_i32_e32 v5, 31, v4
	v_lshl_add_u64 v[8:9], v[4:5], 2, s[10:11]
	global_load_dword v2, v[8:9], off
	v_mov_b32_e32 v5, 0
	s_waitcnt vmcnt(0)
	v_cmp_class_f16_e64 s[96:97], v2, s98
	s_mov_b64 vcc, exec
	v_writelane_b32 v12, vcc_lo, 8
	s_and_b64 s[96:97], vcc, s[96:97]
	s_nop 0
	v_writelane_b32 v12, vcc_hi, 9
	s_mov_b64 exec, s[96:97]
	;; [unrolled: 26-line block ×10, first 2 shown]
; %bb.68:                               ;   in Loop: Header=BB5_5 Depth=1
	v_cmp_class_f16_sdwa s[96:97], v2, s98 src0_sel:WORD_1 src1_sel:DWORD
	s_nop 1
	v_cndmask_b32_e64 v5, 0, 1, s[96:97]
; %bb.69:                               ;   in Loop: Header=BB5_5 Depth=1
	v_readlane_b32 s96, v12, 40
	v_readlane_b32 s97, v12, 41
	s_or_b64 exec, exec, s[96:97]
.LBB5_70:                               ;   in Loop: Header=BB5_5 Depth=1
	v_readlane_b32 s96, v12, 38
	v_readlane_b32 s97, v12, 39
	s_or_b64 exec, exec, s[96:97]
.LBB5_71:                               ;   in Loop: Header=BB5_5 Depth=1
	v_readlane_b32 s96, v12, 36
	v_readlane_b32 s97, v12, 37
	s_or_b64 exec, exec, s[96:97]
.LBB5_72:                               ;   in Loop: Header=BB5_5 Depth=1
	v_readlane_b32 s96, v12, 34
	v_readlane_b32 s97, v12, 35
	s_or_b64 exec, exec, s[96:97]
.LBB5_73:                               ;   in Loop: Header=BB5_5 Depth=1
	v_readlane_b32 s96, v12, 32
	v_readlane_b32 s97, v12, 33
	s_or_b64 exec, exec, s[96:97]
.LBB5_74:                               ;   in Loop: Header=BB5_5 Depth=1
	v_readlane_b32 s96, v12, 30
	v_readlane_b32 s97, v12, 31
	s_or_b64 exec, exec, s[96:97]
.LBB5_75:                               ;   in Loop: Header=BB5_5 Depth=1
	v_readlane_b32 s96, v12, 28
	v_readlane_b32 s97, v12, 29
	s_or_b64 exec, exec, s[96:97]
.LBB5_76:                               ;   in Loop: Header=BB5_5 Depth=1
	v_readlane_b32 s96, v12, 26
	v_readlane_b32 s97, v12, 27
	s_or_b64 exec, exec, s[96:97]
.LBB5_77:                               ;   in Loop: Header=BB5_5 Depth=1
	v_readlane_b32 s96, v12, 24
	v_readlane_b32 s97, v12, 25
	s_or_b64 exec, exec, s[96:97]
.LBB5_78:                               ;   in Loop: Header=BB5_5 Depth=1
	v_readlane_b32 s96, v12, 22
	v_readlane_b32 s97, v12, 23
	s_or_b64 exec, exec, s[96:97]
.LBB5_79:                               ;   in Loop: Header=BB5_5 Depth=1
	v_readlane_b32 s96, v12, 20
	v_readlane_b32 s97, v12, 21
	s_or_b64 exec, exec, s[96:97]
.LBB5_80:                               ;   in Loop: Header=BB5_5 Depth=1
	v_readlane_b32 s96, v12, 18
	v_readlane_b32 s97, v12, 19
	s_or_b64 exec, exec, s[96:97]
.LBB5_81:                               ;   in Loop: Header=BB5_5 Depth=1
	v_readlane_b32 s96, v12, 16
	v_readlane_b32 s97, v12, 17
	s_or_b64 exec, exec, s[96:97]
.LBB5_82:                               ;   in Loop: Header=BB5_5 Depth=1
	v_readlane_b32 s96, v12, 14
	v_readlane_b32 s97, v12, 15
	s_or_b64 exec, exec, s[96:97]
.LBB5_83:                               ;   in Loop: Header=BB5_5 Depth=1
	v_readlane_b32 s96, v12, 12
	v_readlane_b32 s97, v12, 13
	s_or_b64 exec, exec, s[96:97]
.LBB5_84:                               ;   in Loop: Header=BB5_5 Depth=1
	v_readlane_b32 s96, v12, 10
	v_readlane_b32 s97, v12, 11
	s_or_b64 exec, exec, s[96:97]
.LBB5_85:                               ;   in Loop: Header=BB5_5 Depth=1
	v_readlane_b32 s96, v12, 8
	v_readlane_b32 s97, v12, 9
	s_or_b64 exec, exec, s[96:97]
.LBB5_86:                               ;   in Loop: Header=BB5_5 Depth=1
	v_readlane_b32 s96, v12, 6
	v_readlane_b32 s97, v12, 7
	s_or_b64 exec, exec, s[96:97]
.LBB5_87:                               ;   in Loop: Header=BB5_5 Depth=1
	v_readlane_b32 s96, v12, 4
	v_readlane_b32 s97, v12, 5
	s_or_b64 exec, exec, s[96:97]
.LBB5_88:                               ;   in Loop: Header=BB5_5 Depth=1
	v_readlane_b32 s96, v12, 2
	v_readlane_b32 s97, v12, 3
	s_or_b64 exec, exec, s[96:97]
.LBB5_89:                               ;   in Loop: Header=BB5_5 Depth=1
	v_readlane_b32 s96, v12, 0
	v_readlane_b32 s97, v12, 1
	s_or_b64 exec, exec, s[96:97]
.LBB5_90:                               ;   in Loop: Header=BB5_5 Depth=1
	s_or_b64 exec, exec, s[94:95]
.LBB5_91:                               ;   in Loop: Header=BB5_5 Depth=1
	s_or_b64 exec, exec, s[92:93]
.LBB5_92:                               ;   in Loop: Header=BB5_5 Depth=1
	s_or_b64 exec, exec, s[90:91]
.LBB5_93:                               ;   in Loop: Header=BB5_5 Depth=1
	s_or_b64 exec, exec, s[88:89]
.LBB5_94:                               ;   in Loop: Header=BB5_5 Depth=1
	s_or_b64 exec, exec, s[86:87]
.LBB5_95:                               ;   in Loop: Header=BB5_5 Depth=1
	s_or_b64 exec, exec, s[84:85]
.LBB5_96:                               ;   in Loop: Header=BB5_5 Depth=1
	s_or_b64 exec, exec, s[82:83]
.LBB5_97:                               ;   in Loop: Header=BB5_5 Depth=1
	s_or_b64 exec, exec, s[80:81]
.LBB5_98:                               ;   in Loop: Header=BB5_5 Depth=1
	s_or_b64 exec, exec, s[78:79]
.LBB5_99:                               ;   in Loop: Header=BB5_5 Depth=1
	s_or_b64 exec, exec, s[76:77]
.LBB5_100:                              ;   in Loop: Header=BB5_5 Depth=1
	s_or_b64 exec, exec, s[74:75]
.LBB5_101:                              ;   in Loop: Header=BB5_5 Depth=1
	s_or_b64 exec, exec, s[72:73]
.LBB5_102:                              ;   in Loop: Header=BB5_5 Depth=1
	s_or_b64 exec, exec, s[70:71]
.LBB5_103:                              ;   in Loop: Header=BB5_5 Depth=1
	s_or_b64 exec, exec, s[68:69]
.LBB5_104:                              ;   in Loop: Header=BB5_5 Depth=1
	s_or_b64 exec, exec, s[66:67]
.LBB5_105:                              ;   in Loop: Header=BB5_5 Depth=1
	s_or_b64 exec, exec, s[64:65]
.LBB5_106:                              ;   in Loop: Header=BB5_5 Depth=1
	s_or_b64 exec, exec, s[62:63]
.LBB5_107:                              ;   in Loop: Header=BB5_5 Depth=1
	s_or_b64 exec, exec, s[60:61]
.LBB5_108:                              ;   in Loop: Header=BB5_5 Depth=1
	s_or_b64 exec, exec, s[58:59]
.LBB5_109:                              ;   in Loop: Header=BB5_5 Depth=1
	s_or_b64 exec, exec, s[56:57]
.LBB5_110:                              ;   in Loop: Header=BB5_5 Depth=1
	s_or_b64 exec, exec, s[54:55]
.LBB5_111:                              ;   in Loop: Header=BB5_5 Depth=1
	s_or_b64 exec, exec, s[52:53]
.LBB5_112:                              ;   in Loop: Header=BB5_5 Depth=1
	s_or_b64 exec, exec, s[50:51]
.LBB5_113:                              ;   in Loop: Header=BB5_5 Depth=1
	s_or_b64 exec, exec, s[48:49]
.LBB5_114:                              ;   in Loop: Header=BB5_5 Depth=1
	s_or_b64 exec, exec, s[46:47]
.LBB5_115:                              ;   in Loop: Header=BB5_5 Depth=1
	s_or_b64 exec, exec, s[44:45]
.LBB5_116:                              ;   in Loop: Header=BB5_5 Depth=1
	s_or_b64 exec, exec, s[42:43]
.LBB5_117:                              ;   in Loop: Header=BB5_5 Depth=1
	s_or_b64 exec, exec, s[40:41]
.LBB5_118:                              ;   in Loop: Header=BB5_5 Depth=1
	s_or_b64 exec, exec, s[38:39]
.LBB5_119:                              ;   in Loop: Header=BB5_5 Depth=1
	s_or_b64 exec, exec, s[36:37]
.LBB5_120:                              ;   in Loop: Header=BB5_5 Depth=1
	s_or_b64 exec, exec, s[34:35]
.LBB5_121:                              ;   in Loop: Header=BB5_5 Depth=1
	s_or_b64 exec, exec, s[30:31]
.LBB5_122:                              ;   in Loop: Header=BB5_5 Depth=1
	s_or_b64 exec, exec, s[28:29]
.LBB5_123:                              ;   in Loop: Header=BB5_5 Depth=1
	s_or_b64 exec, exec, s[26:27]
.LBB5_124:                              ;   in Loop: Header=BB5_5 Depth=1
	s_or_b64 exec, exec, s[24:25]
.LBB5_125:                              ;   in Loop: Header=BB5_5 Depth=1
	s_or_b64 exec, exec, s[22:23]
.LBB5_126:                              ;   in Loop: Header=BB5_5 Depth=1
	s_or_b64 exec, exec, s[20:21]
.LBB5_127:                              ;   in Loop: Header=BB5_5 Depth=1
	s_or_b64 exec, exec, s[18:19]
.LBB5_128:                              ;   in Loop: Header=BB5_5 Depth=1
	s_or_b64 exec, exec, s[16:17]
.LBB5_129:                              ;   in Loop: Header=BB5_5 Depth=1
	s_or_b64 exec, exec, s[14:15]
.LBB5_130:                              ;   in Loop: Header=BB5_5 Depth=1
	s_or_b64 exec, exec, s[4:5]
	v_and_b32_e32 v2, 0x60, v7
	v_add_u32_e32 v9, 32, v2
	v_xor_b32_e32 v2, 16, v7
	v_cmp_lt_i32_e32 vcc, v2, v9
	v_xor_b32_e32 v11, 1, v7
	s_nop 0
	v_cndmask_b32_e32 v2, v7, v2, vcc
	v_lshlrev_b32_e32 v2, 2, v2
	ds_bpermute_b32 v4, v2, v5
	v_cmp_ne_u32_e32 vcc, 0, v5
	s_waitcnt lgkmcnt(0)
	v_cmp_ne_u32_e64 s[4:5], 0, v4
	v_xor_b32_e32 v4, 8, v7
	s_and_b64 s[4:5], vcc, s[4:5]
	v_cmp_lt_i32_e32 vcc, v4, v9
	v_cndmask_b32_e64 v5, 0, 1, s[4:5]
	s_nop 0
	v_cndmask_b32_e32 v4, v7, v4, vcc
	v_lshlrev_b32_e32 v4, 2, v4
	ds_bpermute_b32 v5, v4, v5
	s_waitcnt lgkmcnt(0)
	v_cmp_ne_u32_e32 vcc, 0, v5
	v_xor_b32_e32 v5, 4, v7
	s_and_b64 s[4:5], vcc, s[4:5]
	v_cmp_lt_i32_e32 vcc, v5, v9
	v_cndmask_b32_e64 v8, 0, 1, s[4:5]
	s_nop 0
	v_cndmask_b32_e32 v5, v7, v5, vcc
	v_lshlrev_b32_e32 v5, 2, v5
	ds_bpermute_b32 v8, v5, v8
	s_waitcnt lgkmcnt(0)
	v_cmp_ne_u32_e32 vcc, 0, v8
	;; [unrolled: 10-line block ×3, first 2 shown]
	s_and_b64 s[4:5], vcc, s[4:5]
	v_cmp_lt_i32_e32 vcc, v11, v9
	v_cndmask_b32_e64 v10, 0, 1, s[4:5]
	s_nop 0
	v_cndmask_b32_e32 v9, v7, v11, vcc
	v_lshlrev_b32_e32 v9, 2, v9
	ds_bpermute_b32 v10, v9, v10
	s_and_saveexec_b64 s[14:15], s[0:1]
	s_cbranch_execz .LBB5_3
; %bb.131:                              ;   in Loop: Header=BB5_5 Depth=1
	s_waitcnt lgkmcnt(0)
	v_cmp_ne_u32_e32 vcc, 0, v10
	s_and_b64 s[4:5], vcc, s[4:5]
	v_cndmask_b32_e64 v10, 0, 1, s[4:5]
	ds_write_b32 v1, v10
	s_branch .LBB5_3
.LBB5_132:
	s_or_b64 exec, exec, s[12:13]
	v_cmp_eq_u32_e32 vcc, 0, v0
	s_and_saveexec_b64 s[0:1], vcc
	s_cbranch_execz .LBB5_134
; %bb.133:
	s_mul_i32 s0, s33, s3
	s_add_i32 s0, s0, s2
	s_ashr_i32 s1, s0, 31
	s_lshl_b64 s[0:1], s[0:1], 2
	s_add_u32 s0, s6, s0
	s_addc_u32 s1, s7, s1
	v_mov_b32_e32 v0, 0
	global_store_dword v0, v2, s[0:1]
.LBB5_134:
	s_endpgm
	.section	.rodata,"a",@progbits
	.p2align	6, 0x0
	.amdhsa_kernel _ZL25flash_attn_mask_to_KV_maxILi32EEvPK7__half2Piiii
		.amdhsa_group_segment_fixed_size 128
		.amdhsa_private_segment_fixed_size 0
		.amdhsa_kernarg_size 288
		.amdhsa_user_sgpr_count 2
		.amdhsa_user_sgpr_dispatch_ptr 0
		.amdhsa_user_sgpr_queue_ptr 0
		.amdhsa_user_sgpr_kernarg_segment_ptr 1
		.amdhsa_user_sgpr_dispatch_id 0
		.amdhsa_user_sgpr_kernarg_preload_length 0
		.amdhsa_user_sgpr_kernarg_preload_offset 0
		.amdhsa_user_sgpr_private_segment_size 0
		.amdhsa_uses_dynamic_stack 0
		.amdhsa_enable_private_segment 0
		.amdhsa_system_sgpr_workgroup_id_x 1
		.amdhsa_system_sgpr_workgroup_id_y 1
		.amdhsa_system_sgpr_workgroup_id_z 0
		.amdhsa_system_sgpr_workgroup_info 0
		.amdhsa_system_vgpr_workitem_id 0
		.amdhsa_next_free_vgpr 13
		.amdhsa_next_free_sgpr 100
		.amdhsa_accum_offset 16
		.amdhsa_reserve_vcc 1
		.amdhsa_float_round_mode_32 0
		.amdhsa_float_round_mode_16_64 0
		.amdhsa_float_denorm_mode_32 3
		.amdhsa_float_denorm_mode_16_64 3
		.amdhsa_dx10_clamp 1
		.amdhsa_ieee_mode 1
		.amdhsa_fp16_overflow 0
		.amdhsa_tg_split 0
		.amdhsa_exception_fp_ieee_invalid_op 0
		.amdhsa_exception_fp_denorm_src 0
		.amdhsa_exception_fp_ieee_div_zero 0
		.amdhsa_exception_fp_ieee_overflow 0
		.amdhsa_exception_fp_ieee_underflow 0
		.amdhsa_exception_fp_ieee_inexact 0
		.amdhsa_exception_int_div_zero 0
	.end_amdhsa_kernel
	.section	.text._ZL25flash_attn_mask_to_KV_maxILi32EEvPK7__half2Piiii,"axG",@progbits,_ZL25flash_attn_mask_to_KV_maxILi32EEvPK7__half2Piiii,comdat
.Lfunc_end5:
	.size	_ZL25flash_attn_mask_to_KV_maxILi32EEvPK7__half2Piiii, .Lfunc_end5-_ZL25flash_attn_mask_to_KV_maxILi32EEvPK7__half2Piiii
                                        ; -- End function
	.set _ZL25flash_attn_mask_to_KV_maxILi32EEvPK7__half2Piiii.num_vgpr, 13
	.set _ZL25flash_attn_mask_to_KV_maxILi32EEvPK7__half2Piiii.num_agpr, 0
	.set _ZL25flash_attn_mask_to_KV_maxILi32EEvPK7__half2Piiii.numbered_sgpr, 100
	.set _ZL25flash_attn_mask_to_KV_maxILi32EEvPK7__half2Piiii.num_named_barrier, 0
	.set _ZL25flash_attn_mask_to_KV_maxILi32EEvPK7__half2Piiii.private_seg_size, 0
	.set _ZL25flash_attn_mask_to_KV_maxILi32EEvPK7__half2Piiii.uses_vcc, 1
	.set _ZL25flash_attn_mask_to_KV_maxILi32EEvPK7__half2Piiii.uses_flat_scratch, 0
	.set _ZL25flash_attn_mask_to_KV_maxILi32EEvPK7__half2Piiii.has_dyn_sized_stack, 0
	.set _ZL25flash_attn_mask_to_KV_maxILi32EEvPK7__half2Piiii.has_recursion, 0
	.set _ZL25flash_attn_mask_to_KV_maxILi32EEvPK7__half2Piiii.has_indirect_call, 0
	.section	.AMDGPU.csdata,"",@progbits
; Kernel info:
; codeLenInByte = 4080
; TotalNumSgprs: 106
; NumVgprs: 13
; NumAgprs: 0
; TotalNumVgprs: 13
; ScratchSize: 0
; MemoryBound: 0
; FloatMode: 240
; IeeeMode: 1
; LDSByteSize: 128 bytes/workgroup (compile time only)
; SGPRBlocks: 13
; VGPRBlocks: 1
; NumSGPRsForWavesPerEU: 106
; NumVGPRsForWavesPerEU: 13
; AccumOffset: 16
; Occupancy: 7
; WaveLimiterHint : 0
; COMPUTE_PGM_RSRC2:SCRATCH_EN: 0
; COMPUTE_PGM_RSRC2:USER_SGPR: 2
; COMPUTE_PGM_RSRC2:TRAP_HANDLER: 0
; COMPUTE_PGM_RSRC2:TGID_X_EN: 1
; COMPUTE_PGM_RSRC2:TGID_Y_EN: 1
; COMPUTE_PGM_RSRC2:TGID_Z_EN: 0
; COMPUTE_PGM_RSRC2:TIDIG_COMP_CNT: 0
; COMPUTE_PGM_RSRC3_GFX90A:ACCUM_OFFSET: 3
; COMPUTE_PGM_RSRC3_GFX90A:TG_SPLIT: 0
	.section	.text._ZL33flash_attn_stream_k_fixup_uniformILi64ELi32ELi1EEvPfPK15HIP_vector_typeIfLj2EEiiiiiiS1_IjLj3EES5_S5_,"axG",@progbits,_ZL33flash_attn_stream_k_fixup_uniformILi64ELi32ELi1EEvPfPK15HIP_vector_typeIfLj2EEiiiiiiS1_IjLj3EES5_S5_,comdat
	.globl	_ZL33flash_attn_stream_k_fixup_uniformILi64ELi32ELi1EEvPfPK15HIP_vector_typeIfLj2EEiiiiiiS1_IjLj3EES5_S5_ ; -- Begin function _ZL33flash_attn_stream_k_fixup_uniformILi64ELi32ELi1EEvPfPK15HIP_vector_typeIfLj2EEiiiiiiS1_IjLj3EES5_S5_
	.p2align	8
	.type	_ZL33flash_attn_stream_k_fixup_uniformILi64ELi32ELi1EEvPfPK15HIP_vector_typeIfLj2EEiiiiiiS1_IjLj3EES5_S5_,@function
_ZL33flash_attn_stream_k_fixup_uniformILi64ELi32ELi1EEvPfPK15HIP_vector_typeIfLj2EEiiiiiiS1_IjLj3EES5_S5_: ; @_ZL33flash_attn_stream_k_fixup_uniformILi64ELi32ELi1EEvPfPK15HIP_vector_typeIfLj2EEiiiiiiS1_IjLj3EES5_S5_
; %bb.0:
	s_load_dwordx8 s[8:15], s[0:1], 0x1c
	s_load_dwordx2 s[6:7], s[0:1], 0x10
	s_load_dwordx4 s[20:23], s[0:1], 0x3c
	s_waitcnt lgkmcnt(0)
	s_mul_hi_u32 s5, s11, s2
	s_add_i32 s5, s2, s5
	s_lshr_b32 s5, s5, s12
	s_mul_i32 s11, s5, s13
	s_sub_i32 s11, s2, s11
	s_mul_hi_u32 s12, s11, s14
	s_add_i32 s12, s11, s12
	s_lshr_b32 s16, s12, s15
	s_mul_i32 s12, s16, s20
	s_sub_i32 s12, s11, s12
	;; [unrolled: 5-line block ×3, first 2 shown]
	s_lshl_b32 s12, s17, 5
	s_add_i32 s12, s12, s3
	s_cmp_lt_i32 s12, s6
	s_cselect_b64 s[12:13], -1, 0
	s_add_i32 s14, s11, s4
	s_cmp_lt_i32 s14, s9
	s_cselect_b64 s[14:15], -1, 0
	s_and_b64 s[12:13], s[12:13], s[14:15]
	s_andn2_b64 vcc, exec, s[12:13]
	s_cbranch_vccnz .LBB6_6
; %bb.1:
	s_load_dwordx4 s[12:15], s[0:1], 0x0
	s_mul_i32 s0, s5, s6
	s_add_i32 s0, s0, s3
	s_mul_i32 s0, s0, s7
	s_mul_i32 s16, s16, s9
	s_add_i32 s0, s0, s4
	s_add_i32 s0, s0, s16
	s_mul_i32 s1, s7, s17
	s_add_i32 s0, s0, s11
	s_lshl_b32 s1, s1, 11
	s_lshl_b32 s0, s0, 6
	s_add_i32 s1, s1, s0
	v_or_b32_e32 v4, s1, v0
	s_waitcnt lgkmcnt(0)
	v_mov_b32_e32 v2, s12
	v_mov_b32_e32 v3, s13
	v_ashrrev_i32_e32 v5, 31, v4
	v_lshl_add_u64 v[2:3], v[4:5], 2, v[2:3]
	global_load_dword v5, v[2:3], off
	s_mul_i32 s6, s10, s2
	s_add_i32 s7, s6, s10
	s_add_i32 s3, s3, s4
	s_lshl_b32 s0, s7, 5
	s_add_i32 s0, s3, s0
	s_sub_i32 s0, s0, 32
	s_ashr_i32 s1, s0, 31
	s_lshl_b64 s[0:1], s[0:1], 3
	s_add_u32 s0, s14, s0
	s_addc_u32 s1, s15, s1
	s_load_dword s9, s[0:1], 0x4
	s_add_i32 s4, s7, -2
	s_cmp_lt_i32 s4, s6
	s_cbranch_scc1 .LBB6_4
; %bb.2:
	s_lshl_b32 s4, s8, 7
	s_ashr_i32 s5, s4, 31
	s_lshl_b64 s[4:5], s[4:5], 2
	s_add_u32 s4, s14, s4
	s_addc_u32 s5, s15, s5
	s_add_i32 s2, s2, 1
	s_mul_i32 s2, s10, s2
	s_load_dword s0, s[0:1], 0x0
	s_lshl_b32 s1, s3, 6
	s_lshl_b32 s10, s2, 11
	s_add_i32 s1, s1, s10
	v_or_b32_e32 v0, s1, v0
	s_lshl_b32 s1, s2, 5
	s_add_i32 s1, s3, s1
	s_lshl_b32 s2, s8, 5
	s_add_i32 s1, s1, s2
	s_add_i32 s7, s7, -1
	v_add_u32_e32 v0, 0xfffff000, v0
	s_sub_i32 s2, s1, 64
	s_waitcnt lgkmcnt(0)
	v_mov_b32_e32 v7, s0
	v_mov_b32_e32 v4, s9
	s_mov_b32 s8, 0x3fb8aa3b
	s_mov_b32 s9, 0xc2ce8ed0
	;; [unrolled: 1-line block ×3, first 2 shown]
	v_mov_b32_e32 v6, 0x7f800000
	s_mov_b32 s11, 0xc1a00000
.LBB6_3:                                ; =>This Inner Loop Header: Depth=1
	v_ashrrev_i32_e32 v1, 31, v0
	v_lshl_add_u64 v[8:9], v[0:1], 2, s[4:5]
	global_load_dword v9, v[8:9], off
	s_ashr_i32 s3, s2, 31
	s_lshl_b64 s[0:1], s[2:3], 3
	s_add_u32 s0, s14, s0
	s_addc_u32 s1, s15, s1
	s_load_dwordx2 s[0:1], s[0:1], 0x0
	v_max_f32_e32 v1, v7, v7
	s_add_i32 s7, s7, -1
	s_sub_i32 s2, s2, 32
	v_add_u32_e32 v0, 0xfffff800, v0
	s_waitcnt lgkmcnt(0)
	v_max_f32_e64 v10, s0, s0
	v_max_f32_e32 v1, v1, v10
	v_sub_f32_e32 v11, s0, v1
	v_sub_f32_e32 v10, v7, v1
	v_mul_f32_e32 v12, 0x3fb8aa3b, v11
	v_mov_b32_e32 v7, v1
	v_mul_f32_e32 v1, 0x3fb8aa3b, v10
	v_fma_f32 v15, v11, s8, -v12
	v_rndne_f32_e32 v16, v12
	v_fma_f32 v13, v10, s8, -v1
	v_rndne_f32_e32 v14, v1
	v_fmac_f32_e32 v15, 0x32a5705f, v11
	v_sub_f32_e32 v12, v12, v16
	v_fmac_f32_e32 v13, 0x32a5705f, v10
	v_sub_f32_e32 v1, v1, v14
	v_add_f32_e32 v12, v12, v15
	v_cvt_i32_f32_e32 v16, v16
	v_add_f32_e32 v1, v1, v13
	v_exp_f32_e32 v12, v12
	v_cvt_i32_f32_e32 v14, v14
	v_exp_f32_e32 v1, v1
	v_cmp_ngt_f32_e32 vcc, s9, v11
	v_ldexp_f32 v12, v12, v16
	v_mov_b32_e32 v8, s1
	v_ldexp_f32 v1, v1, v14
	v_cmp_ngt_f32_e64 s[0:1], s9, v10
	v_cndmask_b32_e32 v12, 0, v12, vcc
	v_cmp_nlt_f32_e32 vcc, s10, v11
	v_cndmask_b32_e64 v1, 0, v1, s[0:1]
	v_cmp_nlt_f32_e64 s[0:1], s10, v10
	v_cndmask_b32_e32 v12, v6, v12, vcc
	v_cmp_le_f32_e32 vcc, s11, v11
	v_cndmask_b32_e64 v1, v6, v1, s[0:1]
	v_cmp_le_f32_e64 s[0:1], s11, v10
	v_cndmask_b32_e32 v12, 0, v12, vcc
	s_cmp_le_i32 s7, s6
	v_cndmask_b32_e64 v10, 0, v1, s[0:1]
	s_waitcnt vmcnt(0)
	v_pk_mul_f32 v[8:9], v[8:9], v[12:13] op_sel_hi:[1,0]
	s_nop 0
	v_pk_fma_f32 v[4:5], v[4:5], v[10:11], v[8:9] op_sel_hi:[1,0,1]
	s_cbranch_scc0 .LBB6_3
	s_branch .LBB6_5
.LBB6_4:
	s_waitcnt lgkmcnt(0)
	v_mov_b32_e32 v4, s9
.LBB6_5:
	s_waitcnt vmcnt(0)
	v_div_scale_f32 v0, s[0:1], v4, v4, v5
	v_rcp_f32_e32 v1, v0
	v_div_scale_f32 v6, vcc, v5, v4, v5
	v_fma_f32 v7, -v0, v1, 1.0
	v_fmac_f32_e32 v1, v7, v1
	v_mul_f32_e32 v7, v6, v1
	v_fma_f32 v8, -v0, v7, v6
	v_fmac_f32_e32 v7, v8, v1
	v_fma_f32 v0, -v0, v7, v6
	v_div_fmas_f32 v0, v0, v1, v7
	v_div_fixup_f32 v0, v0, v4, v5
	global_store_dword v[2:3], v0, off
.LBB6_6:
	s_endpgm
	.section	.rodata,"a",@progbits
	.p2align	6, 0x0
	.amdhsa_kernel _ZL33flash_attn_stream_k_fixup_uniformILi64ELi32ELi1EEvPfPK15HIP_vector_typeIfLj2EEiiiiiiS1_IjLj3EES5_S5_
		.amdhsa_group_segment_fixed_size 0
		.amdhsa_private_segment_fixed_size 0
		.amdhsa_kernarg_size 76
		.amdhsa_user_sgpr_count 2
		.amdhsa_user_sgpr_dispatch_ptr 0
		.amdhsa_user_sgpr_queue_ptr 0
		.amdhsa_user_sgpr_kernarg_segment_ptr 1
		.amdhsa_user_sgpr_dispatch_id 0
		.amdhsa_user_sgpr_kernarg_preload_length 0
		.amdhsa_user_sgpr_kernarg_preload_offset 0
		.amdhsa_user_sgpr_private_segment_size 0
		.amdhsa_uses_dynamic_stack 0
		.amdhsa_enable_private_segment 0
		.amdhsa_system_sgpr_workgroup_id_x 1
		.amdhsa_system_sgpr_workgroup_id_y 1
		.amdhsa_system_sgpr_workgroup_id_z 1
		.amdhsa_system_sgpr_workgroup_info 0
		.amdhsa_system_vgpr_workitem_id 0
		.amdhsa_next_free_vgpr 17
		.amdhsa_next_free_sgpr 24
		.amdhsa_accum_offset 20
		.amdhsa_reserve_vcc 1
		.amdhsa_float_round_mode_32 0
		.amdhsa_float_round_mode_16_64 0
		.amdhsa_float_denorm_mode_32 3
		.amdhsa_float_denorm_mode_16_64 3
		.amdhsa_dx10_clamp 1
		.amdhsa_ieee_mode 1
		.amdhsa_fp16_overflow 0
		.amdhsa_tg_split 0
		.amdhsa_exception_fp_ieee_invalid_op 0
		.amdhsa_exception_fp_denorm_src 0
		.amdhsa_exception_fp_ieee_div_zero 0
		.amdhsa_exception_fp_ieee_overflow 0
		.amdhsa_exception_fp_ieee_underflow 0
		.amdhsa_exception_fp_ieee_inexact 0
		.amdhsa_exception_int_div_zero 0
	.end_amdhsa_kernel
	.section	.text._ZL33flash_attn_stream_k_fixup_uniformILi64ELi32ELi1EEvPfPK15HIP_vector_typeIfLj2EEiiiiiiS1_IjLj3EES5_S5_,"axG",@progbits,_ZL33flash_attn_stream_k_fixup_uniformILi64ELi32ELi1EEvPfPK15HIP_vector_typeIfLj2EEiiiiiiS1_IjLj3EES5_S5_,comdat
.Lfunc_end6:
	.size	_ZL33flash_attn_stream_k_fixup_uniformILi64ELi32ELi1EEvPfPK15HIP_vector_typeIfLj2EEiiiiiiS1_IjLj3EES5_S5_, .Lfunc_end6-_ZL33flash_attn_stream_k_fixup_uniformILi64ELi32ELi1EEvPfPK15HIP_vector_typeIfLj2EEiiiiiiS1_IjLj3EES5_S5_
                                        ; -- End function
	.set _ZL33flash_attn_stream_k_fixup_uniformILi64ELi32ELi1EEvPfPK15HIP_vector_typeIfLj2EEiiiiiiS1_IjLj3EES5_S5_.num_vgpr, 17
	.set _ZL33flash_attn_stream_k_fixup_uniformILi64ELi32ELi1EEvPfPK15HIP_vector_typeIfLj2EEiiiiiiS1_IjLj3EES5_S5_.num_agpr, 0
	.set _ZL33flash_attn_stream_k_fixup_uniformILi64ELi32ELi1EEvPfPK15HIP_vector_typeIfLj2EEiiiiiiS1_IjLj3EES5_S5_.numbered_sgpr, 24
	.set _ZL33flash_attn_stream_k_fixup_uniformILi64ELi32ELi1EEvPfPK15HIP_vector_typeIfLj2EEiiiiiiS1_IjLj3EES5_S5_.num_named_barrier, 0
	.set _ZL33flash_attn_stream_k_fixup_uniformILi64ELi32ELi1EEvPfPK15HIP_vector_typeIfLj2EEiiiiiiS1_IjLj3EES5_S5_.private_seg_size, 0
	.set _ZL33flash_attn_stream_k_fixup_uniformILi64ELi32ELi1EEvPfPK15HIP_vector_typeIfLj2EEiiiiiiS1_IjLj3EES5_S5_.uses_vcc, 1
	.set _ZL33flash_attn_stream_k_fixup_uniformILi64ELi32ELi1EEvPfPK15HIP_vector_typeIfLj2EEiiiiiiS1_IjLj3EES5_S5_.uses_flat_scratch, 0
	.set _ZL33flash_attn_stream_k_fixup_uniformILi64ELi32ELi1EEvPfPK15HIP_vector_typeIfLj2EEiiiiiiS1_IjLj3EES5_S5_.has_dyn_sized_stack, 0
	.set _ZL33flash_attn_stream_k_fixup_uniformILi64ELi32ELi1EEvPfPK15HIP_vector_typeIfLj2EEiiiiiiS1_IjLj3EES5_S5_.has_recursion, 0
	.set _ZL33flash_attn_stream_k_fixup_uniformILi64ELi32ELi1EEvPfPK15HIP_vector_typeIfLj2EEiiiiiiS1_IjLj3EES5_S5_.has_indirect_call, 0
	.section	.AMDGPU.csdata,"",@progbits
; Kernel info:
; codeLenInByte = 816
; TotalNumSgprs: 30
; NumVgprs: 17
; NumAgprs: 0
; TotalNumVgprs: 17
; ScratchSize: 0
; MemoryBound: 0
; FloatMode: 240
; IeeeMode: 1
; LDSByteSize: 0 bytes/workgroup (compile time only)
; SGPRBlocks: 3
; VGPRBlocks: 2
; NumSGPRsForWavesPerEU: 30
; NumVGPRsForWavesPerEU: 17
; AccumOffset: 20
; Occupancy: 8
; WaveLimiterHint : 0
; COMPUTE_PGM_RSRC2:SCRATCH_EN: 0
; COMPUTE_PGM_RSRC2:USER_SGPR: 2
; COMPUTE_PGM_RSRC2:TRAP_HANDLER: 0
; COMPUTE_PGM_RSRC2:TGID_X_EN: 1
; COMPUTE_PGM_RSRC2:TGID_Y_EN: 1
; COMPUTE_PGM_RSRC2:TGID_Z_EN: 1
; COMPUTE_PGM_RSRC2:TIDIG_COMP_CNT: 0
; COMPUTE_PGM_RSRC3_GFX90A:ACCUM_OFFSET: 4
; COMPUTE_PGM_RSRC3_GFX90A:TG_SPLIT: 0
	.section	.text._ZL33flash_attn_stream_k_fixup_generalILi64ELi32ELi1EEvPfPK15HIP_vector_typeIfLj2EEiiiiS1_IjLj3EES5_S5_S5_,"axG",@progbits,_ZL33flash_attn_stream_k_fixup_generalILi64ELi32ELi1EEvPfPK15HIP_vector_typeIfLj2EEiiiiS1_IjLj3EES5_S5_S5_,comdat
	.globl	_ZL33flash_attn_stream_k_fixup_generalILi64ELi32ELi1EEvPfPK15HIP_vector_typeIfLj2EEiiiiS1_IjLj3EES5_S5_S5_ ; -- Begin function _ZL33flash_attn_stream_k_fixup_generalILi64ELi32ELi1EEvPfPK15HIP_vector_typeIfLj2EEiiiiS1_IjLj3EES5_S5_S5_
	.p2align	8
	.type	_ZL33flash_attn_stream_k_fixup_generalILi64ELi32ELi1EEvPfPK15HIP_vector_typeIfLj2EEiiiiS1_IjLj3EES5_S5_S5_,@function
_ZL33flash_attn_stream_k_fixup_generalILi64ELi32ELi1EEvPfPK15HIP_vector_typeIfLj2EEiiiiS1_IjLj3EES5_S5_S5_: ; @_ZL33flash_attn_stream_k_fixup_generalILi64ELi32ELi1EEvPfPK15HIP_vector_typeIfLj2EEiiiiS1_IjLj3EES5_S5_S5_
; %bb.0:
	s_load_dwordx4 s[8:11], s[0:1], 0x10
	s_load_dword s22, s[0:1], 0x50
	s_mov_b32 s12, 0
	s_waitcnt lgkmcnt(0)
	s_mul_hi_i32 s13, s11, s2
	s_cmp_lg_u64 s[12:13], 0
	s_mul_i32 s5, s11, s2
	s_cbranch_scc0 .LBB7_20
; %bb.1:
	s_add_u32 s6, s22, 0
	s_addc_u32 s7, 0, 0
	s_xor_b64 s[6:7], s[6:7], 0
	v_cvt_f32_u32_e32 v1, s6
	v_cvt_f32_u32_e32 v2, s7
	s_sub_u32 s12, 0, s6
	s_subb_u32 s18, 0, s7
	v_fmamk_f32 v1, v2, 0x4f800000, v1
	v_rcp_f32_e32 v1, v1
	s_nop 0
	v_mul_f32_e32 v1, 0x5f7ffffc, v1
	v_mul_f32_e32 v2, 0x2f800000, v1
	v_trunc_f32_e32 v2, v2
	v_fmamk_f32 v1, v2, 0xcf800000, v1
	v_cvt_u32_f32_e32 v2, v2
	v_cvt_u32_f32_e32 v1, v1
	v_readfirstlane_b32 s19, v2
	v_readfirstlane_b32 s14, v1
	s_mul_i32 s15, s12, s19
	s_mul_hi_u32 s21, s12, s14
	s_mul_i32 s20, s18, s14
	s_add_i32 s15, s21, s15
	s_add_i32 s15, s15, s20
	s_mul_i32 s23, s12, s14
	s_mul_i32 s21, s14, s15
	s_mul_hi_u32 s24, s14, s23
	s_mul_hi_u32 s20, s14, s15
	s_add_u32 s21, s24, s21
	s_addc_u32 s20, 0, s20
	s_mul_hi_u32 s25, s19, s23
	s_mul_i32 s23, s19, s23
	s_add_u32 s21, s21, s23
	s_mul_hi_u32 s24, s19, s15
	s_addc_u32 s20, s20, s25
	s_addc_u32 s21, s24, 0
	s_mul_i32 s15, s19, s15
	s_add_u32 s15, s20, s15
	s_addc_u32 s20, 0, s21
	s_add_u32 s21, s14, s15
	s_cselect_b64 s[14:15], -1, 0
	s_cmp_lg_u64 s[14:15], 0
	s_addc_u32 s19, s19, s20
	s_mul_i32 s14, s12, s19
	s_mul_hi_u32 s15, s12, s21
	s_add_i32 s14, s15, s14
	s_mul_i32 s18, s18, s21
	s_add_i32 s14, s14, s18
	s_mul_i32 s12, s12, s21
	s_mul_hi_u32 s18, s19, s12
	s_mul_i32 s20, s19, s12
	s_mul_i32 s24, s21, s14
	s_mul_hi_u32 s12, s21, s12
	s_mul_hi_u32 s23, s21, s14
	s_add_u32 s12, s12, s24
	s_addc_u32 s23, 0, s23
	s_add_u32 s12, s12, s20
	s_mul_hi_u32 s15, s19, s14
	s_addc_u32 s12, s23, s18
	s_addc_u32 s15, s15, 0
	s_mul_i32 s14, s19, s14
	s_add_u32 s12, s12, s14
	s_addc_u32 s18, 0, s15
	s_add_u32 s20, s21, s12
	s_cselect_b64 s[14:15], -1, 0
	s_cmp_lg_u64 s[14:15], 0
	s_addc_u32 s18, s19, s18
	s_ashr_i32 s14, s13, 31
	s_add_u32 s12, s5, s14
	s_mov_b32 s15, s14
	s_addc_u32 s13, s13, s14
	s_xor_b64 s[12:13], s[12:13], s[14:15]
	s_mul_i32 s21, s12, s18
	s_mul_hi_u32 s23, s12, s20
	s_mul_hi_u32 s19, s12, s18
	s_add_u32 s21, s23, s21
	s_addc_u32 s19, 0, s19
	s_mul_hi_u32 s24, s13, s20
	s_mul_i32 s20, s13, s20
	s_add_u32 s20, s21, s20
	s_mul_hi_u32 s23, s13, s18
	s_addc_u32 s19, s19, s24
	s_addc_u32 s20, s23, 0
	s_mul_i32 s18, s13, s18
	s_add_u32 s23, s19, s18
	s_addc_u32 s24, 0, s20
	s_mul_i32 s18, s6, s24
	s_mul_hi_u32 s19, s6, s23
	s_add_i32 s18, s19, s18
	s_mul_i32 s19, s7, s23
	s_add_i32 s25, s18, s19
	s_sub_i32 s20, s13, s25
	s_mul_i32 s18, s6, s23
	s_sub_u32 s12, s12, s18
	s_cselect_b64 s[18:19], -1, 0
	s_cmp_lg_u64 s[18:19], 0
	s_subb_u32 s26, s20, s7
	s_sub_u32 s27, s12, s6
	s_cselect_b64 s[20:21], -1, 0
	s_cmp_lg_u64 s[20:21], 0
	s_subb_u32 s20, s26, 0
	s_cmp_ge_u32 s20, s7
	s_cselect_b32 s21, -1, 0
	s_cmp_ge_u32 s27, s6
	s_cselect_b32 s26, -1, 0
	s_cmp_eq_u32 s20, s7
	s_cselect_b32 s20, s26, s21
	s_add_u32 s21, s23, 1
	s_addc_u32 s26, s24, 0
	s_add_u32 s27, s23, 2
	s_addc_u32 s28, s24, 0
	s_cmp_lg_u32 s20, 0
	s_cselect_b32 s20, s27, s21
	s_cselect_b32 s21, s28, s26
	s_cmp_lg_u64 s[18:19], 0
	s_subb_u32 s13, s13, s25
	s_cmp_ge_u32 s13, s7
	s_cselect_b32 s18, -1, 0
	s_cmp_ge_u32 s12, s6
	s_cselect_b32 s6, -1, 0
	s_cmp_eq_u32 s13, s7
	s_cselect_b32 s6, s6, s18
	s_cmp_lg_u32 s6, 0
	s_cselect_b32 s7, s21, s24
	s_cselect_b32 s6, s20, s23
	s_xor_b64 s[12:13], s[14:15], 0
	s_xor_b64 s[6:7], s[6:7], s[12:13]
	s_sub_u32 s6, s6, s12
	s_load_dwordx4 s[12:15], s[0:1], 0x44
	s_cbranch_execnz .LBB7_3
.LBB7_2:
	v_cvt_f32_u32_e32 v1, s22
	s_sub_i32 s6, 0, s22
	v_rcp_iflag_f32_e32 v1, v1
	s_nop 0
	v_mul_f32_e32 v1, 0x4f7ffffe, v1
	v_cvt_u32_f32_e32 v1, v1
	s_nop 0
	v_readfirstlane_b32 s7, v1
	s_mul_i32 s6, s6, s7
	s_mul_hi_u32 s6, s7, s6
	s_add_i32 s7, s7, s6
	s_mul_hi_u32 s6, s5, s7
	s_waitcnt lgkmcnt(0)
	s_mul_i32 s15, s6, s22
	s_sub_i32 s5, s5, s15
	s_add_i32 s7, s6, 1
	s_sub_i32 s15, s5, s22
	s_cmp_ge_u32 s5, s22
	s_cselect_b32 s6, s7, s6
	s_cselect_b32 s5, s15, s5
	s_add_i32 s7, s6, 1
	s_cmp_ge_u32 s5, s22
	s_cselect_b32 s6, s7, s6
.LBB7_3:
	s_add_i32 s5, s2, 1
	s_mul_hi_i32 s21, s11, s5
	s_mov_b32 s20, 0
	s_cmp_lg_u64 s[20:21], 0
	s_mul_i32 s5, s11, s5
	s_cbranch_scc0 .LBB7_21
; %bb.4:
	s_add_u32 s16, s22, 0
	s_addc_u32 s17, 0, 0
	s_xor_b64 s[18:19], s[16:17], 0
	v_cvt_f32_u32_e32 v1, s18
	v_cvt_f32_u32_e32 v2, s19
	s_sub_u32 s7, 0, s18
	s_waitcnt lgkmcnt(0)
	s_subb_u32 s15, 0, s19
	v_fmamk_f32 v1, v2, 0x4f800000, v1
	v_rcp_f32_e32 v1, v1
	s_nop 0
	v_mul_f32_e32 v1, 0x5f7ffffc, v1
	v_mul_f32_e32 v2, 0x2f800000, v1
	v_trunc_f32_e32 v2, v2
	v_fmamk_f32 v1, v2, 0xcf800000, v1
	v_cvt_u32_f32_e32 v2, v2
	v_cvt_u32_f32_e32 v1, v1
	v_readfirstlane_b32 s20, v2
	v_readfirstlane_b32 s23, v1
	s_mul_i32 s24, s7, s20
	s_mul_hi_u32 s26, s7, s23
	s_mul_i32 s25, s15, s23
	s_add_i32 s24, s26, s24
	s_add_i32 s24, s24, s25
	s_mul_i32 s27, s7, s23
	s_mul_i32 s26, s23, s24
	s_mul_hi_u32 s28, s23, s27
	s_mul_hi_u32 s25, s23, s24
	s_add_u32 s26, s28, s26
	s_addc_u32 s25, 0, s25
	s_mul_hi_u32 s29, s20, s27
	s_mul_i32 s27, s20, s27
	s_add_u32 s26, s26, s27
	s_mul_hi_u32 s28, s20, s24
	s_addc_u32 s25, s25, s29
	s_addc_u32 s26, s28, 0
	s_mul_i32 s24, s20, s24
	s_add_u32 s24, s25, s24
	s_addc_u32 s26, 0, s26
	s_add_u32 s23, s23, s24
	s_cselect_b64 s[24:25], -1, 0
	s_cmp_lg_u64 s[24:25], 0
	s_addc_u32 s20, s20, s26
	s_mul_i32 s24, s7, s20
	s_mul_hi_u32 s25, s7, s23
	s_add_i32 s24, s25, s24
	s_mul_i32 s15, s15, s23
	s_add_i32 s24, s24, s15
	s_mul_i32 s7, s7, s23
	s_mul_hi_u32 s25, s20, s7
	s_mul_i32 s26, s20, s7
	s_mul_i32 s28, s23, s24
	s_mul_hi_u32 s7, s23, s7
	s_mul_hi_u32 s27, s23, s24
	s_add_u32 s7, s7, s28
	s_addc_u32 s27, 0, s27
	s_add_u32 s7, s7, s26
	s_mul_hi_u32 s15, s20, s24
	s_addc_u32 s7, s27, s25
	s_addc_u32 s15, s15, 0
	s_mul_i32 s24, s20, s24
	s_add_u32 s7, s7, s24
	s_addc_u32 s15, 0, s15
	s_add_u32 s7, s23, s7
	s_cselect_b64 s[24:25], -1, 0
	s_cmp_lg_u64 s[24:25], 0
	s_addc_u32 s15, s20, s15
	s_ashr_i32 s24, s21, 31
	s_add_u32 s20, s5, s24
	s_mov_b32 s25, s24
	s_addc_u32 s21, s21, s24
	s_xor_b64 s[20:21], s[20:21], s[24:25]
	s_mul_i32 s26, s20, s15
	s_mul_hi_u32 s27, s20, s7
	s_mul_hi_u32 s23, s20, s15
	s_add_u32 s26, s27, s26
	s_addc_u32 s23, 0, s23
	s_mul_hi_u32 s28, s21, s7
	s_mul_i32 s7, s21, s7
	s_add_u32 s7, s26, s7
	s_mul_hi_u32 s27, s21, s15
	s_addc_u32 s7, s23, s28
	s_addc_u32 s23, s27, 0
	s_mul_i32 s15, s21, s15
	s_add_u32 s7, s7, s15
	s_addc_u32 s15, 0, s23
	s_mul_i32 s23, s18, s15
	s_mul_hi_u32 s26, s18, s7
	s_add_i32 s23, s26, s23
	s_mul_i32 s26, s19, s7
	s_add_i32 s23, s23, s26
	s_sub_i32 s28, s21, s23
	s_mul_i32 s26, s18, s7
	s_sub_u32 s20, s20, s26
	s_cselect_b64 s[26:27], -1, 0
	s_cmp_lg_u64 s[26:27], 0
	s_subb_u32 s30, s28, s19
	s_sub_u32 s31, s20, s18
	s_cselect_b64 s[28:29], -1, 0
	s_cmp_lg_u64 s[28:29], 0
	s_subb_u32 s28, s30, 0
	s_cmp_ge_u32 s28, s19
	s_cselect_b32 s29, -1, 0
	s_cmp_ge_u32 s31, s18
	s_cselect_b32 s30, -1, 0
	s_cmp_eq_u32 s28, s19
	s_cselect_b32 s28, s30, s29
	s_add_u32 s29, s7, 1
	s_addc_u32 s30, s15, 0
	s_add_u32 s31, s7, 2
	s_addc_u32 s33, s15, 0
	s_cmp_lg_u32 s28, 0
	s_cselect_b32 s28, s31, s29
	s_cselect_b32 s29, s33, s30
	s_cmp_lg_u64 s[26:27], 0
	s_subb_u32 s21, s21, s23
	s_cmp_ge_u32 s21, s19
	s_cselect_b32 s23, -1, 0
	s_cmp_ge_u32 s20, s18
	s_cselect_b32 s18, -1, 0
	s_cmp_eq_u32 s21, s19
	s_cselect_b32 s18, s18, s23
	s_cmp_lg_u32 s18, 0
	s_cselect_b32 s19, s29, s15
	s_cselect_b32 s18, s28, s7
	s_xor_b64 s[20:21], s[24:25], 0
	s_xor_b64 s[18:19], s[18:19], s[20:21]
	s_sub_u32 s18, s18, s20
	s_cbranch_execnz .LBB7_6
.LBB7_5:
	v_cvt_f32_u32_e32 v1, s22
	s_sub_i32 s7, 0, s22
	v_rcp_iflag_f32_e32 v1, v1
	s_nop 0
	v_mul_f32_e32 v1, 0x4f7ffffe, v1
	v_cvt_u32_f32_e32 v1, v1
	s_waitcnt lgkmcnt(0)
	v_readfirstlane_b32 s15, v1
	s_mul_i32 s7, s7, s15
	s_mul_hi_u32 s7, s15, s7
	s_add_i32 s15, s15, s7
	s_mul_hi_u32 s7, s5, s15
	s_mul_i32 s16, s7, s22
	s_sub_i32 s5, s5, s16
	s_add_i32 s15, s7, 1
	s_sub_i32 s16, s5, s22
	s_cmp_ge_u32 s5, s22
	s_cselect_b32 s7, s15, s7
	s_cselect_b32 s5, s16, s5
	s_add_i32 s15, s7, 1
	s_cmp_ge_u32 s5, s22
	s_cselect_b32 s18, s15, s7
.LBB7_6:
	s_cmp_eq_u32 s6, s18
	s_waitcnt lgkmcnt(0)
	s_mul_hi_u32 s5, s6, s12
	s_cselect_b64 s[16:17], -1, 0
	s_add_i32 s5, s5, s6
	s_lshr_b32 s7, s5, s13
	s_mul_i32 s5, s7, s14
	s_cmp_eq_u32 s5, s6
	s_mul_hi_u32 s5, s18, s12
	s_cselect_b64 s[20:21], -1, 0
	s_add_i32 s5, s5, s18
	s_lshr_b32 s5, s5, s13
	s_cmp_eq_u32 s7, s5
	s_mul_i32 s5, s5, s14
	s_cselect_b64 s[24:25], -1, 0
	s_cmp_lg_u32 s5, s18
	s_cselect_b64 s[18:19], -1, 0
	s_and_b64 s[18:19], s[24:25], s[18:19]
	s_or_b64 s[16:17], s[16:17], s[20:21]
	s_or_b64 s[16:17], s[16:17], s[18:19]
	s_and_b64 vcc, exec, s[16:17]
	s_cbranch_vccnz .LBB7_23
; %bb.7:
	s_load_dwordx8 s[24:31], s[0:1], 0x20
	s_load_dword s15, s[0:1], 0x40
	s_waitcnt lgkmcnt(0)
	s_mul_hi_u32 s5, s6, s24
	s_add_i32 s5, s5, s6
	s_lshr_b32 s5, s5, s25
	s_mul_i32 s16, s5, s26
	s_sub_i32 s16, s6, s16
	s_mul_hi_u32 s17, s16, s27
	s_add_i32 s17, s16, s17
	s_lshr_b32 s21, s17, s28
	s_mul_i32 s17, s21, s29
	s_sub_i32 s16, s16, s17
	;; [unrolled: 5-line block ×3, first 2 shown]
	s_mul_hi_u32 s16, s15, s12
	s_add_i32 s15, s15, s16
	s_lshr_b32 s23, s15, s13
	s_lshl_b32 s15, s23, 5
	s_add_i32 s15, s15, s3
	s_cmp_lt_i32 s15, s8
	s_cselect_b64 s[16:17], -1, 0
	s_add_i32 s15, s20, s4
	s_cmp_lt_i32 s15, s10
	s_cselect_b64 s[18:19], -1, 0
	s_and_b64 s[16:17], s[16:17], s[18:19]
	s_andn2_b64 vcc, exec, s[16:17]
	s_cbranch_vccnz .LBB7_23
; %bb.8:
	s_load_dwordx4 s[16:19], s[0:1], 0x0
	s_mov_b32 s0, 0
	s_lshl_b32 s24, s22, 7
	s_mov_b32 s25, s0
	s_add_i32 s15, s3, s4
	s_waitcnt lgkmcnt(0)
	v_mov_b32_e32 v2, s16
	v_mov_b32_e32 v3, s17
	s_lshl_b64 s[16:17], s[24:25], 2
	s_add_u32 s16, s18, s16
	s_mul_i32 s1, s5, s8
	s_addc_u32 s17, s19, s17
	s_add_i32 s1, s1, s3
	s_mul_i32 s1, s1, s9
	s_mul_i32 s21, s21, s10
	s_add_i32 s1, s1, s4
	s_add_i32 s1, s1, s21
	s_mul_i32 s5, s9, s23
	s_add_i32 s1, s1, s20
	s_lshl_b32 s5, s5, 11
	s_lshl_b32 s1, s1, 6
	s_add_i32 s5, s5, s1
	v_or_b32_e32 v4, s5, v0
	v_ashrrev_i32_e32 v5, 31, v4
	v_lshl_add_u64 v[2:3], v[4:5], 2, v[2:3]
	global_load_dword v1, v[2:3], off
	v_cvt_f32_u32_e32 v4, s22
	s_lshl_b32 s1, s2, 5
	s_add_i32 s4, s1, s15
	s_ashr_i32 s5, s4, 31
	s_lshl_b64 s[4:5], s[4:5], 3
	v_rcp_iflag_f32_e32 v4, v4
	s_add_u32 s4, s18, s4
	s_addc_u32 s5, s19, s5
	s_load_dwordx2 s[4:5], s[4:5], 0x0
	v_mul_f32_e32 v4, 0x4f7ffffe, v4
	v_cvt_u32_f32_e32 v7, v4
	s_add_i32 s24, s2, -1
	v_lshl_or_b32 v6, s15, 6, v0
	s_waitcnt lgkmcnt(0)
	v_mov_b32_e32 v0, s5
	v_mov_b32_e32 v9, s4
	s_mov_b32 s10, 0x3fb8aa3b
	s_mov_b32 s20, 0xc2ce8ed0
	;; [unrolled: 1-line block ×4, first 2 shown]
	v_mov_b32_e32 v8, 0x7f800000
	s_mul_hi_i32 s1, s24, s11
	s_cmp_lg_u64 s[0:1], 0
	s_mul_i32 s8, s24, s11
	s_cbranch_scc0 .LBB7_19
.LBB7_9:
	s_add_u32 s2, s22, 0
	s_addc_u32 s3, 0, 0
	s_xor_b64 s[2:3], s[2:3], 0
	v_cvt_f32_u32_e32 v4, s2
	v_cvt_f32_u32_e32 v5, s3
	s_sub_u32 s9, 0, s2
	s_subb_u32 s25, 0, s3
	v_fmac_f32_e32 v4, 0x4f800000, v5
	v_rcp_f32_e32 v4, v4
	s_nop 0
	v_mul_f32_e32 v4, 0x5f7ffffc, v4
	v_mul_f32_e32 v5, 0x2f800000, v4
	v_trunc_f32_e32 v5, v5
	v_fmac_f32_e32 v4, 0xcf800000, v5
	v_cvt_u32_f32_e32 v5, v5
	v_cvt_u32_f32_e32 v4, v4
	v_readfirstlane_b32 s26, v5
	v_readfirstlane_b32 s4, v4
	s_mul_i32 s5, s9, s26
	s_mul_hi_u32 s28, s9, s4
	s_mul_i32 s27, s25, s4
	s_add_i32 s5, s28, s5
	s_mul_i32 s29, s9, s4
	s_add_i32 s5, s5, s27
	s_mul_i32 s28, s4, s5
	s_mul_hi_u32 s30, s4, s29
	s_mul_hi_u32 s27, s4, s5
	s_add_u32 s28, s30, s28
	s_addc_u32 s27, 0, s27
	s_mul_hi_u32 s31, s26, s29
	s_mul_i32 s29, s26, s29
	s_add_u32 s28, s28, s29
	s_mul_hi_u32 s30, s26, s5
	s_addc_u32 s27, s27, s31
	s_addc_u32 s28, s30, 0
	s_mul_i32 s5, s26, s5
	s_add_u32 s5, s27, s5
	s_addc_u32 s27, 0, s28
	s_add_u32 s28, s4, s5
	s_cselect_b64 s[4:5], -1, 0
	s_cmp_lg_u64 s[4:5], 0
	s_addc_u32 s26, s26, s27
	s_mul_i32 s4, s9, s26
	s_mul_hi_u32 s5, s9, s28
	s_add_i32 s4, s5, s4
	s_mul_i32 s25, s25, s28
	s_add_i32 s4, s4, s25
	s_mul_i32 s9, s9, s28
	s_mul_hi_u32 s25, s26, s9
	s_mul_i32 s27, s26, s9
	s_mul_i32 s30, s28, s4
	s_mul_hi_u32 s9, s28, s9
	s_mul_hi_u32 s29, s28, s4
	s_add_u32 s9, s9, s30
	s_addc_u32 s29, 0, s29
	s_add_u32 s9, s9, s27
	s_mul_hi_u32 s5, s26, s4
	s_addc_u32 s9, s29, s25
	s_addc_u32 s5, s5, 0
	s_mul_i32 s4, s26, s4
	s_add_u32 s4, s9, s4
	s_addc_u32 s9, 0, s5
	s_add_u32 s25, s28, s4
	s_cselect_b64 s[4:5], -1, 0
	s_cmp_lg_u64 s[4:5], 0
	s_addc_u32 s9, s26, s9
	s_ashr_i32 s4, s1, 31
	s_add_u32 s26, s8, s4
	s_mov_b32 s5, s4
	s_addc_u32 s27, s1, s4
	s_xor_b64 s[26:27], s[26:27], s[4:5]
	s_mul_i32 s28, s26, s9
	s_mul_hi_u32 s29, s26, s25
	s_mul_hi_u32 s1, s26, s9
	s_add_u32 s28, s29, s28
	s_addc_u32 s1, 0, s1
	s_mul_hi_u32 s30, s27, s25
	s_mul_i32 s25, s27, s25
	s_add_u32 s25, s28, s25
	s_mul_hi_u32 s29, s27, s9
	s_addc_u32 s1, s1, s30
	s_addc_u32 s25, s29, 0
	s_mul_i32 s9, s27, s9
	s_add_u32 s1, s1, s9
	s_addc_u32 s9, 0, s25
	s_mul_i32 s25, s2, s9
	s_mul_hi_u32 s28, s2, s1
	s_add_i32 s25, s28, s25
	s_mul_i32 s28, s3, s1
	s_add_i32 s25, s25, s28
	s_sub_i32 s30, s27, s25
	s_mul_i32 s28, s2, s1
	s_sub_u32 s26, s26, s28
	s_cselect_b64 s[28:29], -1, 0
	s_cmp_lg_u64 s[28:29], 0
	s_subb_u32 s33, s30, s3
	s_sub_u32 s34, s26, s2
	s_cselect_b64 s[30:31], -1, 0
	s_cmp_lg_u64 s[30:31], 0
	s_subb_u32 s30, s33, 0
	s_cmp_ge_u32 s30, s3
	s_cselect_b32 s31, -1, 0
	s_cmp_ge_u32 s34, s2
	s_cselect_b32 s33, -1, 0
	s_cmp_eq_u32 s30, s3
	s_cselect_b32 s30, s33, s31
	s_add_u32 s31, s1, 1
	s_addc_u32 s33, s9, 0
	s_add_u32 s34, s1, 2
	s_addc_u32 s35, s9, 0
	s_cmp_lg_u32 s30, 0
	s_cselect_b32 s30, s34, s31
	s_cselect_b32 s31, s35, s33
	s_cmp_lg_u64 s[28:29], 0
	s_subb_u32 s25, s27, s25
	s_cmp_ge_u32 s25, s3
	s_cselect_b32 s27, -1, 0
	s_cmp_ge_u32 s26, s2
	s_cselect_b32 s2, -1, 0
	s_cmp_eq_u32 s25, s3
	s_cselect_b32 s2, s2, s27
	s_cmp_lg_u32 s2, 0
	s_cselect_b32 s3, s31, s9
	s_cselect_b32 s2, s30, s1
	s_xor_b64 s[4:5], s[4:5], 0
	s_xor_b64 s[2:3], s[2:3], s[4:5]
	s_sub_u32 s4, s2, s4
	s_cbranch_execnz .LBB7_11
.LBB7_10:
	s_sub_i32 s1, 0, s22
	v_readfirstlane_b32 s2, v7
	s_mul_i32 s1, s1, s2
	s_mul_hi_u32 s1, s2, s1
	s_add_i32 s2, s2, s1
	s_mul_hi_u32 s1, s8, s2
	s_mul_i32 s3, s1, s22
	s_sub_i32 s3, s8, s3
	s_add_i32 s2, s1, 1
	s_sub_i32 s4, s3, s22
	s_cmp_ge_u32 s3, s22
	s_cselect_b32 s1, s2, s1
	s_cselect_b32 s3, s4, s3
	s_add_i32 s2, s1, 1
	s_cmp_ge_u32 s3, s22
	s_cselect_b32 s4, s2, s1
.LBB7_11:
	s_cmp_lg_u32 s6, s4
	s_cbranch_scc0 .LBB7_15
; %bb.12:
	s_add_i32 s1, s24, s22
	s_lshl_b32 s1, s1, 5
	s_add_i32 s2, s1, s15
	s_mov_b32 s3, s0
	s_lshl_b64 s[2:3], s[2:3], 3
	s_add_u32 s8, s18, s2
	s_mul_hi_u32 s1, s4, s12
	s_addc_u32 s9, s19, s3
	s_add_i32 s1, s1, s4
	s_lshr_b32 s1, s1, s13
	s_mul_i32 s2, s1, s14
	s_cmp_eq_u32 s2, s4
	s_cselect_b64 s[2:3], -1, 0
	s_cmp_lt_u32 s1, s7
	s_cselect_b64 s[26:27], -1, 0
	s_or_b64 s[26:27], s[26:27], s[2:3]
	s_mov_b64 s[2:3], -1
	s_and_b64 vcc, exec, s[26:27]
	s_mov_b32 s1, s24
	s_mov_b32 s25, s6
	s_cbranch_vccnz .LBB7_14
; %bb.13:
	s_add_i32 s1, s24, -1
	s_mov_b64 s[2:3], 0
	s_mov_b32 s25, s4
.LBB7_14:
	v_lshl_add_u32 v4, s24, 11, v6
	v_ashrrev_i32_e32 v5, 31, v4
	v_lshl_add_u64 v[4:5], v[4:5], 2, s[16:17]
	global_load_dword v5, v[4:5], off
	s_load_dwordx2 s[4:5], s[8:9], 0x0
	v_max_f32_e32 v4, v9, v9
	s_waitcnt lgkmcnt(0)
	v_max_f32_e64 v10, s4, s4
	v_max_f32_e32 v10, v4, v10
	v_sub_f32_e32 v11, v9, v10
	v_sub_f32_e32 v13, s4, v10
	v_mul_f32_e32 v4, 0x3fb8aa3b, v11
	v_mul_f32_e32 v12, 0x3fb8aa3b, v13
	v_fma_f32 v14, v11, s10, -v4
	v_rndne_f32_e32 v15, v4
	v_fma_f32 v16, v13, s10, -v12
	v_rndne_f32_e32 v17, v12
	v_fmac_f32_e32 v14, 0x32a5705f, v11
	v_sub_f32_e32 v4, v4, v15
	v_fmac_f32_e32 v16, 0x32a5705f, v13
	v_sub_f32_e32 v12, v12, v17
	v_add_f32_e32 v4, v4, v14
	v_cvt_i32_f32_e32 v15, v15
	v_add_f32_e32 v12, v12, v16
	v_exp_f32_e32 v14, v4
	v_cvt_i32_f32_e32 v17, v17
	v_exp_f32_e32 v12, v12
	v_cmp_ngt_f32_e32 vcc, s20, v11
	v_ldexp_f32 v14, v14, v15
	v_mov_b32_e32 v4, s5
	v_ldexp_f32 v12, v12, v17
	v_cndmask_b32_e32 v14, 0, v14, vcc
	v_cmp_ngt_f32_e32 vcc, s20, v13
	s_nop 1
	v_cndmask_b32_e32 v12, 0, v12, vcc
	v_cmp_nlt_f32_e32 vcc, s21, v11
	s_nop 1
	v_cndmask_b32_e32 v14, v8, v14, vcc
	v_cmp_nlt_f32_e32 vcc, s21, v13
	s_nop 1
	v_cndmask_b32_e32 v15, v8, v12, vcc
	v_cmp_le_f32_e32 vcc, s23, v11
	s_nop 1
	v_cndmask_b32_e32 v12, 0, v14, vcc
	v_cmp_le_f32_e32 vcc, s23, v13
	s_nop 1
	v_cndmask_b32_e32 v14, 0, v15, vcc
	s_waitcnt vmcnt(0)
	v_pk_mul_f32 v[4:5], v[4:5], v[14:15] op_sel_hi:[1,0]
	s_nop 0
	v_pk_fma_f32 v[4:5], v[0:1], v[12:13], v[4:5] op_sel_hi:[1,0,1]
	s_cbranch_execz .LBB7_16
	s_branch .LBB7_17
.LBB7_15:
                                        ; implicit-def: $vgpr4_vgpr5
                                        ; implicit-def: $sgpr2_sgpr3
                                        ; implicit-def: $vgpr10
                                        ; implicit-def: $sgpr1
                                        ; implicit-def: $sgpr25
.LBB7_16:
	s_add_i32 s1, s24, -1
	s_mov_b64 s[2:3], 0
	s_mov_b32 s25, s6
	v_mov_b32_e32 v10, v9
	s_waitcnt vmcnt(0)
	v_mov_b64_e32 v[4:5], v[0:1]
.LBB7_17:
	s_andn2_b64 vcc, exec, s[2:3]
	s_cbranch_vccz .LBB7_22
; %bb.18:
	s_mov_b32 s6, s25
	s_mov_b32 s24, s1
	v_mov_b32_e32 v9, v10
	s_waitcnt vmcnt(0)
	v_mov_b64_e32 v[0:1], v[4:5]
	s_mul_hi_i32 s1, s24, s11
	s_cmp_lg_u64 s[0:1], 0
	s_mul_i32 s8, s24, s11
	s_cbranch_scc1 .LBB7_9
.LBB7_19:
                                        ; implicit-def: $sgpr4_sgpr5
	s_branch .LBB7_10
.LBB7_20:
                                        ; implicit-def: $sgpr6_sgpr7
	s_load_dwordx4 s[12:15], s[0:1], 0x44
	s_branch .LBB7_2
.LBB7_21:
                                        ; implicit-def: $sgpr18_sgpr19
	s_branch .LBB7_5
.LBB7_22:
	v_div_scale_f32 v0, s[0:1], v4, v4, v5
	s_waitcnt vmcnt(0)
	v_rcp_f32_e32 v1, v0
	v_div_scale_f32 v6, vcc, v5, v4, v5
	v_fma_f32 v7, -v0, v1, 1.0
	v_fmac_f32_e32 v1, v7, v1
	v_mul_f32_e32 v7, v6, v1
	v_fma_f32 v8, -v0, v7, v6
	v_fmac_f32_e32 v7, v8, v1
	v_fma_f32 v0, -v0, v7, v6
	v_div_fmas_f32 v0, v0, v1, v7
	v_div_fixup_f32 v0, v0, v4, v5
	global_store_dword v[2:3], v0, off
.LBB7_23:
	s_endpgm
	.section	.rodata,"a",@progbits
	.p2align	6, 0x0
	.amdhsa_kernel _ZL33flash_attn_stream_k_fixup_generalILi64ELi32ELi1EEvPfPK15HIP_vector_typeIfLj2EEiiiiS1_IjLj3EES5_S5_S5_
		.amdhsa_group_segment_fixed_size 0
		.amdhsa_private_segment_fixed_size 0
		.amdhsa_kernarg_size 336
		.amdhsa_user_sgpr_count 2
		.amdhsa_user_sgpr_dispatch_ptr 0
		.amdhsa_user_sgpr_queue_ptr 0
		.amdhsa_user_sgpr_kernarg_segment_ptr 1
		.amdhsa_user_sgpr_dispatch_id 0
		.amdhsa_user_sgpr_kernarg_preload_length 0
		.amdhsa_user_sgpr_kernarg_preload_offset 0
		.amdhsa_user_sgpr_private_segment_size 0
		.amdhsa_uses_dynamic_stack 0
		.amdhsa_enable_private_segment 0
		.amdhsa_system_sgpr_workgroup_id_x 1
		.amdhsa_system_sgpr_workgroup_id_y 1
		.amdhsa_system_sgpr_workgroup_id_z 1
		.amdhsa_system_sgpr_workgroup_info 0
		.amdhsa_system_vgpr_workitem_id 0
		.amdhsa_next_free_vgpr 18
		.amdhsa_next_free_sgpr 36
		.amdhsa_accum_offset 20
		.amdhsa_reserve_vcc 1
		.amdhsa_float_round_mode_32 0
		.amdhsa_float_round_mode_16_64 0
		.amdhsa_float_denorm_mode_32 3
		.amdhsa_float_denorm_mode_16_64 3
		.amdhsa_dx10_clamp 1
		.amdhsa_ieee_mode 1
		.amdhsa_fp16_overflow 0
		.amdhsa_tg_split 0
		.amdhsa_exception_fp_ieee_invalid_op 0
		.amdhsa_exception_fp_denorm_src 0
		.amdhsa_exception_fp_ieee_div_zero 0
		.amdhsa_exception_fp_ieee_overflow 0
		.amdhsa_exception_fp_ieee_underflow 0
		.amdhsa_exception_fp_ieee_inexact 0
		.amdhsa_exception_int_div_zero 0
	.end_amdhsa_kernel
	.section	.text._ZL33flash_attn_stream_k_fixup_generalILi64ELi32ELi1EEvPfPK15HIP_vector_typeIfLj2EEiiiiS1_IjLj3EES5_S5_S5_,"axG",@progbits,_ZL33flash_attn_stream_k_fixup_generalILi64ELi32ELi1EEvPfPK15HIP_vector_typeIfLj2EEiiiiS1_IjLj3EES5_S5_S5_,comdat
.Lfunc_end7:
	.size	_ZL33flash_attn_stream_k_fixup_generalILi64ELi32ELi1EEvPfPK15HIP_vector_typeIfLj2EEiiiiS1_IjLj3EES5_S5_S5_, .Lfunc_end7-_ZL33flash_attn_stream_k_fixup_generalILi64ELi32ELi1EEvPfPK15HIP_vector_typeIfLj2EEiiiiS1_IjLj3EES5_S5_S5_
                                        ; -- End function
	.set _ZL33flash_attn_stream_k_fixup_generalILi64ELi32ELi1EEvPfPK15HIP_vector_typeIfLj2EEiiiiS1_IjLj3EES5_S5_S5_.num_vgpr, 18
	.set _ZL33flash_attn_stream_k_fixup_generalILi64ELi32ELi1EEvPfPK15HIP_vector_typeIfLj2EEiiiiS1_IjLj3EES5_S5_S5_.num_agpr, 0
	.set _ZL33flash_attn_stream_k_fixup_generalILi64ELi32ELi1EEvPfPK15HIP_vector_typeIfLj2EEiiiiS1_IjLj3EES5_S5_S5_.numbered_sgpr, 36
	.set _ZL33flash_attn_stream_k_fixup_generalILi64ELi32ELi1EEvPfPK15HIP_vector_typeIfLj2EEiiiiS1_IjLj3EES5_S5_S5_.num_named_barrier, 0
	.set _ZL33flash_attn_stream_k_fixup_generalILi64ELi32ELi1EEvPfPK15HIP_vector_typeIfLj2EEiiiiS1_IjLj3EES5_S5_S5_.private_seg_size, 0
	.set _ZL33flash_attn_stream_k_fixup_generalILi64ELi32ELi1EEvPfPK15HIP_vector_typeIfLj2EEiiiiS1_IjLj3EES5_S5_S5_.uses_vcc, 1
	.set _ZL33flash_attn_stream_k_fixup_generalILi64ELi32ELi1EEvPfPK15HIP_vector_typeIfLj2EEiiiiS1_IjLj3EES5_S5_S5_.uses_flat_scratch, 0
	.set _ZL33flash_attn_stream_k_fixup_generalILi64ELi32ELi1EEvPfPK15HIP_vector_typeIfLj2EEiiiiS1_IjLj3EES5_S5_S5_.has_dyn_sized_stack, 0
	.set _ZL33flash_attn_stream_k_fixup_generalILi64ELi32ELi1EEvPfPK15HIP_vector_typeIfLj2EEiiiiS1_IjLj3EES5_S5_S5_.has_recursion, 0
	.set _ZL33flash_attn_stream_k_fixup_generalILi64ELi32ELi1EEvPfPK15HIP_vector_typeIfLj2EEiiiiS1_IjLj3EES5_S5_S5_.has_indirect_call, 0
	.section	.AMDGPU.csdata,"",@progbits
; Kernel info:
; codeLenInByte = 2932
; TotalNumSgprs: 42
; NumVgprs: 18
; NumAgprs: 0
; TotalNumVgprs: 18
; ScratchSize: 0
; MemoryBound: 0
; FloatMode: 240
; IeeeMode: 1
; LDSByteSize: 0 bytes/workgroup (compile time only)
; SGPRBlocks: 5
; VGPRBlocks: 2
; NumSGPRsForWavesPerEU: 42
; NumVGPRsForWavesPerEU: 18
; AccumOffset: 20
; Occupancy: 8
; WaveLimiterHint : 0
; COMPUTE_PGM_RSRC2:SCRATCH_EN: 0
; COMPUTE_PGM_RSRC2:USER_SGPR: 2
; COMPUTE_PGM_RSRC2:TRAP_HANDLER: 0
; COMPUTE_PGM_RSRC2:TGID_X_EN: 1
; COMPUTE_PGM_RSRC2:TGID_Y_EN: 1
; COMPUTE_PGM_RSRC2:TGID_Z_EN: 1
; COMPUTE_PGM_RSRC2:TIDIG_COMP_CNT: 0
; COMPUTE_PGM_RSRC3_GFX90A:ACCUM_OFFSET: 4
; COMPUTE_PGM_RSRC3_GFX90A:TG_SPLIT: 0
	.section	.text._ZL26flash_attn_combine_resultsILi64EEvPKfPK15HIP_vector_typeIfLj2EEPfi,"axG",@progbits,_ZL26flash_attn_combine_resultsILi64EEvPKfPK15HIP_vector_typeIfLj2EEPfi,comdat
	.globl	_ZL26flash_attn_combine_resultsILi64EEvPKfPK15HIP_vector_typeIfLj2EEPfi ; -- Begin function _ZL26flash_attn_combine_resultsILi64EEvPKfPK15HIP_vector_typeIfLj2EEPfi
	.p2align	8
	.type	_ZL26flash_attn_combine_resultsILi64EEvPKfPK15HIP_vector_typeIfLj2EEPfi,@function
_ZL26flash_attn_combine_resultsILi64EEvPKfPK15HIP_vector_typeIfLj2EEPfi: ; @_ZL26flash_attn_combine_resultsILi64EEvPKfPK15HIP_vector_typeIfLj2EEPfi
; %bb.0:
	s_load_dwordx2 s[6:7], s[0:1], 0x20
	s_load_dword s19, s[0:1], 0x18
	s_load_dwordx4 s[8:11], s[0:1], 0x0
	s_load_dwordx2 s[14:15], s[0:1], 0x10
	s_waitcnt lgkmcnt(0)
	s_mul_i32 s0, s6, s4
	s_add_i32 s0, s0, s2
	s_mul_i32 s18, s0, s7
	s_add_i32 s18, s18, s3
	s_lshl_b32 s20, s19, 1
	s_mul_i32 s2, s18, s19
	v_cmp_gt_i32_e32 vcc, s20, v0
	s_and_saveexec_b64 s[0:1], vcc
	s_cbranch_execz .LBB8_13
; %bb.1:
	v_xad_u32 v1, v0, -1, s20
	s_ashr_i32 s3, s2, 31
	v_cmp_lt_u32_e32 vcc, 63, v1
	s_mov_b64 s[6:7], -1
	v_mov_b32_e32 v2, v0
	s_and_saveexec_b64 s[4:5], vcc
	s_cbranch_execz .LBB8_10
; %bb.2:
	v_lshrrev_b32_e32 v6, 6, v1
	s_lshl_b64 s[6:7], s[2:3], 3
	v_add_u32_e32 v2, -1, v6
	s_add_u32 s6, s10, s6
	v_or_b32_e32 v1, 64, v0
	v_lshrrev_b32_e32 v3, 1, v2
	s_addc_u32 s7, s11, s7
	s_mov_b32 s21, 0
	v_add_u32_e32 v7, 1, v3
	v_cmp_lt_u32_e32 vcc, 13, v2
	v_mov_b32_e32 v4, 0
	v_mov_b64_e32 v[2:3], v[0:1]
	s_and_saveexec_b64 s[12:13], vcc
	s_cbranch_execz .LBB8_6
; %bb.3:
	v_and_b32_e32 v8, -8, v7
	v_lshl_add_u32 v9, v0, 2, 0
	s_mov_b64 s[16:17], 0
	v_mov_b32_e32 v5, 0
	v_mov_b64_e32 v[2:3], v[0:1]
.LBB8_4:                                ; =>This Inner Loop Header: Depth=1
	v_mov_b32_e32 v4, v2
	v_lshl_add_u64 v[24:25], v[4:5], 2, s[6:7]
	v_mov_b32_e32 v4, v3
	v_add_u32_e32 v10, 0x80, v3
	v_mov_b32_e32 v11, v5
	v_lshl_add_u64 v[26:27], v[4:5], 2, s[6:7]
	v_add_u32_e32 v4, 0x80, v2
	v_lshl_add_u64 v[10:11], v[10:11], 2, s[6:7]
	global_load_dword v1, v[24:25], off
	v_lshl_add_u64 v[24:25], v[4:5], 2, s[6:7]
	v_add_u32_e32 v4, 0x100, v2
	global_load_dword v28, v[26:27], off
	global_load_dword v29, v[24:25], off
	global_load_dword v30, v[10:11], off
	v_lshl_add_u64 v[10:11], v[4:5], 2, s[6:7]
	v_add_u32_e32 v4, 0x180, v2
	v_add_u32_e32 v12, 0x100, v3
	v_mov_b32_e32 v13, v5
	v_add_u32_e32 v14, 0x180, v3
	v_mov_b32_e32 v15, v5
	v_lshl_add_u64 v[24:25], v[4:5], 2, s[6:7]
	v_add_u32_e32 v4, 0x200, v2
	v_lshl_add_u64 v[12:13], v[12:13], 2, s[6:7]
	v_lshl_add_u64 v[14:15], v[14:15], 2, s[6:7]
	global_load_dword v26, v[10:11], off
	global_load_dword v27, v[12:13], off
	;; [unrolled: 1-line block ×4, first 2 shown]
	v_lshl_add_u64 v[10:11], v[4:5], 2, s[6:7]
	v_add_u32_e32 v4, 0x280, v2
	v_add_u32_e32 v16, 0x200, v3
	v_mov_b32_e32 v17, v5
	v_add_u32_e32 v18, 0x280, v3
	v_mov_b32_e32 v19, v5
	v_lshl_add_u64 v[12:13], v[4:5], 2, s[6:7]
	v_add_u32_e32 v4, 0x300, v2
	v_add_u32_e32 v20, 0x300, v3
	v_mov_b32_e32 v21, v5
	v_add_u32_e32 v22, 0x380, v3
	v_mov_b32_e32 v23, v5
	v_lshl_add_u64 v[16:17], v[16:17], 2, s[6:7]
	v_lshl_add_u64 v[18:19], v[18:19], 2, s[6:7]
	global_load_dword v14, v[10:11], off
	global_load_dword v15, v[16:17], off
	;; [unrolled: 1-line block ×4, first 2 shown]
	v_lshl_add_u64 v[10:11], v[4:5], 2, s[6:7]
	v_add_u32_e32 v4, 0x380, v2
	v_lshl_add_u64 v[20:21], v[20:21], 2, s[6:7]
	v_lshl_add_u64 v[22:23], v[22:23], 2, s[6:7]
	;; [unrolled: 1-line block ×3, first 2 shown]
	global_load_dword v16, v[10:11], off
	global_load_dword v17, v[20:21], off
	;; [unrolled: 1-line block ×4, first 2 shown]
	v_add_u32_e32 v8, -8, v8
	s_add_i32 s21, s21, 16
	v_cmp_eq_u32_e32 vcc, 0, v8
	v_add_u32_e32 v3, 0x400, v3
	v_mov_b32_e32 v4, s21
	s_or_b64 s[16:17], vcc, s[16:17]
	v_add_u32_e32 v2, 0x400, v2
	s_waitcnt vmcnt(14)
	ds_write2st64_b32 v9, v1, v28 offset1:1
	s_waitcnt vmcnt(12)
	ds_write2st64_b32 v9, v29, v30 offset0:2 offset1:3
	s_waitcnt vmcnt(10)
	ds_write2st64_b32 v9, v26, v27 offset0:4 offset1:5
	;; [unrolled: 2-line block ×7, first 2 shown]
	v_add_u32_e32 v9, 0x1000, v9
	s_andn2_b64 exec, exec, s[16:17]
	s_cbranch_execnz .LBB8_4
; %bb.5:
	s_or_b64 exec, exec, s[16:17]
.LBB8_6:
	s_or_b64 exec, exec, s[12:13]
	v_and_b32_e32 v1, 7, v7
	v_cmp_ne_u32_e32 vcc, 0, v1
	s_and_saveexec_b64 s[12:13], vcc
	s_cbranch_execz .LBB8_9
; %bb.7:
	v_lshlrev_b32_e32 v5, 2, v0
	v_lshl_or_b32 v4, v4, 8, v5
	v_add_u32_e32 v7, 0, v4
	s_mov_b64 s[16:17], 0
	v_mov_b32_e32 v5, 0
.LBB8_8:                                ; =>This Inner Loop Header: Depth=1
	v_mov_b32_e32 v4, v2
	v_lshl_add_u64 v[8:9], v[4:5], 2, s[6:7]
	v_mov_b32_e32 v4, v3
	v_lshl_add_u64 v[10:11], v[4:5], 2, s[6:7]
	global_load_dword v4, v[8:9], off
	global_load_dword v12, v[10:11], off
	v_add_u32_e32 v1, -1, v1
	v_cmp_eq_u32_e32 vcc, 0, v1
	v_add_u32_e32 v2, 0x80, v2
	v_add_u32_e32 v3, 0x80, v3
	s_or_b64 s[16:17], vcc, s[16:17]
	s_waitcnt vmcnt(0)
	ds_write2st64_b32 v7, v4, v12 offset1:1
	v_add_u32_e32 v7, 0x200, v7
	s_andn2_b64 exec, exec, s[16:17]
	s_cbranch_execnz .LBB8_8
.LBB8_9:
	s_or_b64 exec, exec, s[12:13]
	v_add_u32_e32 v1, 1, v6
	v_and_b32_e32 v3, 0x7fffffe, v1
	v_cmp_ne_u32_e32 vcc, v1, v3
	v_lshl_or_b32 v2, v3, 6, v0
	s_orn2_b64 s[6:7], vcc, exec
.LBB8_10:
	s_or_b64 exec, exec, s[4:5]
	s_and_b64 exec, exec, s[6:7]
	s_cbranch_execz .LBB8_13
; %bb.11:
	s_lshl_b64 s[4:5], s[2:3], 3
	s_add_u32 s4, s10, s4
	v_mov_b32_e32 v3, 0
	s_addc_u32 s5, s11, s5
	v_lshl_add_u64 v[4:5], v[2:3], 2, s[4:5]
	v_lshl_add_u32 v1, v2, 2, 0
	s_mov_b64 s[4:5], 0
	s_mov_b64 s[6:7], 0x100
.LBB8_12:                               ; =>This Inner Loop Header: Depth=1
	global_load_dword v3, v[4:5], off
	v_add_u32_e32 v2, 64, v2
	v_cmp_le_i32_e32 vcc, s20, v2
	v_lshl_add_u64 v[4:5], v[4:5], 0, s[6:7]
	s_or_b64 s[4:5], vcc, s[4:5]
	s_waitcnt vmcnt(0)
	ds_write_b32 v1, v3
	v_add_u32_e32 v1, 0x100, v1
	s_andn2_b64 exec, exec, s[4:5]
	s_cbranch_execnz .LBB8_12
.LBB8_13:
	s_or_b64 exec, exec, s[0:1]
	v_mov_b32_e32 v1, 0
	s_waitcnt lgkmcnt(0)
	; wave barrier
	ds_read_b32 v1, v1
	s_cmp_lt_i32 s19, 2
	s_cbranch_scc1 .LBB8_21
; %bb.14:
	s_cmp_eq_u32 s19, 2
	s_cbranch_scc1 .LBB8_18
; %bb.15:
	s_add_i32 s3, s19, -1
	s_and_b32 s4, s3, -2
	s_add_i32 s6, 0, 8
	s_mov_b32 s5, 2
	s_waitcnt lgkmcnt(0)
	v_mov_b32_e32 v4, v1
.LBB8_16:                               ; =>This Inner Loop Header: Depth=1
	v_mov_b32_e32 v2, v1
	v_mov_b32_e32 v1, s6
	;; [unrolled: 1-line block ×3, first 2 shown]
	ds_read2_b32 v[4:5], v1 offset1:2
	s_cmp_lg_u32 s4, s5
	s_cselect_b64 s[10:11], -1, 0
	v_max_f32_e32 v1, v3, v3
	v_max_f32_e32 v6, v2, v2
	s_waitcnt lgkmcnt(0)
	v_cmp_u_f32_e32 vcc, v5, v5
	v_max_f32_e32 v7, v5, v5
	v_max_f32_e32 v8, v4, v4
	v_cndmask_b32_e64 v5, 0, 1, vcc
	v_cmp_u_f32_e32 vcc, v4, v4
	v_readfirstlane_b32 s0, v5
	s_lshl_b32 s0, s0, 1
	v_cndmask_b32_e64 v9, 0, 1, vcc
	v_max_f32_e32 v4, v1, v7
	v_readfirstlane_b32 s1, v9
	s_or_b32 s0, s1, s0
	s_and_b32 s7, s0, 3
	s_cmp_lg_u32 s7, 0
	s_cselect_b64 s[0:1], -1, 0
	s_cmp_eq_u32 s7, 0
	s_cselect_b64 s[12:13], -1, 0
	s_and_b64 s[10:11], s[12:13], s[10:11]
	v_max_f32_e32 v1, v6, v8
	s_add_i32 s5, s5, 2
	s_add_i32 s6, s6, 16
	s_and_b64 vcc, exec, s[10:11]
	s_cbranch_vccnz .LBB8_16
; %bb.17:
	s_add_i32 s5, s5, -4
	s_and_b64 s[6:7], s[0:1], exec
	s_cselect_b32 s5, s5, s3
	s_or_b32 s5, s5, 1
	v_cndmask_b32_e64 v1, v1, v2, s[0:1]
	v_cndmask_b32_e64 v2, v4, v3, s[0:1]
	s_cmp_lg_u32 s3, s4
	v_max_f32_e32 v2, v2, v2
	v_max_f32_e32 v1, v1, v1
	s_cselect_b64 s[6:7], -1, 0
	v_max_f32_e32 v1, v1, v2
	s_or_b64 s[0:1], s[6:7], s[0:1]
	s_and_b64 vcc, exec, s[0:1]
	s_cbranch_vccnz .LBB8_19
	s_branch .LBB8_21
.LBB8_18:
	s_mov_b32 s5, 1
	s_cbranch_execz .LBB8_21
.LBB8_19:
	s_lshl_b32 s1, s5, 3
	s_sub_i32 s0, s19, s5
	s_add_i32 s1, s1, 0
.LBB8_20:                               ; =>This Inner Loop Header: Depth=1
	v_mov_b32_e32 v2, s1
	ds_read_b32 v2, v2
	s_waitcnt lgkmcnt(1)
	v_max_f32_e32 v1, v1, v1
	s_add_i32 s0, s0, -1
	s_add_i32 s1, s1, 8
	s_cmp_eq_u32 s0, 0
	s_waitcnt lgkmcnt(0)
	v_max_f32_e32 v2, v2, v2
	v_max_f32_e32 v1, v1, v2
	s_cbranch_scc0 .LBB8_20
.LBB8_21:
	s_cmp_lt_i32 s19, 1
	s_cbranch_scc1 .LBB8_26
; %bb.22:
	s_lshl_b32 s0, s2, 6
	s_ashr_i32 s1, s0, 31
	s_lshl_b64 s[0:1], s[0:1], 2
	s_add_u32 s16, s8, s0
	s_addc_u32 s17, s9, s1
	s_cmp_lt_u32 s19, 8
	s_cbranch_scc1 .LBB8_27
; %bb.23:
	v_mov_b32_e32 v7, 0
	s_and_b32 s20, s19, 0x7ffffff8
	v_or_b32_e32 v4, 0x1c0, v0
	s_mov_b32 s21, 0
	s_mov_b32 s22, 0x3fb8aa3b
	s_mov_b32 s23, 0xc2ce8ed0
	s_mov_b32 s24, 0x42b17218
	v_mov_b32_e32 v8, 0x7f800000
	s_mov_b32 s25, 0
	v_mov_b32_e32 v2, v7
	v_mov_b32_e32 v3, v7
.LBB8_24:                               ; =>This Inner Loop Header: Depth=1
	v_add_u32_e32 v6, 0xfffffe40, v4
	v_lshl_add_u64 v[26:27], v[6:7], 2, s[16:17]
	v_add_u32_e32 v6, 0xfffffe80, v4
	v_mov_b32_e32 v9, s21
	v_lshl_add_u64 v[30:31], v[6:7], 2, s[16:17]
	v_add_u32_e32 v6, 0xfffffec0, v4
	ds_read2_b64 v[10:13], v9 offset1:1
	ds_read2_b64 v[14:17], v9 offset0:2 offset1:3
	ds_read2_b64 v[18:21], v9 offset0:4 offset1:5
	;; [unrolled: 1-line block ×3, first 2 shown]
	global_load_dword v33, v[26:27], off
	global_load_dword v35, v[30:31], off
	v_lshl_add_u64 v[26:27], v[6:7], 2, s[16:17]
	v_add_u32_e32 v6, 0xffffff00, v4
	v_lshl_add_u64 v[30:31], v[6:7], 2, s[16:17]
	v_add_u32_e32 v6, 0xffffff40, v4
	global_load_dword v37, v[26:27], off
	global_load_dword v39, v[30:31], off
	v_lshl_add_u64 v[26:27], v[6:7], 2, s[16:17]
	v_add_u32_e32 v6, 0xffffff80, v4
	s_waitcnt lgkmcnt(3)
	v_mov_b32_e32 v32, v11
	v_sub_f32_e32 v9, v12, v1
	v_mov_b32_e32 v34, v13
	global_load_dword v11, v[26:27], off
	v_lshl_add_u64 v[12:13], v[6:7], 2, s[16:17]
	s_waitcnt lgkmcnt(2)
	v_mov_b32_e32 v36, v15
	v_subrev_u32_e32 v6, 64, v4
	global_load_dword v15, v[12:13], off
	v_mov_b32_e32 v5, v7
	v_lshl_add_u64 v[12:13], v[6:7], 2, s[16:17]
	v_lshl_add_u64 v[28:29], v[4:5], 2, s[16:17]
	v_sub_f32_e32 v5, v10, v1
	v_mov_b32_e32 v38, v17
	s_waitcnt lgkmcnt(1)
	v_mov_b32_e32 v10, v19
	global_load_dword v17, v[12:13], off
	global_load_dword v19, v[28:29], off
	v_sub_f32_e32 v30, v14, v1
	v_sub_f32_e32 v31, v16, v1
	;; [unrolled: 1-line block ×3, first 2 shown]
	v_mov_b32_e32 v14, v21
	s_waitcnt lgkmcnt(0)
	v_sub_f32_e32 v21, v22, v1
	v_mov_b32_e32 v16, v23
	v_sub_f32_e32 v22, v24, v1
	v_mul_f32_e32 v23, 0x3fb8aa3b, v5
	v_mov_b32_e32 v18, v25
	v_mul_f32_e32 v24, 0x3fb8aa3b, v9
	v_mul_f32_e32 v25, 0x3fb8aa3b, v30
	;; [unrolled: 1-line block ×5, first 2 shown]
	v_fma_f32 v43, v5, s22, -v23
	v_rndne_f32_e32 v44, v23
	v_sub_f32_e32 v20, v20, v1
	v_fma_f32 v45, v9, s22, -v24
	v_rndne_f32_e32 v46, v24
	v_fma_f32 v47, v30, s22, -v25
	v_rndne_f32_e32 v48, v25
	;; [unrolled: 2-line block ×5, first 2 shown]
	v_fmac_f32_e32 v43, 0x32a5705f, v5
	v_sub_f32_e32 v12, v23, v44
	v_mul_f32_e32 v26, 0x3fb8aa3b, v31
	v_mul_f32_e32 v41, 0x3fb8aa3b, v20
	v_fmac_f32_e32 v45, 0x32a5705f, v9
	v_sub_f32_e32 v23, v24, v46
	v_fmac_f32_e32 v47, 0x32a5705f, v30
	v_sub_f32_e32 v25, v25, v48
	;; [unrolled: 2-line block ×5, first 2 shown]
	v_add_f32_e32 v12, v12, v43
	v_fma_f32 v49, v31, s22, -v26
	v_rndne_f32_e32 v50, v26
	v_fma_f32 v53, v20, s22, -v41
	v_rndne_f32_e32 v54, v41
	v_cvt_i32_f32_e32 v13, v44
	v_add_f32_e32 v23, v23, v45
	v_add_f32_e32 v25, v25, v47
	;; [unrolled: 1-line block ×5, first 2 shown]
	v_exp_f32_e32 v12, v12
	v_cvt_i32_f32_e32 v24, v46
	v_cvt_i32_f32_e32 v28, v48
	v_fmac_f32_e32 v49, 0x32a5705f, v31
	v_sub_f32_e32 v26, v26, v50
	v_cvt_i32_f32_e32 v29, v50
	v_cvt_i32_f32_e32 v44, v52
	v_fmac_f32_e32 v53, 0x32a5705f, v20
	v_sub_f32_e32 v41, v41, v54
	v_cvt_i32_f32_e32 v48, v56
	v_cvt_i32_f32_e32 v50, v58
	v_exp_f32_e32 v23, v23
	v_exp_f32_e32 v25, v25
	v_exp_f32_e32 v27, v27
	v_exp_f32_e32 v42, v42
	v_exp_f32_e32 v6, v6
	v_add_f32_e32 v26, v26, v49
	v_add_f32_e32 v41, v41, v53
	v_cvt_i32_f32_e32 v46, v54
	v_exp_f32_e32 v26, v26
	v_exp_f32_e32 v41, v41
	v_ldexp_f32 v12, v12, v13
	v_cmp_ngt_f32_e64 s[12:13], s23, v5
	v_ldexp_f32 v13, v23, v24
	v_cmp_ngt_f32_e32 vcc, s23, v9
	v_ldexp_f32 v23, v25, v28
	v_ldexp_f32 v25, v27, v44
	;; [unrolled: 1-line block ×3, first 2 shown]
	v_cmp_ngt_f32_e64 s[8:9], s23, v21
	v_ldexp_f32 v6, v6, v50
	v_cmp_ngt_f32_e64 s[10:11], s23, v22
	v_cndmask_b32_e64 v12, 0, v12, s[12:13]
	v_cmp_nlt_f32_e64 s[12:13], s24, v5
	v_cmp_ngt_f32_e64 s[0:1], s23, v30
	v_cndmask_b32_e32 v13, 0, v13, vcc
	v_cmp_nlt_f32_e32 vcc, s24, v9
	v_cndmask_b32_e64 v27, 0, v27, s[8:9]
	v_cmp_nlt_f32_e64 s[8:9], s24, v21
	v_cndmask_b32_e64 v21, 0, v6, s[10:11]
	v_cndmask_b32_e64 v6, v8, v12, s[12:13]
	v_ldexp_f32 v24, v26, v29
	v_cmp_ngt_f32_e64 s[2:3], s23, v31
	v_cmp_ngt_f32_e64 s[4:5], s23, v40
	v_ldexp_f32 v26, v41, v46
	v_cmp_ngt_f32_e64 s[6:7], s23, v20
	v_cndmask_b32_e64 v9, 0, v23, s[0:1]
	v_cmp_nlt_f32_e64 s[0:1], s24, v30
	v_cndmask_b32_e32 v12, v8, v13, vcc
	s_waitcnt vmcnt(7)
	v_pk_fma_f32 v[2:3], v[6:7], v[32:33], v[2:3] op_sel_hi:[0,1,1]
	v_cndmask_b32_e64 v23, 0, v24, s[2:3]
	v_cmp_nlt_f32_e64 s[2:3], s24, v31
	v_cndmask_b32_e64 v24, 0, v25, s[4:5]
	v_cndmask_b32_e64 v25, 0, v26, s[6:7]
	v_cmp_nlt_f32_e64 s[6:7], s24, v20
	v_cndmask_b32_e64 v20, v8, v9, s[0:1]
	s_waitcnt vmcnt(6)
	v_pk_fma_f32 v[2:3], v[12:13], v[34:35], v[2:3] op_sel_hi:[0,1,1]
	v_cmp_nlt_f32_e64 s[4:5], s24, v40
	v_cmp_nlt_f32_e64 s[10:11], s24, v22
	v_cndmask_b32_e64 v22, v8, v23, s[2:3]
	s_waitcnt vmcnt(5)
	v_pk_fma_f32 v[2:3], v[20:21], v[36:37], v[2:3] op_sel_hi:[0,1,1]
	v_cndmask_b32_e64 v24, v8, v24, s[4:5]
	s_waitcnt vmcnt(4)
	v_pk_fma_f32 v[2:3], v[22:23], v[38:39], v[2:3] op_sel_hi:[0,1,1]
	v_cndmask_b32_e64 v26, v8, v25, s[6:7]
	s_waitcnt vmcnt(3)
	v_pk_fma_f32 v[2:3], v[24:25], v[10:11], v[2:3] op_sel_hi:[0,1,1]
	v_cndmask_b32_e64 v28, v8, v27, s[8:9]
	s_waitcnt vmcnt(2)
	v_pk_fma_f32 v[2:3], v[26:27], v[14:15], v[2:3] op_sel_hi:[0,1,1]
	s_add_i32 s25, s25, 8
	s_add_i32 s21, s21, 64
	v_cndmask_b32_e64 v30, v8, v21, s[10:11]
	s_waitcnt vmcnt(1)
	v_pk_fma_f32 v[2:3], v[28:29], v[16:17], v[2:3] op_sel_hi:[0,1,1]
	s_cmp_eq_u32 s20, s25
	v_add_u32_e32 v4, 0x200, v4
	s_waitcnt vmcnt(0)
	v_pk_fma_f32 v[2:3], v[30:31], v[18:19], v[2:3] op_sel_hi:[0,1,1]
	s_cbranch_scc0 .LBB8_24
; %bb.25:
	s_and_b32 s0, s19, 7
	s_cmp_eq_u32 s0, 0
	s_cbranch_scc0 .LBB8_28
	s_branch .LBB8_30
.LBB8_26:
	s_waitcnt lgkmcnt(0)
	v_mov_b32_e32 v1, 0x7fc00000
	s_branch .LBB8_31
.LBB8_27:
	v_mov_b32_e32 v2, 0
	s_mov_b32 s20, 0
	v_mov_b32_e32 v3, v2
	s_and_b32 s0, s19, 7
	s_cmp_eq_u32 s0, 0
	s_cbranch_scc1 .LBB8_30
.LBB8_28:
	s_lshl_b32 s1, s20, 3
	v_lshl_or_b32 v4, s20, 6, v0
	s_add_i32 s1, s1, 0
	s_mov_b32 s2, 0x3fb8aa3b
	s_mov_b32 s3, 0xc2ce8ed0
	;; [unrolled: 1-line block ×3, first 2 shown]
	v_mov_b32_e32 v6, 0x7f800000
	v_mov_b32_e32 v5, 0
.LBB8_29:                               ; =>This Inner Loop Header: Depth=1
	v_lshl_add_u64 v[8:9], v[4:5], 2, s[16:17]
	global_load_dword v9, v[8:9], off
	v_mov_b32_e32 v7, s1
	ds_read_b64 v[10:11], v7
	s_add_i32 s1, s1, 8
	s_add_i32 s0, s0, -1
	v_add_u32_e32 v4, 64, v4
	s_cmp_lg_u32 s0, 0
	s_waitcnt lgkmcnt(0)
	v_sub_f32_e32 v7, v10, v1
	v_mul_f32_e32 v8, 0x3fb8aa3b, v7
	v_fma_f32 v10, v7, s2, -v8
	v_rndne_f32_e32 v12, v8
	v_fmac_f32_e32 v10, 0x32a5705f, v7
	v_sub_f32_e32 v8, v8, v12
	v_add_f32_e32 v8, v8, v10
	v_cvt_i32_f32_e32 v12, v12
	v_exp_f32_e32 v10, v8
	v_cmp_ngt_f32_e32 vcc, s3, v7
	v_mov_b32_e32 v8, v11
	v_ldexp_f32 v10, v10, v12
	v_cndmask_b32_e32 v10, 0, v10, vcc
	v_cmp_nlt_f32_e32 vcc, s4, v7
	s_nop 1
	v_cndmask_b32_e32 v10, v6, v10, vcc
	s_waitcnt vmcnt(0)
	v_pk_fma_f32 v[2:3], v[10:11], v[8:9], v[2:3] op_sel_hi:[0,1,1]
	s_cbranch_scc1 .LBB8_29
.LBB8_30:
	s_waitcnt lgkmcnt(0)
	v_div_scale_f32 v1, s[0:1], v2, v2, v3
	v_rcp_f32_e32 v4, v1
	v_div_scale_f32 v5, vcc, v3, v2, v3
	v_fma_f32 v6, -v1, v4, 1.0
	v_fmac_f32_e32 v4, v6, v4
	v_mul_f32_e32 v6, v5, v4
	v_fma_f32 v7, -v1, v6, v5
	v_fmac_f32_e32 v6, v7, v4
	v_fma_f32 v1, -v1, v6, v5
	v_div_fmas_f32 v1, v1, v4, v6
	v_div_fixup_f32 v1, v1, v2, v3
.LBB8_31:
	s_lshl_b32 s0, s18, 6
	s_ashr_i32 s1, s0, 31
	s_lshl_b64 s[0:1], s[0:1], 2
	s_add_u32 s0, s14, s0
	s_addc_u32 s1, s15, s1
	v_lshlrev_b32_e32 v0, 2, v0
	global_store_dword v0, v1, s[0:1]
	s_endpgm
	.section	.rodata,"a",@progbits
	.p2align	6, 0x0
	.amdhsa_kernel _ZL26flash_attn_combine_resultsILi64EEvPKfPK15HIP_vector_typeIfLj2EEPfi
		.amdhsa_group_segment_fixed_size 0
		.amdhsa_private_segment_fixed_size 0
		.amdhsa_kernarg_size 288
		.amdhsa_user_sgpr_count 2
		.amdhsa_user_sgpr_dispatch_ptr 0
		.amdhsa_user_sgpr_queue_ptr 0
		.amdhsa_user_sgpr_kernarg_segment_ptr 1
		.amdhsa_user_sgpr_dispatch_id 0
		.amdhsa_user_sgpr_kernarg_preload_length 0
		.amdhsa_user_sgpr_kernarg_preload_offset 0
		.amdhsa_user_sgpr_private_segment_size 0
		.amdhsa_uses_dynamic_stack 0
		.amdhsa_enable_private_segment 0
		.amdhsa_system_sgpr_workgroup_id_x 1
		.amdhsa_system_sgpr_workgroup_id_y 1
		.amdhsa_system_sgpr_workgroup_id_z 1
		.amdhsa_system_sgpr_workgroup_info 0
		.amdhsa_system_vgpr_workitem_id 0
		.amdhsa_next_free_vgpr 59
		.amdhsa_next_free_sgpr 26
		.amdhsa_accum_offset 60
		.amdhsa_reserve_vcc 1
		.amdhsa_float_round_mode_32 0
		.amdhsa_float_round_mode_16_64 0
		.amdhsa_float_denorm_mode_32 3
		.amdhsa_float_denorm_mode_16_64 3
		.amdhsa_dx10_clamp 1
		.amdhsa_ieee_mode 1
		.amdhsa_fp16_overflow 0
		.amdhsa_tg_split 0
		.amdhsa_exception_fp_ieee_invalid_op 0
		.amdhsa_exception_fp_denorm_src 0
		.amdhsa_exception_fp_ieee_div_zero 0
		.amdhsa_exception_fp_ieee_overflow 0
		.amdhsa_exception_fp_ieee_underflow 0
		.amdhsa_exception_fp_ieee_inexact 0
		.amdhsa_exception_int_div_zero 0
	.end_amdhsa_kernel
	.section	.text._ZL26flash_attn_combine_resultsILi64EEvPKfPK15HIP_vector_typeIfLj2EEPfi,"axG",@progbits,_ZL26flash_attn_combine_resultsILi64EEvPKfPK15HIP_vector_typeIfLj2EEPfi,comdat
.Lfunc_end8:
	.size	_ZL26flash_attn_combine_resultsILi64EEvPKfPK15HIP_vector_typeIfLj2EEPfi, .Lfunc_end8-_ZL26flash_attn_combine_resultsILi64EEvPKfPK15HIP_vector_typeIfLj2EEPfi
                                        ; -- End function
	.set _ZL26flash_attn_combine_resultsILi64EEvPKfPK15HIP_vector_typeIfLj2EEPfi.num_vgpr, 59
	.set _ZL26flash_attn_combine_resultsILi64EEvPKfPK15HIP_vector_typeIfLj2EEPfi.num_agpr, 0
	.set _ZL26flash_attn_combine_resultsILi64EEvPKfPK15HIP_vector_typeIfLj2EEPfi.numbered_sgpr, 26
	.set _ZL26flash_attn_combine_resultsILi64EEvPKfPK15HIP_vector_typeIfLj2EEPfi.num_named_barrier, 0
	.set _ZL26flash_attn_combine_resultsILi64EEvPKfPK15HIP_vector_typeIfLj2EEPfi.private_seg_size, 0
	.set _ZL26flash_attn_combine_resultsILi64EEvPKfPK15HIP_vector_typeIfLj2EEPfi.uses_vcc, 1
	.set _ZL26flash_attn_combine_resultsILi64EEvPKfPK15HIP_vector_typeIfLj2EEPfi.uses_flat_scratch, 0
	.set _ZL26flash_attn_combine_resultsILi64EEvPKfPK15HIP_vector_typeIfLj2EEPfi.has_dyn_sized_stack, 0
	.set _ZL26flash_attn_combine_resultsILi64EEvPKfPK15HIP_vector_typeIfLj2EEPfi.has_recursion, 0
	.set _ZL26flash_attn_combine_resultsILi64EEvPKfPK15HIP_vector_typeIfLj2EEPfi.has_indirect_call, 0
	.section	.AMDGPU.csdata,"",@progbits
; Kernel info:
; codeLenInByte = 2900
; TotalNumSgprs: 32
; NumVgprs: 59
; NumAgprs: 0
; TotalNumVgprs: 59
; ScratchSize: 0
; MemoryBound: 0
; FloatMode: 240
; IeeeMode: 1
; LDSByteSize: 0 bytes/workgroup (compile time only)
; SGPRBlocks: 3
; VGPRBlocks: 7
; NumSGPRsForWavesPerEU: 32
; NumVGPRsForWavesPerEU: 59
; AccumOffset: 60
; Occupancy: 8
; WaveLimiterHint : 0
; COMPUTE_PGM_RSRC2:SCRATCH_EN: 0
; COMPUTE_PGM_RSRC2:USER_SGPR: 2
; COMPUTE_PGM_RSRC2:TRAP_HANDLER: 0
; COMPUTE_PGM_RSRC2:TGID_X_EN: 1
; COMPUTE_PGM_RSRC2:TGID_Y_EN: 1
; COMPUTE_PGM_RSRC2:TGID_Z_EN: 1
; COMPUTE_PGM_RSRC2:TIDIG_COMP_CNT: 0
; COMPUTE_PGM_RSRC3_GFX90A:ACCUM_OFFSET: 14
; COMPUTE_PGM_RSRC3_GFX90A:TG_SPLIT: 0
	.section	.text._ZL18flash_attn_ext_f16ILi80ELi80ELi32ELi1ELb0ELb0EEvPKcS1_S1_S1_S1_PKiPfP15HIP_vector_typeIfLj2EEffffjfiS5_IjLj3EEiiiiiiiiiiiliiliiiiil,"axG",@progbits,_ZL18flash_attn_ext_f16ILi80ELi80ELi32ELi1ELb0ELb0EEvPKcS1_S1_S1_S1_PKiPfP15HIP_vector_typeIfLj2EEffffjfiS5_IjLj3EEiiiiiiiiiiiliiliiiiil,comdat
	.globl	_ZL18flash_attn_ext_f16ILi80ELi80ELi32ELi1ELb0ELb0EEvPKcS1_S1_S1_S1_PKiPfP15HIP_vector_typeIfLj2EEffffjfiS5_IjLj3EEiiiiiiiiiiiliiliiiiil ; -- Begin function _ZL18flash_attn_ext_f16ILi80ELi80ELi32ELi1ELb0ELb0EEvPKcS1_S1_S1_S1_PKiPfP15HIP_vector_typeIfLj2EEffffjfiS5_IjLj3EEiiiiiiiiiiiliiliiiiil
	.p2align	8
	.type	_ZL18flash_attn_ext_f16ILi80ELi80ELi32ELi1ELb0ELb0EEvPKcS1_S1_S1_S1_PKiPfP15HIP_vector_typeIfLj2EEffffjfiS5_IjLj3EEiiiiiiiiiiiliiliiiiil,@function
_ZL18flash_attn_ext_f16ILi80ELi80ELi32ELi1ELb0ELb0EEvPKcS1_S1_S1_S1_PKiPfP15HIP_vector_typeIfLj2EEffffjfiS5_IjLj3EEiiiiiiiiiiiliiliiiiil: ; @_ZL18flash_attn_ext_f16ILi80ELi80ELi32ELi1ELb0ELb0EEvPKcS1_S1_S1_S1_PKiPfP15HIP_vector_typeIfLj2EEffffjfiS5_IjLj3EEiiiiiiiiiiiliiliiiiil
; %bb.0:
	s_load_dwordx2 s[10:11], s[0:1], 0x80
	s_load_dwordx4 s[72:75], s[0:1], 0x64
	s_mov_b32 s52, s2
                                        ; implicit-def: $vgpr223 : SGPR spill to VGPR lane
	s_load_dword s53, s[0:1], 0xd0
	s_mov_b32 s4, 0
	s_waitcnt lgkmcnt(0)
	s_abs_i32 s2, s11
	v_cvt_f32_u32_e32 v1, s2
	s_sub_i32 s6, 0, s2
	s_abs_i32 s5, s73
	s_xor_b32 s3, s73, s11
	v_rcp_iflag_f32_e32 v1, v1
	s_ashr_i32 s3, s3, 31
	v_mul_f32_e32 v1, 0x4f7ffffe, v1
	v_cvt_u32_f32_e32 v1, v1
	s_nop 0
	v_readfirstlane_b32 s7, v1
	s_mul_i32 s6, s6, s7
	s_mul_hi_u32 s6, s7, s6
	s_add_i32 s7, s7, s6
	s_mul_hi_u32 s6, s5, s7
	s_mul_i32 s7, s6, s2
	s_sub_i32 s5, s5, s7
	s_add_i32 s8, s6, 1
	s_sub_i32 s7, s5, s2
	s_cmp_ge_u32 s5, s2
	s_cselect_b32 s6, s8, s6
	s_cselect_b32 s5, s7, s5
	s_add_i32 s7, s6, 1
	s_cmp_ge_u32 s5, s2
	s_cselect_b32 s2, s7, s6
	s_add_i32 s5, s10, 63
	s_xor_b32 s2, s2, s3
	s_ashr_i32 s6, s5, 31
	s_sub_i32 s3, s2, s3
	s_lshr_b32 s2, s6, 26
	s_add_i32 s5, s5, s2
	s_add_i32 s2, s72, 31
	s_lshr_b32 s2, s2, 5
	s_ashr_i32 s5, s5, 6
	v_writelane_b32 v223, s2, 0
	v_writelane_b32 v223, s5, 1
	s_mul_i32 s2, s2, s5
	v_writelane_b32 v223, s3, 2
	v_writelane_b32 v223, s2, 3
	s_mul_i32 s3, s2, s3
	s_mov_b32 s2, s10
	v_writelane_b32 v223, s2, 4
	s_nop 1
	v_writelane_b32 v223, s3, 5
	s_mul_i32 s2, s3, s11
	s_mul_i32 s8, s2, s74
	v_writelane_b32 v223, s3, 6
	s_ashr_i32 s9, s8, 31
	v_writelane_b32 v223, s2, 7
	s_mul_i32 s2, s9, s52
	s_mul_hi_u32 s3, s8, s52
	s_add_i32 s5, s3, s2
	s_cmp_lg_u64 s[4:5], 0
	s_mul_i32 s4, s8, s52
	s_cbranch_scc0 .LBB9_2
; %bb.1:
	s_add_u32 s2, s53, 0
	s_addc_u32 s3, 0, 0
	s_xor_b64 s[6:7], s[2:3], 0
	v_cvt_f32_u32_e32 v1, s6
	v_cvt_f32_u32_e32 v2, s7
	s_sub_u32 s12, 0, s6
	s_subb_u32 s13, 0, s7
	s_mov_b64 s[2:3], 0
	v_fmamk_f32 v1, v2, 0x4f800000, v1
	v_rcp_f32_e32 v1, v1
	s_nop 0
	v_mul_f32_e32 v1, 0x5f7ffffc, v1
	v_mul_f32_e32 v2, 0x2f800000, v1
	v_trunc_f32_e32 v2, v2
	v_fmamk_f32 v1, v2, 0xcf800000, v1
	v_cvt_u32_f32_e32 v2, v2
	v_cvt_u32_f32_e32 v1, v1
	v_readfirstlane_b32 s14, v2
	v_readfirstlane_b32 s10, v1
	s_mul_i32 s11, s12, s14
	s_mul_hi_u32 s16, s12, s10
	s_mul_i32 s15, s13, s10
	s_add_i32 s11, s16, s11
	s_add_i32 s11, s11, s15
	s_mul_i32 s17, s12, s10
	s_mul_i32 s16, s10, s11
	s_mul_hi_u32 s18, s10, s17
	s_mul_hi_u32 s15, s10, s11
	s_add_u32 s16, s18, s16
	s_addc_u32 s15, 0, s15
	s_mul_hi_u32 s19, s14, s17
	s_mul_i32 s17, s14, s17
	s_add_u32 s16, s16, s17
	s_mul_hi_u32 s18, s14, s11
	s_addc_u32 s15, s15, s19
	s_addc_u32 s16, s18, 0
	s_mul_i32 s11, s14, s11
	s_add_u32 s11, s15, s11
	s_addc_u32 s15, 0, s16
	s_add_u32 s16, s10, s11
	s_cselect_b64 s[10:11], -1, 0
	s_cmp_lg_u64 s[10:11], 0
	s_addc_u32 s14, s14, s15
	s_mul_i32 s10, s12, s14
	s_mul_hi_u32 s11, s12, s16
	s_add_i32 s10, s11, s10
	s_mul_i32 s13, s13, s16
	s_add_i32 s10, s10, s13
	s_mul_i32 s12, s12, s16
	s_mul_hi_u32 s13, s14, s12
	s_mul_i32 s15, s14, s12
	s_mul_i32 s18, s16, s10
	s_mul_hi_u32 s12, s16, s12
	s_mul_hi_u32 s17, s16, s10
	s_add_u32 s12, s12, s18
	s_addc_u32 s17, 0, s17
	s_add_u32 s12, s12, s15
	s_mul_hi_u32 s11, s14, s10
	s_addc_u32 s12, s17, s13
	s_addc_u32 s11, s11, 0
	s_mul_i32 s10, s14, s10
	s_add_u32 s10, s12, s10
	s_addc_u32 s12, 0, s11
	s_add_u32 s15, s16, s10
	s_cselect_b64 s[10:11], -1, 0
	s_cmp_lg_u64 s[10:11], 0
	s_addc_u32 s14, s14, s12
	s_ashr_i32 s10, s5, 31
	s_add_u32 s12, s4, s10
	s_mov_b32 s11, s10
	s_addc_u32 s13, s5, s10
	s_xor_b64 s[12:13], s[12:13], s[10:11]
	s_mul_i32 s16, s12, s14
	s_mul_hi_u32 s17, s12, s15
	s_mul_hi_u32 s5, s12, s14
	s_add_u32 s16, s17, s16
	s_addc_u32 s5, 0, s5
	s_mul_hi_u32 s18, s13, s15
	s_mul_i32 s15, s13, s15
	s_add_u32 s15, s16, s15
	s_mul_hi_u32 s17, s13, s14
	s_addc_u32 s5, s5, s18
	s_addc_u32 s15, s17, 0
	s_mul_i32 s14, s13, s14
	s_add_u32 s5, s5, s14
	s_addc_u32 s18, 0, s15
	s_mul_i32 s14, s6, s18
	s_mul_hi_u32 s15, s6, s5
	s_add_i32 s14, s15, s14
	s_mul_i32 s15, s7, s5
	s_add_i32 s19, s14, s15
	s_sub_i32 s16, s13, s19
	s_mul_i32 s14, s6, s5
	s_sub_u32 s12, s12, s14
	s_cselect_b64 s[14:15], -1, 0
	s_cmp_lg_u64 s[14:15], 0
	s_subb_u32 s20, s16, s7
	s_sub_u32 s21, s12, s6
	s_cselect_b64 s[16:17], -1, 0
	s_cmp_lg_u64 s[16:17], 0
	s_subb_u32 s16, s20, 0
	s_cmp_ge_u32 s16, s7
	s_cselect_b32 s17, -1, 0
	s_cmp_ge_u32 s21, s6
	s_cselect_b32 s20, -1, 0
	s_cmp_eq_u32 s16, s7
	s_cselect_b32 s16, s20, s17
	s_add_u32 s17, s5, 1
	s_addc_u32 s20, s18, 0
	s_add_u32 s21, s5, 2
	s_addc_u32 s22, s18, 0
	s_cmp_lg_u32 s16, 0
	s_cselect_b32 s16, s21, s17
	s_cselect_b32 s17, s22, s20
	s_cmp_lg_u64 s[14:15], 0
	s_subb_u32 s13, s13, s19
	s_cmp_ge_u32 s13, s7
	s_cselect_b32 s14, -1, 0
	s_cmp_ge_u32 s12, s6
	s_cselect_b32 s6, -1, 0
	s_cmp_eq_u32 s13, s7
	s_cselect_b32 s6, s6, s14
	s_cmp_lg_u32 s6, 0
	s_cselect_b32 s7, s17, s18
	s_cselect_b32 s6, s16, s5
	s_xor_b64 s[10:11], s[10:11], 0
	s_xor_b64 s[6:7], s[6:7], s[10:11]
	s_sub_u32 s98, s6, s10
	s_branch .LBB9_3
.LBB9_2:
	s_mov_b64 s[2:3], -1
                                        ; implicit-def: $sgpr98_sgpr99
.LBB9_3:
	s_load_dwordx2 s[6:7], s[0:1], 0x74
	v_cvt_f32_u32_e32 v1, s53
	s_andn2_b64 vcc, exec, s[2:3]
	s_waitcnt lgkmcnt(0)
	v_writelane_b32 v223, s6, 8
	s_nop 1
	v_writelane_b32 v223, s7, 9
	s_cbranch_vccnz .LBB9_5
; %bb.4:
	v_rcp_iflag_f32_e32 v2, v1
	s_sub_i32 s2, 0, s53
	v_mul_f32_e32 v2, 0x4f7ffffe, v2
	v_cvt_u32_f32_e32 v2, v2
	s_nop 0
	v_readfirstlane_b32 s3, v2
	s_mul_i32 s2, s2, s3
	s_mul_hi_u32 s2, s3, s2
	s_add_i32 s3, s3, s2
	s_mul_hi_u32 s2, s4, s3
	s_mul_i32 s5, s2, s53
	s_sub_i32 s4, s4, s5
	s_add_i32 s3, s2, 1
	s_sub_i32 s5, s4, s53
	s_cmp_ge_u32 s4, s53
	s_cselect_b32 s2, s3, s2
	s_cselect_b32 s4, s5, s4
	s_add_i32 s3, s2, 1
	s_cmp_ge_u32 s4, s53
	s_cselect_b32 s98, s3, s2
.LBB9_5:
	s_add_i32 s2, s52, 1
	s_mul_i32 s3, s9, s2
	s_mul_hi_u32 s4, s8, s2
	s_add_i32 s7, s4, s3
	s_mov_b32 s6, 0
	s_cmp_lg_u64 s[6:7], 0
	s_mul_i32 s6, s8, s2
	s_cbranch_scc0 .LBB9_284
; %bb.6:
	s_add_u32 s2, s53, 0
	s_addc_u32 s3, 0, 0
	s_xor_b64 s[4:5], s[2:3], 0
	v_cvt_f32_u32_e32 v2, s4
	v_cvt_f32_u32_e32 v3, s5
	s_sub_u32 s10, 0, s4
	s_subb_u32 s11, 0, s5
	v_fmamk_f32 v2, v3, 0x4f800000, v2
	v_rcp_f32_e32 v2, v2
	s_nop 0
	v_mul_f32_e32 v2, 0x5f7ffffc, v2
	v_mul_f32_e32 v3, 0x2f800000, v2
	v_trunc_f32_e32 v3, v3
	v_fmamk_f32 v2, v3, 0xcf800000, v2
	v_cvt_u32_f32_e32 v3, v3
	v_cvt_u32_f32_e32 v2, v2
	v_readfirstlane_b32 s12, v3
	v_readfirstlane_b32 s8, v2
	s_mul_i32 s9, s10, s12
	s_mul_hi_u32 s14, s10, s8
	s_mul_i32 s13, s11, s8
	s_add_i32 s9, s14, s9
	s_add_i32 s9, s9, s13
	s_mul_i32 s15, s10, s8
	s_mul_i32 s14, s8, s9
	s_mul_hi_u32 s16, s8, s15
	s_mul_hi_u32 s13, s8, s9
	s_add_u32 s14, s16, s14
	s_addc_u32 s13, 0, s13
	s_mul_hi_u32 s17, s12, s15
	s_mul_i32 s15, s12, s15
	s_add_u32 s14, s14, s15
	s_mul_hi_u32 s16, s12, s9
	s_addc_u32 s13, s13, s17
	s_addc_u32 s14, s16, 0
	s_mul_i32 s9, s12, s9
	s_add_u32 s9, s13, s9
	s_addc_u32 s13, 0, s14
	s_add_u32 s14, s8, s9
	s_cselect_b64 s[8:9], -1, 0
	s_cmp_lg_u64 s[8:9], 0
	s_addc_u32 s12, s12, s13
	s_mul_i32 s8, s10, s12
	s_mul_hi_u32 s9, s10, s14
	s_add_i32 s8, s9, s8
	s_mul_i32 s11, s11, s14
	s_add_i32 s8, s8, s11
	s_mul_i32 s10, s10, s14
	s_mul_hi_u32 s11, s12, s10
	s_mul_i32 s13, s12, s10
	s_mul_i32 s16, s14, s8
	s_mul_hi_u32 s10, s14, s10
	s_mul_hi_u32 s15, s14, s8
	s_add_u32 s10, s10, s16
	s_addc_u32 s15, 0, s15
	s_add_u32 s10, s10, s13
	s_mul_hi_u32 s9, s12, s8
	s_addc_u32 s10, s15, s11
	s_addc_u32 s9, s9, 0
	s_mul_i32 s8, s12, s8
	s_add_u32 s8, s10, s8
	s_addc_u32 s10, 0, s9
	s_add_u32 s13, s14, s8
	s_cselect_b64 s[8:9], -1, 0
	s_cmp_lg_u64 s[8:9], 0
	s_addc_u32 s12, s12, s10
	s_ashr_i32 s8, s7, 31
	s_add_u32 s10, s6, s8
	s_mov_b32 s9, s8
	s_addc_u32 s11, s7, s8
	s_xor_b64 s[10:11], s[10:11], s[8:9]
	s_mul_i32 s14, s10, s12
	s_mul_hi_u32 s15, s10, s13
	s_mul_hi_u32 s7, s10, s12
	s_add_u32 s14, s15, s14
	s_addc_u32 s7, 0, s7
	s_mul_hi_u32 s16, s11, s13
	s_mul_i32 s13, s11, s13
	s_add_u32 s13, s14, s13
	s_mul_hi_u32 s15, s11, s12
	s_addc_u32 s7, s7, s16
	s_addc_u32 s13, s15, 0
	s_mul_i32 s12, s11, s12
	s_add_u32 s7, s7, s12
	s_addc_u32 s16, 0, s13
	s_mul_i32 s12, s4, s16
	s_mul_hi_u32 s13, s4, s7
	s_add_i32 s12, s13, s12
	s_mul_i32 s13, s5, s7
	s_add_i32 s17, s12, s13
	s_sub_i32 s14, s11, s17
	s_mul_i32 s12, s4, s7
	s_sub_u32 s10, s10, s12
	s_cselect_b64 s[12:13], -1, 0
	s_cmp_lg_u64 s[12:13], 0
	s_subb_u32 s18, s14, s5
	s_sub_u32 s19, s10, s4
	s_cselect_b64 s[14:15], -1, 0
	s_cmp_lg_u64 s[14:15], 0
	s_subb_u32 s14, s18, 0
	s_cmp_ge_u32 s14, s5
	s_cselect_b32 s15, -1, 0
	s_cmp_ge_u32 s19, s4
	s_cselect_b32 s18, -1, 0
	s_cmp_eq_u32 s14, s5
	s_cselect_b32 s14, s18, s15
	s_add_u32 s15, s7, 1
	s_addc_u32 s18, s16, 0
	s_add_u32 s19, s7, 2
	s_addc_u32 s20, s16, 0
	s_cmp_lg_u32 s14, 0
	s_cselect_b32 s14, s19, s15
	s_cselect_b32 s15, s20, s18
	s_cmp_lg_u64 s[12:13], 0
	s_subb_u32 s11, s11, s17
	s_cmp_ge_u32 s11, s5
	s_cselect_b32 s12, -1, 0
	s_cmp_ge_u32 s10, s4
	s_cselect_b32 s4, -1, 0
	s_cmp_eq_u32 s11, s5
	s_cselect_b32 s4, s4, s12
	s_cmp_lg_u32 s4, 0
	s_cselect_b32 s5, s15, s16
	s_cselect_b32 s4, s14, s7
	s_xor_b64 s[8:9], s[8:9], 0
	s_xor_b64 s[4:5], s[4:5], s[8:9]
	s_sub_u32 s4, s4, s8
	v_writelane_b32 v223, s4, 10
	s_nop 1
	v_writelane_b32 v223, s5, 11
	s_load_dwordx2 s[86:87], s[0:1], 0x5c
	s_cbranch_execnz .LBB9_8
.LBB9_7:
	v_rcp_iflag_f32_e32 v1, v1
	s_sub_i32 s2, 0, s53
	v_mul_f32_e32 v1, 0x4f7ffffe, v1
	v_cvt_u32_f32_e32 v1, v1
	s_nop 0
	v_readfirstlane_b32 s3, v1
	s_mul_i32 s2, s2, s3
	s_mul_hi_u32 s2, s3, s2
	s_add_i32 s3, s3, s2
	s_mul_hi_u32 s2, s6, s3
	s_mul_i32 s4, s2, s53
	s_sub_i32 s4, s6, s4
	s_add_i32 s3, s2, 1
	s_sub_i32 s5, s4, s53
	s_cmp_ge_u32 s4, s53
	s_cselect_b32 s2, s3, s2
	s_cselect_b32 s4, s5, s4
	s_add_i32 s3, s2, 1
	s_cmp_ge_u32 s4, s53
	s_cselect_b32 s2, s3, s2
	v_writelane_b32 v223, s2, 10
	s_nop 1
	v_writelane_b32 v223, s3, 11
.LBB9_8:
	s_load_dwordx16 s[56:71], s[0:1], 0x0
	s_load_dwordx4 s[12:15], s[0:1], 0x40
	s_load_dword s2, s[0:1], 0x50
	v_bfe_u32 v27, v0, 10, 10
	v_bfe_u32 v106, v0, 5, 5
	s_mov_b32 s93, 0
	s_waitcnt lgkmcnt(0)
	v_cvt_f16_f32_e32 v35, s12
	v_writelane_b32 v223, s2, 12
	s_load_dwordx2 s[2:3], s[0:1], 0x8c
	s_load_dwordx4 s[4:7], s[0:1], 0x98
	s_load_dwordx2 s[8:9], s[0:1], 0xa8
	s_load_dwordx2 s[16:17], s[0:1], 0xb8
	s_nop 0
	s_load_dwordx2 s[0:1], s[0:1], 0xc8
	v_lshl_add_u32 v31, v27, 1, v106
	s_waitcnt lgkmcnt(0)
	s_ashr_i32 s88, s2, 2
	s_ashr_i32 s74, s6, 2
	v_writelane_b32 v223, s8, 13
	s_ashr_i32 s54, s17, 1
	v_and_b32_e32 v26, 31, v0
	v_writelane_b32 v223, s9, 14
	v_writelane_b32 v223, s0, 15
	v_lshlrev_b32_e32 v108, 3, v27
	v_lshlrev_b32_e32 v107, 4, v27
	v_writelane_b32 v223, s1, 16
	s_ashr_i32 s0, s75, 3
	v_readlane_b32 s8, v223, 1
	s_abs_i32 s33, s8
	v_cvt_f32_u32_e32 v1, s33
	v_writelane_b32 v223, s0, 17
	s_mov_b32 s1, s3
	v_writelane_b32 v223, s0, 18
	v_rcp_iflag_f32_e32 v1, v1
	s_mov_b32 s3, s7
	v_writelane_b32 v223, s1, 19
	s_mov_b64 s[0:1], s[4:5]
	v_mul_f32_e32 v1, 0x4f7ffffe, v1
	v_cvt_u32_f32_e32 v1, v1
	v_writelane_b32 v223, s0, 20
	v_mbcnt_lo_u32_b32 v109, -1, 0
	s_nop 0
	v_writelane_b32 v223, s1, 21
	v_writelane_b32 v223, s2, 22
	;; [unrolled: 1-line block ×3, first 2 shown]
	s_sub_i32 s2, 0, s33
	v_readfirstlane_b32 s3, v1
	s_mul_i32 s2, s2, s3
	s_ashr_i32 s1, s8, 31
	s_mul_hi_u32 s2, s3, s2
	v_writelane_b32 v223, s1, 24
	s_abs_i32 s1, s98
	s_add_i32 s43, s3, s2
	s_mul_hi_u32 s2, s1, s43
	s_mul_i32 s2, s2, s33
	s_sub_i32 s1, s1, s2
	s_ashr_i32 s0, s98, 31
	s_sub_i32 s2, s1, s33
	s_cmp_ge_u32 s1, s33
	s_cselect_b32 s1, s2, s1
	s_sub_i32 s2, s1, s33
	s_cmp_ge_u32 s1, s33
	s_cselect_b32 s1, s2, s1
	s_xor_b32 s1, s1, s0
	s_sub_i32 s42, s1, s0
	v_readlane_b32 s0, v223, 10
	s_mov_b32 s6, s0
	s_sub_i32 s0, s0, s98
	s_add_i32 s4, s0, s42
	s_min_i32 s79, s8, s4
	s_cmp_gt_i32 s6, s98
	v_readlane_b32 s1, v223, 11
	s_cselect_b64 s[2:3], -1, 0
	s_cmp_le_i32 s6, s98
	s_cselect_b64 s[0:1], -1, 0
	s_cmp_gt_i32 s8, s4
	s_cselect_b64 s[4:5], -1, 0
	s_or_b64 s[0:1], s[4:5], s[0:1]
	s_and_b64 vcc, exec, s[0:1]
	s_cbranch_vccz .LBB9_11
; %bb.9:
	s_andn2_b64 vcc, exec, s[2:3]
	s_cbranch_vccz .LBB9_242
.LBB9_10:
	s_endpgm
.LBB9_11:
	s_cmp_lg_u64 s[62:63], 0
	v_writelane_b32 v223, s53, 25
	s_cselect_b64 s[0:1], -1, 0
	v_writelane_b32 v223, s0, 26
	s_cmp_eq_u64 s[64:65], 0
	s_mov_b64 s[2:3], s[14:15]
	v_writelane_b32 v223, s1, 27
	s_mul_i32 s0, s72, s73
	v_writelane_b32 v223, s0, 28
	s_cselect_b64 s[0:1], -1, 0
	v_writelane_b32 v223, s0, 29
	v_bfe_u32 v7, v0, 1, 9
	v_and_b32_e32 v30, 0x3ff, v0
	v_writelane_b32 v223, s1, 30
	s_mov_b32 s1, s13
	v_writelane_b32 v223, s0, 31
	v_bfe_u32 v1, v0, 3, 7
	v_and_b32_e32 v8, 0x78, v7
	v_writelane_b32 v223, s1, 32
	v_writelane_b32 v223, s2, 33
	v_lshl_add_u32 v113, v27, 5, v7
	v_lshlrev_b32_e32 v7, 2, v30
	v_writelane_b32 v223, s3, 34
	v_add_u32_e32 v37, v108, v1
	s_movk_i32 s2, 0xb0
	v_and_b32_e32 v28, 7, v0
	v_and_b32_e32 v5, 15, v0
	;; [unrolled: 1-line block ×3, first 2 shown]
	v_mad_u32_u24 v2, v37, s2, 0
	v_lshlrev_b32_e32 v3, 2, v28
	v_mul_u32_u24_e32 v6, 0xb0, v5
	v_lshlrev_b32_e32 v10, 2, v34
	v_add_u32_e32 v115, 32, v37
	v_add_u32_e32 v110, v2, v3
	v_and_b32_e32 v4, 0x7f0, v108
	v_add3_u32 v111, 0, v6, v8
	v_add_u32_e32 v114, v2, v10
	v_mul_u32_u24_e32 v2, 0xb0, v115
	v_and_b32_e32 v36, 4, v7
	v_mad_u32_u24 v112, v4, s2, v111
	v_add3_u32 v116, 0, v2, v10
	v_mad_u32_u24 v2, v113, s2, 0
	v_lshlrev_b32_e32 v7, 2, v36
	s_movk_i32 s2, 0x80
	v_add3_u32 v117, v2, v7, s2
	v_or_b32_e32 v2, v4, v5
	v_lshlrev_b32_e32 v4, 1, v1
	v_cmp_nle_f32_e64 s[0:1], s13, 0
	v_and_b32_e32 v9, 8, v108
	s_movk_i32 s3, 0x160
	v_or_b32_e32 v7, 3, v4
	v_or_b32_e32 v10, 2, v4
	v_and_b32_e32 v4, 60, v4
	v_writelane_b32 v223, s0, 35
	s_cmp_lg_u64 s[66:67], 0
	v_mad_u32_u24 v9, v9, s3, 0
	v_mul_u32_u24_e32 v4, 0xb0, v4
	v_lshlrev_b32_e32 v11, 1, v5
	v_writelane_b32 v223, s1, 36
	s_cselect_b64 s[0:1], -1, 0
	v_add3_u32 v118, v9, v4, v11
	v_bfe_u32 v4, v0, 10, 1
	v_writelane_b32 v223, s0, 37
	v_cmp_eq_u32_e64 s[96:97], 0, v4
	v_and_b32_e32 v4, 0x400, v0
	v_writelane_b32 v223, s1, 38
	v_cmp_ne_u32_e64 s[2:3], 0, v4
	s_lshl_b32 s92, s52, 5
	v_or_b32_e32 v4, v108, v30
	v_writelane_b32 v223, s2, 39
	s_ashr_i32 s55, s54, 31
	s_ashr_i32 s89, s88, 31
	v_writelane_b32 v223, s3, 40
	s_ashr_i32 s75, s74, 31
	v_writelane_b32 v223, s52, 41
	s_lshl_b64 s[2:3], s[92:93], 3
	v_lshlrev_b32_e32 v32, 3, v4
	v_or_b32_e32 v4, v107, v5
	s_add_u32 s2, s70, s2
	v_mul_u32_u24_e32 v4, 0xb0, v4
	v_add_u32_e32 v122, v106, v27
	v_readlane_b32 s19, v223, 7
	v_mul_u32_u24_e32 v7, 0xb0, v7
	s_addc_u32 s3, s71, s3
	v_add3_u32 v121, 0, v4, v8
	v_lshlrev_b32_e32 v4, 1, v122
	v_and_b32_e32 v5, 15, v122
	s_movk_i32 s6, 0x3e0
	v_add_u32_e32 v124, 4, v122
	s_abs_i32 s20, s19
	v_mul_u32_u24_e32 v10, 0xb0, v10
	v_add3_u32 v120, v9, v7, v11
	v_and_or_b32 v4, v4, s6, v5
	v_lshlrev_b32_e32 v7, 1, v124
	v_and_b32_e32 v8, 15, v124
	s_movk_i32 s6, 0x7e0
	v_add_u32_e32 v125, 8, v122
	v_cvt_f32_u32_e32 v14, s20
	v_add3_u32 v119, v9, v10, v11
	v_and_or_b32 v7, v7, s6, v8
	v_lshlrev_b32_e32 v8, 1, v125
	v_and_b32_e32 v9, 15, v125
	v_add_u32_e32 v126, 12, v122
	v_and_or_b32 v8, v8, s6, v9
	v_lshlrev_b32_e32 v9, 1, v126
	v_and_b32_e32 v10, 15, v126
	v_add_u32_e32 v127, 16, v122
	v_and_or_b32 v9, v9, s6, v10
	v_lshlrev_b32_e32 v10, 1, v127
	v_add_u32_e32 v128, 20, v122
	v_readlane_b32 s18, v223, 6
	v_and_or_b32 v5, v10, s6, v5
	v_lshlrev_b32_e32 v10, 1, v128
	v_and_b32_e32 v11, 15, v128
	v_add_u32_e32 v129, 24, v122
	v_rcp_iflag_f32_e32 v14, v14
	s_abs_i32 s21, s18
	v_and_or_b32 v10, v10, s6, v11
	v_lshlrev_b32_e32 v11, 1, v129
	v_and_b32_e32 v12, 15, v129
	v_add_u32_e32 v130, 28, v122
	v_cvt_f32_u32_e32 v16, s21
	v_lshl_add_u32 v123, v27, 2, v1
	v_and_or_b32 v11, v11, s6, v12
	v_lshlrev_b32_e32 v12, 1, v130
	v_and_b32_e32 v13, 15, v130
	v_and_b32_e32 v1, 15, v123
	v_and_or_b32 v12, v12, s6, v13
	v_lshlrev_b32_e32 v13, 1, v123
	s_movk_i32 s6, 0xfe0
	v_add_u32_e32 v131, 16, v123
	v_and_or_b32 v13, v13, s6, v1
	v_lshlrev_b32_e32 v15, 1, v131
	s_movk_i32 s6, 0x1fe0
	v_mul_f32_e32 v14, 0x4f7ffffe, v14
	v_readlane_b32 s17, v223, 3
	s_mov_b64 s[4:5], src_private_base
	v_and_or_b32 v1, v15, s6, v1
	v_cvt_u32_f32_e32 v14, v14
	v_rcp_iflag_f32_e32 v15, v16
	s_abs_i32 s22, s17
	s_mov_b32 s6, s16
	s_movk_i32 s4, 0x90
	v_cvt_f32_u32_e32 v16, s22
	v_writelane_b32 v223, s6, 42
	v_mad_u32_u24 v2, v2, s4, 0
	s_mul_i32 s4, s73, 40
	v_writelane_b32 v223, s7, 43
	v_writelane_b32 v223, s4, 44
	s_ashr_i32 s4, s19, 31
	s_abs_i32 s23, s16
	v_readfirstlane_b32 s15, v14
	v_mul_f32_e32 v15, 0x4f7ffffe, v15
	v_writelane_b32 v223, s4, 45
	s_sub_i32 s4, 0, s20
	v_cvt_f32_u32_e32 v17, s23
	v_rcp_iflag_f32_e32 v14, v16
	v_cvt_u32_f32_e32 v15, v15
	s_mul_i32 s4, s4, s15
	s_mul_hi_u32 s4, s15, s4
	v_writelane_b32 v223, s20, 46
	s_add_i32 s4, s15, s4
	v_writelane_b32 v223, s4, 47
	s_ashr_i32 s4, s18, 31
	v_rcp_iflag_f32_e32 v16, v17
	v_mul_f32_e32 v14, 0x4f7ffffe, v14
	v_readfirstlane_b32 s16, v15
	v_writelane_b32 v223, s4, 48
	s_sub_i32 s4, 0, s21
	v_cvt_u32_f32_e32 v14, v14
	s_mul_i32 s4, s4, s16
	s_mul_hi_u32 s4, s16, s4
	v_writelane_b32 v223, s21, 49
	s_add_i32 s4, s16, s4
	v_mov_b32_e32 v33, 0
	v_mul_f32_e32 v16, 0x4f7ffffe, v16
	v_writelane_b32 v223, s4, 50
	s_ashr_i32 s4, s17, 31
	v_cvt_u32_f32_e32 v16, v16
	v_lshl_add_u64 v[38:39], s[2:3], 0, v[32:33]
	v_readfirstlane_b32 s2, v14
	v_writelane_b32 v223, s4, 51
	s_sub_i32 s4, 0, s22
	s_mul_i32 s4, s4, s2
	s_mul_hi_u32 s4, s2, s4
	v_writelane_b32 v223, s22, 52
	s_add_i32 s2, s2, s4
	v_mul_u32_u24_e32 v6, 0x90, v27
	v_readfirstlane_b32 s3, v16
	v_lshlrev_b32_e32 v40, 1, v30
	v_writelane_b32 v223, s2, 53
	s_sub_i32 s2, 0, s23
	v_and_b32_e32 v14, 1, v0
	v_add3_u32 v132, 0, v6, v40
	v_lshrrev_b32_e32 v6, 2, v0
	s_mul_i32 s2, s2, s3
	v_lshlrev_b32_e32 v32, 4, v14
	v_and_b32_e32 v6, 60, v6
	v_and_b32_e32 v14, 16, v107
	s_mul_hi_u32 s2, s3, s2
	v_add_u32_e32 v133, v6, v14
	v_add_u16_e32 v6, v6, v14
	v_writelane_b32 v223, s23, 54
	s_add_i32 s2, s3, s2
	v_lshrrev_b16_e32 v6, 1, v6
	v_add_u32_e32 v136, 32, v133
	v_add_u32_e32 v138, 34, v133
	v_writelane_b32 v223, s2, 55
	v_cmp_gt_u32_e64 s[2:3], 16, v30
	v_lshl_add_u32 v135, v6, 2, v2
	v_lshl_add_u32 v137, v136, 1, v2
	;; [unrolled: 1-line block ×3, first 2 shown]
	v_mul_lo_u32 v48, s74, v113
	v_add_u32_e32 v2, v107, v30
	v_writelane_b32 v223, s2, 56
	v_ashrrev_i32_e32 v49, 31, v48
	v_mul_u32_u24_e32 v140, 0xb0, v2
	v_add_u32_e32 v2, v107, v26
	v_writelane_b32 v223, s3, 57
	v_cmp_gt_u32_e64 s[2:3], 32, v30
	v_mul_lo_u32 v46, s88, v113
	v_mul_u32_u24_e32 v141, 0xb0, v2
	v_add_u32_e32 v142, 0, v3
	v_lshl_add_u64 v[2:3], v[48:49], 2, v[32:33]
	v_writelane_b32 v223, s2, 58
	v_mul_lo_u32 v42, s88, v37
	v_ashrrev_i32_e32 v47, 31, v46
	v_lshl_add_u64 v[2:3], s[60:61], 0, v[2:3]
	s_mov_b64 s[80:81], 0x80
	v_writelane_b32 v223, s3, 59
	s_mov_b32 s2, s54
	v_lshl_add_u32 v44, s88, 5, v42
	v_mul_lo_u32 v50, s74, v115
	v_mul_lo_u32 v52, s74, v37
	v_lshl_add_u64 v[54:55], v[2:3], 0, s[80:81]
	v_lshl_add_u64 v[2:3], v[46:47], 2, v[32:33]
	v_writelane_b32 v223, s2, 60
                                        ; implicit-def: $vgpr222 : SGPR spill to VGPR lane
	s_mov_b32 s14, 0x10001
	v_ashrrev_i32_e32 v43, 31, v42
	v_ashrrev_i32_e32 v45, 31, v44
	;; [unrolled: 1-line block ×4, first 2 shown]
	v_lshl_add_u64 v[2:3], s[58:59], 0, v[2:3]
	v_writelane_b32 v223, s3, 61
	s_lshl_b64 s[2:3], s[54:55], 1
	v_writelane_b32 v222, s43, 0
	v_cmp_lt_u32_e64 s[0:1], 63, v30
	v_mul_u32_u24_e32 v134, 0xb0, v14
	v_cmp_gt_u32_e64 s[6:7], 64, v113
	v_cmp_gt_u32_e64 s[8:9], 64, v37
	;; [unrolled: 1-line block ×4, first 2 shown]
	v_mul_u32_u24_e32 v143, 0xb0, v4
	v_mul_u32_u24_e32 v144, 0xb0, v7
	v_mul_u32_u24_e32 v145, 0xb0, v8
	v_mul_u32_u24_e32 v146, 0xb0, v9
	v_mul_u32_u24_e32 v147, 0xb0, v5
	v_mul_u32_u24_e32 v148, 0xb0, v10
	v_mul_u32_u24_e32 v149, 0xb0, v11
	v_mul_u32_u24_e32 v150, 0xb0, v12
	v_mul_u32_u24_e32 v151, 0xb0, v13
	v_mul_u32_u24_e32 v152, 0xb0, v1
	v_mov_b32_e32 v29, v33
	v_mov_b32_e32 v41, v33
	v_lshlrev_b32_e32 v56, 4, v28
	v_mov_b32_e32 v57, v33
	v_lshl_add_u64 v[58:59], v[2:3], 0, s[80:81]
	s_mov_b32 s73, 0x42b17218
	s_mov_b32 s4, 0x3fb8aa3b
	;; [unrolled: 1-line block ×4, first 2 shown]
	v_mov_b32_e32 v190, v33
	v_mov_b32_e32 v191, v33
	v_mov_b32_e32 v192, v33
	v_mov_b32_e32 v193, v33
	s_mov_b32 s94, 0x5040100
	v_mul_lo_u32 v153, v35, s14
	v_lshl_add_u32 v154, v26, 2, 0
	v_add_u32_e32 v155, 4, v27
	v_add_u32_e32 v156, 0x240, v132
	;; [unrolled: 1-line block ×14, first 2 shown]
	v_or_b32_e32 v169, 1, v133
	v_or_b32_e32 v170, 2, v133
	;; [unrolled: 1-line block ×3, first 2 shown]
	v_add_u32_e32 v172, 33, v133
	v_add_u32_e32 v173, 35, v133
	v_mul_u32_u24_e32 v174, 0xb0, v31
	v_add_u32_e32 v175, 8, v31
	v_add_u32_e32 v176, 16, v31
	;; [unrolled: 1-line block ×3, first 2 shown]
	v_mov_b32_e32 v178, 0x3e91f4c4
	v_mov_b32_e32 v179, 0x37000000
	;; [unrolled: 1-line block ×4, first 2 shown]
	v_mbcnt_hi_u32_b32 v182, -1, v109
	v_mov_b32_e32 v183, 0
	v_lshl_add_u64 v[60:61], v[52:53], 2, s[60:61]
	v_lshl_add_u64 v[62:63], v[50:51], 2, s[60:61]
	;; [unrolled: 1-line block ×4, first 2 shown]
	v_cmp_gt_u32_e64 s[14:15], 63, v133
	v_cmp_gt_u32_e64 s[16:17], 62, v133
	;; [unrolled: 1-line block ×7, first 2 shown]
	v_writelane_b32 v223, s2, 62
	s_lshl_b64 s[84:85], s[74:75], 8
	s_lshl_b64 s[28:29], s[88:89], 8
	v_writelane_b32 v222, s96, 1
                                        ; implicit-def: $vgpr1
	v_writelane_b32 v223, s3, 63
	s_nop 0
	v_writelane_b32 v222, s97, 2
	s_branch .LBB9_14
.LBB9_12:                               ;   in Loop: Header=BB9_14 Depth=1
	s_or_b64 exec, exec, s[2:3]
	s_barrier
.LBB9_13:                               ;   in Loop: Header=BB9_14 Depth=1
	v_readlane_b32 s34, v223, 1
	s_add_i32 s2, s98, s34
	s_abs_i32 s30, s2
	v_readlane_b32 s43, v222, 0
	s_mul_hi_u32 s31, s30, s43
	s_mul_i32 s31, s31, s33
	s_sub_i32 s30, s30, s31
	s_ashr_i32 s3, s2, 31
	s_sub_i32 s31, s30, s33
	s_cmp_ge_u32 s30, s33
	s_cselect_b32 s30, s31, s30
	s_sub_i32 s31, s30, s33
	s_cmp_ge_u32 s30, s33
	s_cselect_b32 s30, s31, s30
	s_xor_b32 s30, s30, s3
	s_sub_i32 s3, s3, s30
	s_add_i32 s98, s2, s3
	v_readlane_b32 s2, v223, 10
	s_sub_i32 s30, s2, s98
	s_min_i32 s79, s34, s30
	v_readlane_b32 s3, v223, 11
	s_cmp_gt_i32 s2, s98
	s_cselect_b64 s[2:3], -1, 0
	s_cmp_le_i32 s34, s30
	s_cselect_b64 s[30:31], -1, 0
	s_and_b64 s[30:31], s[30:31], s[2:3]
	s_mov_b32 s42, 0
	s_and_b64 vcc, exec, s[30:31]
	s_cbranch_vccz .LBB9_241
.LBB9_14:                               ; =>This Loop Header: Depth=1
                                        ;     Child Loop BB9_160 Depth 2
                                        ;     Child Loop BB9_43 Depth 2
	s_ashr_i32 s2, s98, 31
	v_readlane_b32 s3, v223, 45
	s_xor_b32 s2, s2, s3
	s_abs_i32 s3, s98
	v_readlane_b32 s30, v223, 47
	s_mul_hi_u32 s30, s3, s30
	v_readlane_b32 s35, v223, 46
	s_mul_i32 s31, s30, s35
	s_sub_i32 s3, s3, s31
	s_add_i32 s31, s30, 1
	s_sub_i32 s34, s3, s35
	s_cmp_ge_u32 s3, s35
	s_cselect_b32 s30, s31, s30
	s_cselect_b32 s3, s34, s3
	s_add_i32 s31, s30, 1
	s_cmp_ge_u32 s3, s35
	s_cselect_b32 s3, s31, s30
	s_xor_b32 s3, s3, s2
	s_sub_i32 s38, s3, s2
	v_readlane_b32 s2, v223, 26
	v_readlane_b32 s3, v223, 27
	s_ashr_i32 s39, s38, 31
	s_andn2_b64 vcc, exec, s[2:3]
	s_mov_b64 s[2:3], 0
	s_cbranch_vccnz .LBB9_16
; %bb.15:                               ;   in Loop: Header=BB9_14 Depth=1
	s_abs_i32 s2, s38
	v_readlane_b32 s3, v223, 55
	s_mul_hi_u32 s3, s2, s3
	v_readlane_b32 s30, v223, 54
	s_mul_i32 s3, s3, s30
	s_sub_i32 s2, s2, s3
	s_sub_i32 s3, s2, s30
	s_cmp_ge_u32 s2, s30
	s_cselect_b32 s2, s3, s2
	s_sub_i32 s3, s2, s30
	s_cmp_ge_u32 s2, s30
	s_cselect_b32 s2, s3, s2
	s_xor_b32 s2, s2, s39
	s_sub_i32 s2, s2, s39
	s_ashr_i32 s3, s2, 31
	v_readlane_b32 s34, v223, 15
	v_readlane_b32 s35, v223, 16
	s_mul_i32 s3, s34, s3
	s_mul_hi_u32 s30, s34, s2
	s_add_i32 s3, s30, s3
	s_mul_i32 s30, s35, s2
	s_add_i32 s3, s3, s30
	s_mul_i32 s2, s34, s2
	s_add_u32 s2, s62, s2
	s_addc_u32 s3, s63, s3
.LBB9_16:                               ;   in Loop: Header=BB9_14 Depth=1
	v_readlane_b32 s30, v223, 7
	s_mul_i32 s30, s38, s30
	s_sub_i32 s30, s98, s30
	s_ashr_i32 s31, s30, 31
	v_readlane_b32 s34, v223, 48
	s_xor_b32 s31, s31, s34
	s_abs_i32 s34, s30
	v_readlane_b32 s35, v223, 50
	s_mul_hi_u32 s35, s34, s35
	v_readlane_b32 s40, v223, 49
	s_mul_i32 s36, s35, s40
	s_sub_i32 s34, s34, s36
	s_add_i32 s36, s35, 1
	s_sub_i32 s37, s34, s40
	s_cmp_ge_u32 s34, s40
	s_cselect_b32 s35, s36, s35
	s_cselect_b32 s34, s37, s34
	s_add_i32 s36, s35, 1
	s_cmp_ge_u32 s34, s40
	s_cselect_b32 s34, s36, s35
	s_xor_b32 s34, s34, s31
	s_sub_i32 s40, s34, s31
	v_readlane_b32 s31, v223, 6
	s_mul_i32 s31, s40, s31
	s_sub_i32 s31, s30, s31
	s_ashr_i32 s30, s31, 31
	v_readlane_b32 s34, v223, 51
	s_xor_b32 s30, s30, s34
	s_abs_i32 s34, s31
	v_readlane_b32 s35, v223, 53
	s_mul_hi_u32 s35, s34, s35
	v_readlane_b32 s41, v223, 52
	s_mul_i32 s36, s35, s41
	s_sub_i32 s34, s34, s36
	s_add_i32 s36, s35, 1
	s_sub_i32 s37, s34, s41
	s_cmp_ge_u32 s34, s41
	s_cselect_b32 s35, s36, s35
	s_cselect_b32 s34, s37, s34
	s_add_i32 s36, s35, 1
	s_cmp_ge_u32 s34, s41
	s_cselect_b32 s34, s36, s35
	s_xor_b32 s34, s34, s30
	s_sub_i32 s41, s34, s30
	v_readlane_b32 s30, v223, 2
	v_readlane_b32 s34, v223, 35
	s_mul_i32 s30, s40, s30
	v_readlane_b32 s35, v223, 36
	s_add_i32 s30, s30, s41
	s_andn2_b64 vcc, exec, s[34:35]
	v_mov_b32_e32 v68, 1.0
	s_cbranch_vccnz .LBB9_18
; %bb.17:                               ;   in Loop: Header=BB9_14 Depth=1
	v_readlane_b32 s34, v223, 12
	v_readlane_b32 s44, v223, 31
	;; [unrolled: 1-line block ×3, first 2 shown]
	v_mov_b32_e32 v1, s34
	v_sub_co_u32_e32 v1, vcc, s30, v1
	s_add_i32 s34, s30, 1
	v_lshlrev_b32_e32 v1, 1, v1
	v_mov_b32_e32 v3, s34
	v_or_b32_e32 v1, 1, v1
	v_cndmask_b32_e32 v1, v1, v3, vcc
	v_readlane_b32 s47, v223, 34
	v_cvt_f32_i32_e32 v1, v1
	v_mov_b32_e32 v3, s46
	v_mov_b32_e32 v2, s47
	v_cndmask_b32_e32 v2, v2, v3, vcc
	v_cmp_neq_f32_e32 vcc, 1.0, v2
	s_mov_b32 s34, 0x3f2aaaab
	s_movk_i32 s36, 0x204
	v_cndmask_b32_e32 v1, 1.0, v1, vcc
	v_cmp_neq_f32_e32 vcc, 0, v1
	s_brev_b32 s46, -2
	v_readlane_b32 s45, v223, 32
	v_cndmask_b32_e32 v18, 1.0, v2, vcc
	v_frexp_mant_f32_e64 v2, |v18|
	v_cmp_gt_f32_e32 vcc, s34, v2
	s_mov_b32 s34, 0x3f317218
	v_cmp_class_f32_e64 s[44:45], v18, s36
	v_cndmask_b32_e64 v3, 1.0, 2.0, vcc
	v_mul_f32_e32 v2, v2, v3
	v_add_f32_e32 v5, 1.0, v2
	v_rcp_f32_e32 v10, v5
	v_add_f32_e32 v3, -1.0, v5
	v_sub_f32_e32 v7, v2, v3
	v_add_f32_e32 v3, -1.0, v2
	v_mul_f32_e32 v11, v3, v10
	v_mul_f32_e32 v4, v5, v11
	v_fma_f32 v6, v11, v5, -v4
	v_fmac_f32_e32 v6, v11, v7
	v_add_f32_e32 v2, v4, v6
	v_sub_f32_e32 v5, v3, v2
	v_pk_add_f32 v[8:9], v[2:3], v[4:5] neg_lo:[0,1] neg_hi:[0,1]
	v_mov_b32_e32 v7, v2
	v_pk_add_f32 v[2:3], v[8:9], v[6:7] neg_lo:[0,1] neg_hi:[0,1]
	s_nop 0
	v_add_f32_e32 v2, v2, v3
	v_add_f32_e32 v2, v5, v2
	v_mul_f32_e32 v3, v10, v2
	v_add_f32_e32 v2, v11, v3
	v_sub_f32_e32 v4, v2, v11
	v_sub_f32_e32 v12, v3, v4
	v_mul_f32_e32 v3, v2, v2
	v_fma_f32 v5, v2, v2, -v3
	v_add_f32_e32 v4, v12, v12
	v_fmac_f32_e32 v5, v2, v4
	v_add_f32_e32 v4, v3, v5
	v_fmamk_f32 v6, v4, 0x3e76c4e1, v178
	v_fmaak_f32 v6, v4, v6, 0x3ecccdef
	v_sub_f32_e32 v3, v4, v3
	v_sub_f32_e32 v13, v5, v3
	v_mul_f32_e32 v3, v4, v6
	v_fma_f32 v5, v4, v6, -v3
	v_fmac_f32_e32 v5, v13, v6
	v_add_f32_e32 v6, v3, v5
	v_add_f32_e32 v7, 0x3f2aaaaa, v6
	v_sub_f32_e32 v3, v6, v3
	v_sub_f32_e32 v3, v5, v3
	v_add_f32_e32 v5, 0xbf2aaaaa, v7
	v_add_f32_e32 v3, 0x31739010, v3
	v_sub_f32_e32 v5, v6, v5
	v_pk_mul_f32 v[8:9], v[2:3], v[4:5]
	v_pk_add_f32 v[10:11], v[2:3], v[4:5]
	v_fma_f32 v6, v4, v2, -v8
	v_fmac_f32_e32 v6, v4, v12
	v_mov_b32_e32 v9, v11
	v_fmac_f32_e32 v6, v13, v2
	v_pk_add_f32 v[4:5], v[8:9], v[6:7]
	v_ldexp_f32 v14, v12, 1
	v_sub_f32_e32 v3, v4, v8
	v_sub_f32_e32 v3, v6, v3
	;; [unrolled: 1-line block ×3, first 2 shown]
	v_add_f32_e32 v10, v11, v6
	v_pk_mul_f32 v[6:7], v[4:5], v[4:5] op_sel:[0,1] op_sel_hi:[1,0]
	v_cvt_f64_f32_e64 v[8:9], |v18|
	v_frexp_exp_i32_f64_e32 v7, v[8:9]
	v_subbrev_co_u32_e32 v7, vcc, 0, v7, vcc
	v_cvt_f32_i32_e32 v7, v7
	v_fma_f32 v8, v4, v5, -v6
	v_fmac_f32_e32 v8, v4, v10
	v_fmac_f32_e32 v8, v3, v5
	v_mul_f32_e32 v4, 0x3f317218, v7
	v_fma_f32 v10, v7, s34, -v4
	v_fmac_f32_e32 v10, 0xb102e308, v7
	v_ldexp_f32 v11, v2, 1
	v_add_f32_e32 v5, v6, v8
	v_pk_add_f32 v[2:3], v[4:5], v[10:11]
	v_mov_b32_e32 v12, v5
	v_mov_b32_e32 v13, v3
	;; [unrolled: 1-line block ×3, first 2 shown]
	v_pk_add_f32 v[6:7], v[12:13], v[6:7] neg_lo:[0,1] neg_hi:[0,1]
	v_mov_b32_e32 v9, v5
	v_pk_add_f32 v[6:7], v[8:9], v[6:7] neg_lo:[0,1] neg_hi:[0,1]
	v_mov_b32_e32 v11, v2
	v_add_f32_e32 v5, v14, v6
	v_add_f32_e32 v5, v5, v7
	v_pk_add_f32 v[6:7], v[2:3], v[4:5] neg_lo:[0,1] neg_hi:[0,1]
	v_pk_add_f32 v[8:9], v[2:3], v[4:5]
	v_mov_b32_e32 v16, v3
	v_mov_b32_e32 v7, v9
	v_pk_add_f32 v[12:13], v[10:11], v[6:7] neg_lo:[0,1] neg_hi:[0,1]
	v_pk_add_f32 v[6:7], v[10:11], v[6:7]
	v_mov_b32_e32 v4, v5
	v_pk_add_f32 v[10:11], v[6:7], v[2:3] op_sel:[1,0] op_sel_hi:[0,1] neg_lo:[0,1] neg_hi:[0,1]
	v_pk_add_f32 v[14:15], v[8:9], v[10:11] op_sel_hi:[1,0] neg_lo:[0,1] neg_hi:[0,1]
	v_mov_b32_e32 v8, v9
	v_mov_b32_e32 v9, v7
	;; [unrolled: 1-line block ×3, first 2 shown]
	v_pk_add_f32 v[8:9], v[8:9], v[16:17] neg_lo:[0,1] neg_hi:[0,1]
	v_mov_b32_e32 v5, v2
	v_pk_add_f32 v[2:3], v[4:5], v[8:9] neg_lo:[0,1] neg_hi:[0,1]
	v_mov_b32_e32 v14, v12
	v_pk_add_f32 v[4:5], v[14:15], v[2:3]
	v_mov_b32_e32 v13, v7
	v_pk_add_f32 v[8:9], v[4:5], v[4:5] op_sel:[0,1] op_sel_hi:[1,0]
	s_mov_b32 s34, 0x7f800000
	v_pk_add_f32 v[6:7], v[6:7], v[8:9] op_sel:[1,0] op_sel_hi:[0,1]
	v_mov_b32_e32 v5, v6
	v_pk_add_f32 v[10:11], v[4:5], v[12:13] neg_lo:[0,1] neg_hi:[0,1]
	v_mov_b32_e32 v3, v8
	v_sub_f32_e32 v4, v4, v10
	v_pk_add_f32 v[2:3], v[2:3], v[10:11] neg_lo:[0,1] neg_hi:[0,1]
	v_sub_f32_e32 v4, v12, v4
	v_add_f32_e32 v2, v2, v4
	v_add_f32_e32 v2, v2, v3
	;; [unrolled: 1-line block ×3, first 2 shown]
	v_sub_f32_e32 v4, v3, v6
	v_sub_f32_e32 v2, v2, v4
	v_mul_f32_e32 v4, v1, v3
	v_fma_f32 v3, v1, v3, -v4
	v_fmac_f32_e32 v3, v1, v2
	v_add_f32_e32 v2, v4, v3
	v_cmp_class_f32_e64 vcc, v4, s36
	v_sub_f32_e32 v5, v2, v4
	v_sub_f32_e32 v3, v3, v5
	v_cndmask_b32_e32 v2, v2, v4, vcc
	v_cmp_eq_f32_e32 vcc, s73, v2
	s_nop 1
	v_cndmask_b32_e32 v4, 0, v179, vcc
	v_sub_f32_e32 v5, v2, v4
	v_mul_f32_e32 v6, 0x3fb8aa3b, v5
	v_fma_f32 v7, v5, s4, -v6
	v_rndne_f32_e32 v8, v6
	v_fmac_f32_e32 v7, 0x32a5705f, v5
	v_sub_f32_e32 v6, v6, v8
	v_add_f32_e32 v6, v6, v7
	v_exp_f32_e32 v6, v6
	v_cvt_i32_f32_e32 v7, v8
	v_cmp_neq_f32_e64 vcc, |v2|, s34
	s_nop 1
	v_cndmask_b32_e32 v2, 0, v3, vcc
	v_ldexp_f32 v3, v6, v7
	v_cmp_ngt_f32_e32 vcc, s78, v5
	v_add_f32_e32 v2, v4, v2
	s_nop 0
	v_cndmask_b32_e32 v3, 0, v3, vcc
	v_cmp_nlt_f32_e32 vcc, s73, v5
	s_nop 1
	v_cndmask_b32_e32 v3, v180, v3, vcc
	v_fma_f32 v2, v3, v2, v3
	v_cmp_class_f32_e64 vcc, v3, s36
	v_cmp_gt_f32_e64 s[36:37], 0, v1
	s_nop 0
	v_cndmask_b32_e32 v2, v2, v3, vcc
	v_trunc_f32_e32 v3, v1
	v_cmp_eq_f32_e32 vcc, v3, v1
	v_mul_f32_e32 v3, 0.5, v1
	v_trunc_f32_e32 v4, v3
	v_cmp_neq_f32_e64 s[34:35], v4, v3
	s_and_b64 s[34:35], vcc, s[34:35]
	s_nop 0
	v_cndmask_b32_e64 v3, 1.0, v18, s[34:35]
	v_bfi_b32 v2, s46, v2, v3
	v_cndmask_b32_e32 v3, v181, v2, vcc
	v_cmp_gt_f32_e32 vcc, 0, v18
	s_nop 1
	v_cndmask_b32_e32 v2, v2, v3, vcc
	v_cmp_eq_f32_e32 vcc, 0, v18
	s_xor_b64 s[36:37], s[36:37], vcc
	v_cndmask_b32_e64 v1, v180, 0, s[36:37]
	v_cndmask_b32_e64 v3, 0, v18, s[34:35]
	v_bfi_b32 v1, s46, v1, v3
	s_or_b64 vcc, vcc, s[44:45]
	v_cndmask_b32_e32 v1, v2, v1, vcc
	v_cmp_o_f32_e32 vcc, v18, v18
	s_nop 1
	v_cndmask_b32_e32 v68, v181, v1, vcc
.LBB9_18:                               ;   in Loop: Header=BB9_14 Depth=1
	v_readlane_b32 s34, v223, 3
	s_mul_i32 s41, s41, s34
	s_sub_i32 s31, s31, s41
	s_ashr_i32 s34, s31, 31
	v_readlane_b32 s35, v223, 24
	s_abs_i32 s31, s31
	s_xor_b32 s34, s34, s35
	s_mul_hi_u32 s35, s31, s43
	s_mul_i32 s36, s35, s33
	s_sub_i32 s31, s31, s36
	s_add_i32 s36, s35, 1
	s_sub_i32 s37, s31, s33
	s_cmp_ge_u32 s31, s33
	s_cselect_b32 s35, s36, s35
	s_cselect_b32 s31, s37, s31
	s_add_i32 s36, s35, 1
	s_cmp_ge_u32 s31, s33
	s_cselect_b32 s31, s36, s35
	v_readlane_b32 s36, v223, 37
	s_xor_b32 s31, s31, s34
	v_readlane_b32 s37, v223, 38
	s_andn2_b64 vcc, exec, s[36:37]
	s_sub_i32 s48, s31, s34
	s_cbranch_vccnz .LBB9_20
; %bb.19:                               ;   in Loop: Header=BB9_14 Depth=1
	v_readlane_b32 s31, v223, 0
	s_mul_i32 s31, s38, s31
	s_add_i32 s34, s48, s31
	s_ashr_i32 s35, s34, 31
	s_lshl_b64 s[34:35], s[34:35], 2
	s_add_u32 s34, s66, s34
	s_addc_u32 s35, s67, s35
	global_load_dword v1, v33, s[34:35]
	s_waitcnt vmcnt(0)
	v_readfirstlane_b32 s31, v1
	s_ashr_i32 s34, s31, 31
	s_lshr_b32 s34, s34, 26
	s_add_i32 s31, s31, s34
	s_ashr_i32 s31, s31, 6
	s_min_i32 s79, s79, s31
.LBB9_20:                               ;   in Loop: Header=BB9_14 Depth=1
	v_readlane_b32 s31, v223, 28
	s_mul_i32 s31, s31, s38
	s_add_i32 s31, s30, s31
	s_mul_i32 s92, s31, 40
	s_lshl_b64 s[34:35], s[92:93], 3
	s_add_u32 s34, s68, s34
	s_addc_u32 s35, s69, s35
	v_writelane_b32 v222, s34, 3
	v_readlane_b32 s36, v223, 13
	v_readlane_b32 s37, v223, 14
	v_writelane_b32 v222, s35, 4
	s_mul_i32 s31, s36, s39
	s_mul_hi_u32 s34, s36, s38
	s_add_i32 s31, s34, s31
	s_mul_i32 s34, s37, s38
	v_readlane_b32 s44, v223, 20
	s_add_i32 s34, s31, s34
	s_mul_i32 s31, s36, s38
	v_readlane_b32 s47, v223, 23
	v_writelane_b32 v222, s31, 5
	s_add_u32 s31, s60, s31
	s_mul_i32 s92, s40, s47
	v_writelane_b32 v222, s34, 6
	s_addc_u32 s34, s61, s34
	s_ashr_i32 s35, s92, 31
	s_add_u32 s91, s31, s92
	s_addc_u32 s95, s34, s35
	s_ashr_i32 s31, s30, 31
	v_writelane_b32 v222, s35, 7
	s_lshl_b64 s[34:35], s[30:31], 2
	s_add_u32 s31, s64, s34
	s_addc_u32 s36, s65, s35
	v_readlane_b32 s34, v223, 29
	v_readlane_b32 s35, v223, 30
	s_and_b64 s[34:35], s[34:35], exec
	s_cselect_b32 s47, 0, s36
	v_readlane_b32 s36, v223, 8
	v_readlane_b32 s46, v223, 22
	;; [unrolled: 1-line block ×3, first 2 shown]
	s_cselect_b32 s46, 0, s31
	s_mul_i32 s31, s38, s37
	s_ashr_i32 s34, s31, 31
	s_add_u32 s31, s56, s31
	s_mul_i32 s30, s30, s36
	s_addc_u32 s34, s57, s34
	s_ashr_i32 s35, s30, 31
	v_readlane_b32 s45, v223, 21
	s_add_u32 s52, s31, s30
	s_mul_i32 s30, s44, s39
	s_mul_hi_u32 s31, s44, s38
	s_addc_u32 s53, s34, s35
	s_add_i32 s30, s31, s30
	s_mul_i32 s31, s45, s38
	v_readlane_b32 s34, v223, 18
	s_add_i32 s31, s30, s31
	s_mul_i32 s30, s44, s38
	v_readlane_b32 s35, v223, 19
	v_writelane_b32 v222, s30, 8
	s_add_u32 s30, s58, s30
	s_mul_i32 s82, s40, s35
	v_writelane_b32 v222, s31, 9
	s_addc_u32 s31, s59, s31
	s_ashr_i32 s34, s82, 31
	s_add_u32 s90, s30, s82
	s_addc_u32 s76, s31, s34
	s_cmp_lg_u32 s42, 0
	v_writelane_b32 v222, s34, 10
	s_cbranch_scc0 .LBB9_57
; %bb.21:                               ;   in Loop: Header=BB9_14 Depth=1
	s_lshl_b32 s83, s48, 5
	v_add_u32_e32 v1, s83, v31
	v_cmp_le_i32_e32 vcc, s72, v1
	s_and_saveexec_b64 s[30:31], vcc
	s_xor_b64 s[30:31], exec, s[30:31]
; %bb.22:                               ;   in Loop: Header=BB9_14 Depth=1
	v_add_u32_e32 v1, v154, v174
	ds_write_b32 v1, v33
                                        ; implicit-def: $vgpr1
; %bb.23:                               ;   in Loop: Header=BB9_14 Depth=1
	s_andn2_saveexec_b64 s[30:31], s[30:31]
	s_cbranch_execz .LBB9_25
; %bb.24:                               ;   in Loop: Header=BB9_14 Depth=1
	v_readlane_b32 s34, v223, 17
	s_nop 1
	v_mad_u64_u32 v[2:3], s[34:35], v1, s34, v[26:27]
	v_ashrrev_i32_e32 v3, 31, v2
	v_lshl_add_u64 v[2:3], v[2:3], 3, s[52:53]
	global_load_dwordx2 v[2:3], v[2:3], off
	s_waitcnt vmcnt(0)
	v_cvt_pk_f16_f32 v1, v2, v3
	v_pk_mul_f16 v1, v1, v153
	v_add_u32_e32 v2, v154, v174
	ds_write_b32 v2, v1
.LBB9_25:                               ;   in Loop: Header=BB9_14 Depth=1
	s_or_b64 exec, exec, s[30:31]
	v_add_u32_e32 v1, s83, v175
	v_cmp_le_i32_e32 vcc, s72, v1
	s_and_saveexec_b64 s[30:31], vcc
	s_xor_b64 s[30:31], exec, s[30:31]
; %bb.26:                               ;   in Loop: Header=BB9_14 Depth=1
	v_add_u32_e32 v1, v154, v174
	ds_write_b32 v1, v33 offset:1408
                                        ; implicit-def: $vgpr1
; %bb.27:                               ;   in Loop: Header=BB9_14 Depth=1
	s_andn2_saveexec_b64 s[30:31], s[30:31]
	s_cbranch_execz .LBB9_29
; %bb.28:                               ;   in Loop: Header=BB9_14 Depth=1
	v_readlane_b32 s34, v223, 17
	s_nop 1
	v_mad_u64_u32 v[2:3], s[34:35], v1, s34, v[26:27]
	v_ashrrev_i32_e32 v3, 31, v2
	v_lshl_add_u64 v[2:3], v[2:3], 3, s[52:53]
	global_load_dwordx2 v[2:3], v[2:3], off
	s_waitcnt vmcnt(0)
	v_cvt_pk_f16_f32 v1, v2, v3
	v_pk_mul_f16 v1, v1, v153
	v_add_u32_e32 v2, v154, v174
	ds_write_b32 v2, v1 offset:1408
.LBB9_29:                               ;   in Loop: Header=BB9_14 Depth=1
	s_or_b64 exec, exec, s[30:31]
	v_add_u32_e32 v1, s83, v176
	v_cmp_le_i32_e32 vcc, s72, v1
	s_and_saveexec_b64 s[30:31], vcc
	s_xor_b64 s[30:31], exec, s[30:31]
; %bb.30:                               ;   in Loop: Header=BB9_14 Depth=1
	v_add_u32_e32 v1, v154, v174
	ds_write_b32 v1, v33 offset:2816
                                        ; implicit-def: $vgpr1
; %bb.31:                               ;   in Loop: Header=BB9_14 Depth=1
	s_andn2_saveexec_b64 s[30:31], s[30:31]
	s_cbranch_execz .LBB9_33
; %bb.32:                               ;   in Loop: Header=BB9_14 Depth=1
	v_readlane_b32 s34, v223, 17
	s_nop 1
	v_mad_u64_u32 v[2:3], s[34:35], v1, s34, v[26:27]
	v_ashrrev_i32_e32 v3, 31, v2
	v_lshl_add_u64 v[2:3], v[2:3], 3, s[52:53]
	global_load_dwordx2 v[2:3], v[2:3], off
	s_waitcnt vmcnt(0)
	v_cvt_pk_f16_f32 v1, v2, v3
	v_pk_mul_f16 v1, v1, v153
	v_add_u32_e32 v2, v154, v174
	ds_write_b32 v2, v1 offset:2816
.LBB9_33:                               ;   in Loop: Header=BB9_14 Depth=1
	;; [unrolled: 25-line block ×3, first 2 shown]
	s_or_b64 exec, exec, s[30:31]
	v_add_u32_e32 v1, s83, v37
	v_cmp_le_i32_e32 vcc, s72, v1
	s_and_saveexec_b64 s[30:31], vcc
	s_xor_b64 s[30:31], exec, s[30:31]
; %bb.38:                               ;   in Loop: Header=BB9_14 Depth=1
	ds_write_b32 v110, v33 offset:128
                                        ; implicit-def: $vgpr1
; %bb.39:                               ;   in Loop: Header=BB9_14 Depth=1
	s_andn2_saveexec_b64 s[30:31], s[30:31]
	s_cbranch_execz .LBB9_41
; %bb.40:                               ;   in Loop: Header=BB9_14 Depth=1
	v_readlane_b32 s34, v223, 17
	s_nop 1
	v_mul_lo_u32 v2, v1, s34
	v_ashrrev_i32_e32 v3, 31, v2
	v_lshl_add_u64 v[2:3], v[2:3], 0, v[28:29]
	v_lshl_add_u64 v[2:3], v[2:3], 3, s[52:53]
	global_load_dwordx2 v[2:3], v[2:3], off offset:256
	s_waitcnt vmcnt(0)
	v_cvt_pk_f16_f32 v1, v2, v3
	v_pk_mul_f16 v1, v1, v153
	ds_write_b32 v110, v1 offset:128
.LBB9_41:                               ;   in Loop: Header=BB9_14 Depth=1
	s_or_b64 exec, exec, s[30:31]
	s_waitcnt lgkmcnt(0)
	s_barrier
	ds_read2_b64 v[6:9], v112 offset1:4
	ds_read2_b64 v[2:5], v112 offset0:8 offset1:12
	ds_read_b64 v[24:25], v112 offset:128
	s_add_i32 s43, s79, -1
	s_cmp_ge_i32 s42, s43
	s_waitcnt lgkmcnt(0)
	s_barrier
	s_cbranch_scc1 .LBB9_58
; %bb.42:                               ;   in Loop: Header=BB9_14 Depth=1
	v_add_u32_e32 v1, s83, v27
	v_mul_hi_u32 v10, s86, v1
	v_add_u32_e32 v10, v1, v10
	v_lshrrev_b32_e32 v10, s87, v10
	v_mul_lo_u32 v10, v10, s72
	v_readlane_b32 s30, v223, 60
	v_sub_u32_e32 v1, v1, v10
	v_readlane_b32 s31, v223, 61
	s_mov_b32 s34, s30
	v_mad_i64_i32 v[72:73], s[30:31], v1, s34, 0
	v_add_u32_e32 v1, s83, v155
	v_mul_hi_u32 v10, s86, v1
	v_add_u32_e32 v10, v1, v10
	v_lshrrev_b32_e32 v10, s87, v10
	v_mul_lo_u32 v10, v10, s72
	v_sub_u32_e32 v1, v1, v10
	v_mad_i64_i32 v[74:75], s[30:31], v1, s34, 0
	v_add_u32_e32 v1, s83, v157
	v_mul_hi_u32 v10, s86, v1
	v_add_u32_e32 v10, v1, v10
	v_lshrrev_b32_e32 v10, s87, v10
	v_mul_lo_u32 v10, v10, s72
	v_sub_u32_e32 v1, v1, v10
	v_mad_i64_i32 v[76:77], s[30:31], v1, s34, 0
	v_add_u32_e32 v1, s83, v159
	v_mul_hi_u32 v10, s86, v1
	v_add_u32_e32 v10, v1, v10
	v_lshrrev_b32_e32 v10, s87, v10
	v_mul_lo_u32 v10, v10, s72
	v_sub_u32_e32 v1, v1, v10
	v_mad_i64_i32 v[78:79], s[30:31], v1, s34, 0
	v_add_u32_e32 v1, s83, v161
	v_mul_hi_u32 v10, s86, v1
	v_add_u32_e32 v10, v1, v10
	v_lshrrev_b32_e32 v10, s87, v10
	v_mul_lo_u32 v10, v10, s72
	v_sub_u32_e32 v1, v1, v10
	v_mad_i64_i32 v[80:81], s[30:31], v1, s34, 0
	v_add_u32_e32 v1, s83, v163
	v_mul_hi_u32 v10, s86, v1
	v_add_u32_e32 v10, v1, v10
	v_lshrrev_b32_e32 v10, s87, v10
	v_mul_lo_u32 v10, v10, s72
	v_sub_u32_e32 v1, v1, v10
	v_mad_i64_i32 v[82:83], s[30:31], v1, s34, 0
	v_add_u32_e32 v1, s83, v165
	v_mul_hi_u32 v10, s86, v1
	v_add_u32_e32 v10, v1, v10
	v_lshrrev_b32_e32 v10, s87, v10
	v_mul_lo_u32 v10, v10, s72
	v_sub_u32_e32 v1, v1, v10
	v_mad_i64_i32 v[84:85], s[30:31], v1, s34, 0
	v_add_u32_e32 v1, s83, v167
	v_mul_hi_u32 v10, s86, v1
	v_add_u32_e32 v10, v1, v10
	v_lshrrev_b32_e32 v10, s87, v10
	v_mul_lo_u32 v10, v10, s72
	v_sub_u32_e32 v1, v1, v10
	v_mad_i64_i32 v[86:87], s[30:31], v1, s34, 0
	v_and_b32_e32 v1, 64, v182
	v_add_u32_e32 v1, 64, v1
	v_xor_b32_e32 v10, 32, v182
	v_cmp_lt_i32_e32 vcc, v10, v1
	s_cmp_lg_u64 s[2:3], 0
	v_lshlrev_b32_e32 v32, 1, v30
	v_cndmask_b32_e32 v10, v182, v10, vcc
	v_lshlrev_b32_e32 v99, 2, v10
	v_xor_b32_e32 v10, 16, v182
	v_cmp_lt_i32_e32 vcc, v10, v1
	s_cselect_b64 s[36:37], -1, 0
	v_lshl_add_u64 v[70:71], s[2:3], 0, v[32:33]
	v_cndmask_b32_e32 v1, v182, v10, vcc
	v_lshlrev_b32_e32 v100, 2, v1
	v_mov_b32_e32 v88, v68
	v_mov_b32_e32 v89, v68
	s_lshl_b32 s38, s42, 6
	v_mov_b32_e32 v95, 0
	v_mov_b32_e32 v10, 0xfeffffff
	;; [unrolled: 1-line block ×12, first 2 shown]
.LBB9_43:                               ;   Parent Loop BB9_14 Depth=1
                                        ; =>  This Inner Loop Header: Depth=2
	v_cndmask_b32_e64 v1, 0, 1, s[36:37]
	v_cmp_ne_u32_e64 s[34:35], 1, v1
	s_andn2_b64 vcc, exec, s[36:37]
	s_ashr_i32 s39, s38, 31
	s_cbranch_vccnz .LBB9_49
; %bb.44:                               ;   in Loop: Header=BB9_43 Depth=2
	s_and_saveexec_b64 s[30:31], s[0:1]
	s_xor_b64 s[30:31], exec, s[30:31]
	s_cbranch_execz .LBB9_46
; %bb.45:                               ;   in Loop: Header=BB9_43 Depth=2
	ds_write_b16 v132, v33 offset:11264
	ds_write_b16 v156, v33 offset:11264
	;; [unrolled: 1-line block ×4, first 2 shown]
.LBB9_46:                               ;   in Loop: Header=BB9_43 Depth=2
	s_or_saveexec_b64 s[30:31], s[30:31]
	v_mov_b32_e32 v1, 0
	v_mov_b32_e32 v11, 0
	;; [unrolled: 1-line block ×4, first 2 shown]
	s_xor_b64 exec, exec, s[30:31]
	s_cbranch_execz .LBB9_48
; %bb.47:                               ;   in Loop: Header=BB9_43 Depth=2
	v_lshl_add_u64 v[14:15], s[38:39], 1, v[70:71]
	v_lshl_add_u64 v[12:13], v[72:73], 1, v[14:15]
	global_load_ushort v1, v[12:13], off
	v_lshl_add_u64 v[12:13], v[74:75], 1, v[14:15]
	global_load_ushort v11, v[12:13], off
	v_lshl_add_u64 v[12:13], v[76:77], 1, v[14:15]
	global_load_ushort v16, v[12:13], off
	v_lshl_add_u64 v[12:13], v[78:79], 1, v[14:15]
	global_load_ushort v12, v[12:13], off
	s_waitcnt vmcnt(3)
	ds_write_b16 v132, v1 offset:11264
	s_waitcnt vmcnt(2)
	ds_write_b16 v156, v11 offset:11264
	;; [unrolled: 2-line block ×4, first 2 shown]
	v_lshl_add_u64 v[12:13], v[80:81], 1, v[14:15]
	global_load_ushort v1, v[12:13], off
	v_lshl_add_u64 v[12:13], v[82:83], 1, v[14:15]
	global_load_ushort v11, v[12:13], off
	v_lshl_add_u64 v[12:13], v[84:85], 1, v[14:15]
	v_lshl_add_u64 v[14:15], v[86:87], 1, v[14:15]
	global_load_ushort v12, v[12:13], off
	s_nop 0
	global_load_ushort v13, v[14:15], off
.LBB9_48:                               ;   in Loop: Header=BB9_43 Depth=2
	s_or_b64 exec, exec, s[30:31]
	s_waitcnt vmcnt(3)
	ds_write_b16 v162, v1 offset:11264
	s_waitcnt vmcnt(2)
	ds_write_b16 v164, v11 offset:11264
	;; [unrolled: 2-line block ×4, first 2 shown]
.LBB9_49:                               ;   in Loop: Header=BB9_43 Depth=2
	s_mul_hi_i32 s31, s38, s88
	s_mul_i32 s30, s38, s88
	s_lshl_b64 s[30:31], s[30:31], 2
	s_add_u32 s30, s90, s30
	s_addc_u32 s31, s76, s31
	scratch_store_dwordx4 off, v[190:193], off
	s_and_saveexec_b64 s[40:41], s[6:7]
	s_cbranch_execz .LBB9_51
; %bb.50:                               ;   in Loop: Header=BB9_43 Depth=2
	v_lshl_add_u64 v[12:13], v[46:47], 2, s[30:31]
	v_lshlrev_b32_e32 v32, 2, v36
	v_lshl_add_u64 v[12:13], v[12:13], 0, v[32:33]
	global_load_dwordx4 v[12:15], v[12:13], off offset:128
	s_waitcnt vmcnt(0)
	ds_write_b128 v117, v[12:15]
.LBB9_51:                               ;   in Loop: Header=BB9_43 Depth=2
	s_or_b64 exec, exec, s[40:41]
	v_lshl_add_u64 v[12:13], v[42:43], 2, s[30:31]
	v_lshlrev_b32_e32 v32, 2, v34
	v_lshl_add_u64 v[12:13], v[12:13], 0, v[32:33]
	v_mov_b32_e32 v1, s5
	v_lshl_add_u64 v[14:15], v[44:45], 2, s[30:31]
	v_cndmask_b32_e64 v13, v1, v13, s[8:9]
	v_cndmask_b32_e64 v12, v183, v12, s[8:9]
	v_lshl_add_u64 v[14:15], v[14:15], 0, v[32:33]
	v_cndmask_b32_e64 v17, v1, v15, s[10:11]
	v_cndmask_b32_e64 v16, v183, v14, s[10:11]
	flat_load_dwordx4 v[12:15], v[12:13]
	v_add_u32_e32 v1, v111, v134
	v_add_u32_e32 v11, 0x1000, v1
	s_and_b64 vcc, exec, s[34:35]
	s_waitcnt vmcnt(0) lgkmcnt(0)
	ds_write_b128 v114, v[12:15]
	flat_load_dwordx4 v[12:15], v[16:17]
	s_waitcnt vmcnt(0) lgkmcnt(0)
	ds_write_b128 v116, v[12:15]
	s_waitcnt lgkmcnt(0)
	s_barrier
	ds_read2_b64 v[12:15], v1 offset1:4
	s_waitcnt lgkmcnt(0)
	v_mfma_f32_16x16x16_f16 v[16:19], v[12:13], v[6:7], 0
	v_mfma_f32_16x16x16_f16 v[12:15], v[14:15], v[8:9], v[16:19]
	s_nop 6
	ds_read2_b64 v[16:19], v1 offset0:8 offset1:12
	s_waitcnt lgkmcnt(0)
	v_mfma_f32_16x16x16_f16 v[12:15], v[16:17], v[2:3], v[12:15]
	ds_read_b64 v[16:17], v1 offset:128
	v_mfma_f32_16x16x16_f16 v[12:15], v[18:19], v[4:5], v[12:15]
	ds_read2_b64 v[18:21], v11 offset0:192 offset1:196
	s_waitcnt lgkmcnt(0)
	v_mfma_f32_16x16x16_f16 v[102:105], v[18:19], v[6:7], 0
	v_mfma_f32_16x16x16_f16 v[18:21], v[20:21], v[8:9], v[102:105]
	s_nop 6
	ds_read2_b64 v[102:105], v11 offset0:200 offset1:204
	v_mfma_f32_16x16x16_f16 v[14:17], v[16:17], v[24:25], v[12:15]
	s_nop 2
	ds_read_b64 v[12:13], v1 offset:5760
	s_waitcnt lgkmcnt(1)
	v_mfma_f32_16x16x16_f16 v[18:21], v[102:103], v[2:3], v[18:21]
	s_waitcnt lgkmcnt(0)
	s_barrier
	v_mfma_f32_16x16x16_f16 v[18:21], v[104:105], v[4:5], v[18:21]
	v_mfma_f32_16x16x16_f16 v[18:21], v[12:13], v[24:25], v[18:21]
	s_cbranch_vccnz .LBB9_53
; %bb.52:                               ;   in Loop: Header=BB9_43 Depth=2
	v_add_u32_e32 v1, 0x2c00, v135
	ds_read2_b32 v[12:13], v1 offset1:1
	ds_read_b32 v1, v137 offset:11264
	v_mov_b32_e32 v69, v68
	s_waitcnt lgkmcnt(1)
	v_cvt_f32_f16_e32 v102, v12
	v_cvt_f32_f16_sdwa v103, v12 dst_sel:DWORD dst_unused:UNUSED_PAD src0_sel:WORD_1
	v_cvt_f32_f16_e32 v12, v13
	v_cvt_f32_f16_sdwa v13, v13 dst_sel:DWORD dst_unused:UNUSED_PAD src0_sel:WORD_1
	v_pk_fma_f32 v[14:15], v[88:89], v[102:103], v[14:15]
	v_pk_fma_f32 v[16:17], v[68:69], v[12:13], v[16:17]
	s_waitcnt lgkmcnt(0)
	v_cvt_f32_f16_sdwa v13, v1 dst_sel:DWORD dst_unused:UNUSED_PAD src0_sel:WORD_1
	v_cvt_f32_f16_e32 v12, v1
	ds_read_b32 v1, v139 offset:11264
	v_pk_fma_f32 v[18:19], v[88:89], v[12:13], v[18:19]
	s_waitcnt lgkmcnt(0)
	v_cvt_f32_f16_sdwa v103, v1 dst_sel:DWORD dst_unused:UNUSED_PAD src0_sel:WORD_1
	v_cvt_f32_f16_e32 v102, v1
	v_pk_fma_f32 v[20:21], v[68:69], v[102:103], v[20:21]
.LBB9_53:                               ;   in Loop: Header=BB9_43 Depth=2
	v_add_f32_e32 v1, 0x40051340, v14
	v_max_f32_e32 v11, v10, v10
	v_max_f32_e32 v1, v11, v1
	v_cndmask_b32_e64 v1, v10, v1, s[12:13]
	v_add_f32_e32 v11, 0x40051340, v15
	v_max_f32_e32 v12, v1, v1
	v_max_f32_e32 v11, v12, v11
	v_cndmask_b32_e64 v1, v1, v11, s[14:15]
	;; [unrolled: 4-line block ×8, first 2 shown]
	ds_bpermute_b32 v11, v99, v1
	v_max_f32_e32 v1, v1, v1
	s_mul_hi_i32 s31, s38, s74
	s_mul_i32 s30, s38, s74
	s_lshl_b64 s[30:31], s[30:31], 2
	s_waitcnt lgkmcnt(0)
	v_max_f32_e32 v11, v11, v11
	v_max_f32_e32 v1, v1, v11
	ds_bpermute_b32 v11, v100, v1
	s_add_u32 s30, s91, s30
	s_addc_u32 s31, s95, s31
	scratch_store_dwordx4 off, v[190:193], off
	s_and_saveexec_b64 s[34:35], s[6:7]
	s_cbranch_execz .LBB9_55
; %bb.54:                               ;   in Loop: Header=BB9_43 Depth=2
	v_lshl_add_u64 v[12:13], v[48:49], 2, s[30:31]
	v_lshlrev_b32_e32 v102, 2, v36
	v_mov_b32_e32 v103, v33
	v_lshl_add_u64 v[12:13], v[12:13], 0, v[102:103]
	global_load_dwordx4 v[102:105], v[12:13], off offset:128
	s_waitcnt vmcnt(0)
	ds_write_b128 v117, v[102:105]
.LBB9_55:                               ;   in Loop: Header=BB9_43 Depth=2
	s_or_b64 exec, exec, s[34:35]
	v_lshl_add_u64 v[12:13], v[52:53], 2, s[30:31]
	v_lshl_add_u64 v[12:13], v[12:13], 0, v[32:33]
	v_mov_b32_e32 v188, s5
	v_cndmask_b32_e64 v13, v188, v13, s[8:9]
	v_cndmask_b32_e64 v12, v183, v12, s[8:9]
	flat_load_dwordx4 v[102:105], v[12:13]
	s_waitcnt lgkmcnt(0)
	v_max_f32_e32 v69, v11, v11
	v_max_f32_e32 v189, v1, v1
	;; [unrolled: 1-line block ×3, first 2 shown]
	v_lshl_add_u64 v[186:187], v[50:51], 2, s[30:31]
	v_sub_f32_e32 v189, v15, v69
	v_sub_f32_e32 v194, v16, v69
	;; [unrolled: 1-line block ×4, first 2 shown]
	v_lshl_add_u64 v[186:187], v[186:187], 0, v[32:33]
	v_sub_f32_e32 v197, v19, v69
	v_mul_f32_e32 v16, 0x3fb8aa3b, v189
	v_mul_f32_e32 v17, 0x3fb8aa3b, v194
	;; [unrolled: 1-line block ×4, first 2 shown]
	v_sub_f32_e32 v32, v14, v69
	v_cndmask_b32_e64 v15, v188, v187, s[10:11]
	v_cndmask_b32_e64 v14, v183, v186, s[10:11]
	v_rndne_f32_e32 v203, v16
	v_rndne_f32_e32 v205, v17
	;; [unrolled: 1-line block ×4, first 2 shown]
	v_fma_f32 v202, v189, s4, -v16
	v_fma_f32 v204, v194, s4, -v17
	;; [unrolled: 1-line block ×4, first 2 shown]
	v_sub_f32_e32 v218, v16, v203
	v_sub_f32_e32 v219, v17, v205
	;; [unrolled: 1-line block ×5, first 2 shown]
	v_mul_f32_e32 v10, 0x3fb8aa3b, v32
	v_fma_f32 v200, v32, s4, -v10
	v_rndne_f32_e32 v201, v10
	v_mul_f32_e32 v199, 0x3fb8aa3b, v198
	v_fmac_f32_e32 v200, 0x32a5705f, v32
	v_sub_f32_e32 v10, v10, v201
	v_fma_f32 v216, v198, s4, -v199
	v_rndne_f32_e32 v217, v199
	v_fmac_f32_e32 v202, 0x32a5705f, v189
	v_add_f32_e32 v10, v10, v200
	v_cvt_i32_f32_e32 v201, v201
	v_fmac_f32_e32 v204, 0x32a5705f, v194
	v_fmac_f32_e32 v216, 0x32a5705f, v198
	v_exp_f32_e32 v10, v10
	v_sub_f32_e32 v20, v20, v69
	v_mul_f32_e32 v186, 0x3fb8aa3b, v197
	v_cvt_i32_f32_e32 v203, v203
	v_fmac_f32_e32 v206, 0x32a5705f, v195
	v_sub_f32_e32 v21, v21, v69
	v_mul_f32_e32 v187, 0x3fb8aa3b, v20
	v_fma_f32 v210, v197, s4, -v186
	v_rndne_f32_e32 v211, v186
	v_cvt_i32_f32_e32 v205, v205
	v_fmac_f32_e32 v208, 0x32a5705f, v196
	v_mul_f32_e32 v188, 0x3fb8aa3b, v21
	v_fma_f32 v212, v20, s4, -v187
	v_rndne_f32_e32 v213, v187
	v_cvt_i32_f32_e32 v207, v207
	v_fmac_f32_e32 v210, 0x32a5705f, v197
	v_sub_f32_e32 v186, v186, v211
	v_fma_f32 v214, v21, s4, -v188
	v_rndne_f32_e32 v215, v188
	v_cvt_i32_f32_e32 v209, v209
	v_fmac_f32_e32 v212, 0x32a5705f, v20
	v_sub_f32_e32 v187, v187, v213
	v_add_f32_e32 v186, v186, v210
	v_ldexp_f32 v10, v10, v201
	v_cmp_ngt_f32_e32 vcc, s78, v32
	v_cvt_i32_f32_e32 v211, v211
	v_fmac_f32_e32 v214, 0x32a5705f, v21
	v_sub_f32_e32 v188, v188, v215
	v_add_f32_e32 v187, v187, v212
	v_exp_f32_e32 v186, v186
	v_cndmask_b32_e32 v10, 0, v10, vcc
	v_cmp_ngt_f32_e32 vcc, s78, v189
	v_cvt_i32_f32_e32 v213, v213
	v_add_f32_e32 v188, v188, v214
	v_exp_f32_e32 v187, v187
	v_cvt_i32_f32_e32 v215, v215
	s_waitcnt vmcnt(0)
	ds_write_b128 v114, v[102:105]
	flat_load_dwordx4 v[16:19], v[14:15]
	v_sub_f32_e32 v14, v199, v217
	v_add_f32_e32 v102, v218, v202
	v_add_f32_e32 v103, v219, v204
	;; [unrolled: 1-line block ×3, first 2 shown]
	v_exp_f32_e32 v102, v102
	v_cvt_i32_f32_e32 v15, v217
	v_add_f32_e32 v104, v220, v206
	v_exp_f32_e32 v103, v103
	v_exp_f32_e32 v14, v14
	v_add_f32_e32 v105, v221, v208
	v_exp_f32_e32 v104, v104
	v_exp_f32_e32 v105, v105
	v_ldexp_f32 v102, v102, v203
	v_ldexp_f32 v103, v103, v205
	;; [unrolled: 1-line block ×3, first 2 shown]
	v_cndmask_b32_e32 v15, 0, v102, vcc
	v_cmp_ngt_f32_e32 vcc, s78, v194
	v_exp_f32_e32 v188, v188
	v_ldexp_f32 v104, v104, v207
	v_cndmask_b32_e32 v102, 0, v103, vcc
	v_cmp_ngt_f32_e32 vcc, s78, v195
	v_ldexp_f32 v105, v105, v209
	v_ldexp_f32 v186, v186, v211
	v_cndmask_b32_e32 v103, 0, v104, vcc
	v_cmp_ngt_f32_e32 vcc, s78, v196
	v_ldexp_f32 v187, v187, v213
	v_ldexp_f32 v188, v188, v215
	v_cndmask_b32_e32 v104, 0, v105, vcc
	v_cmp_ngt_f32_e32 vcc, s78, v197
	v_mov_b32_e32 v22, s93
	v_mov_b32_e32 v185, s93
	v_cndmask_b32_e32 v105, 0, v186, vcc
	v_cmp_ngt_f32_e32 vcc, s78, v20
	v_mov_b32_e32 v184, s93
	v_mov_b32_e32 v13, s93
	;; [unrolled: 4-line block ×3, first 2 shown]
	v_cndmask_b32_e32 v187, 0, v188, vcc
	v_cmp_ngt_f32_e32 vcc, s78, v198
	v_mov_b32_e32 v11, s93
	s_add_i32 s42, s42, 1
	v_cndmask_b32_e32 v14, 0, v14, vcc
	v_cmp_nlt_f32_e32 vcc, s73, v32
	s_add_i32 s38, s38, 64
	s_cmp_lt_i32 s42, s43
	v_cndmask_b32_e32 v10, v180, v10, vcc
	v_cmp_nlt_f32_e32 vcc, s73, v189
	v_cndmask_b32_e64 v10, 0, v10, s[12:13]
	s_waitcnt vmcnt(0) lgkmcnt(0)
	ds_write_b128 v116, v[16:19]
	v_cndmask_b32_e32 v32, v180, v15, vcc
	v_cmp_nlt_f32_e32 vcc, s73, v194
	v_cndmask_b32_e64 v15, v185, v32, s[14:15]
	s_waitcnt lgkmcnt(0)
	v_cndmask_b32_e32 v102, v180, v102, vcc
	v_cmp_nlt_f32_e32 vcc, s73, v195
	s_barrier
	s_nop 0
	v_cndmask_b32_e32 v103, v180, v103, vcc
	v_cmp_nlt_f32_e32 vcc, s73, v196
	v_cndmask_b32_e64 v13, v13, v103, s[18:19]
	v_cvt_pk_f16_f32 v188, v10, v15
	v_cndmask_b32_e32 v196, v180, v104, vcc
	v_cmp_nlt_f32_e32 vcc, s73, v197
	v_cndmask_b32_e64 v12, v12, v196, s[20:21]
	s_nop 0
	v_cndmask_b32_e32 v197, v180, v105, vcc
	v_cmp_nlt_f32_e32 vcc, s73, v20
	v_cndmask_b32_e64 v1, v1, v197, s[22:23]
	v_cvt_pk_f16_f32 v194, v12, v1
	v_cndmask_b32_e32 v199, v180, v186, vcc
	v_cmp_nlt_f32_e32 vcc, s73, v21
	s_nop 1
	v_cndmask_b32_e32 v200, v180, v187, vcc
	v_cmp_nlt_f32_e32 vcc, s73, v198
	v_cndmask_b32_e64 v11, v11, v200, s[26:27]
	s_nop 0
	v_cndmask_b32_e32 v20, v180, v14, vcc
	v_cmp_le_f32_e32 vcc, s99, v198
	v_cndmask_b32_e64 v14, v184, v102, s[16:17]
	v_cvt_pk_f16_f32 v189, v14, v13
	v_cndmask_b32_e32 v198, 0, v20, vcc
	v_cvt_f16_f32_e32 v21, v198
	v_cndmask_b32_e64 v20, v22, v199, s[24:25]
	v_cvt_pk_f16_f32 v195, v20, v11
	v_mul_u32_u24_e32 v22, 0x10001, v21
	v_pk_mul_f16 v21, v98, v22
	v_pk_mul_f16 v98, v97, v22
	v_cvt_f32_f16_e32 v16, v21
	v_cvt_f32_f16_sdwa v17, v21 dst_sel:DWORD dst_unused:UNUSED_PAD src0_sel:WORD_1
	ds_read_u16 v19, v120
	ds_read_u16 v21, v119
	ds_read_u16 v105, v119 offset:32
	ds_read_u16 v184, v119 offset:64
	;; [unrolled: 1-line block ×6, first 2 shown]
	v_pk_mul_f16 v104, v96, v22
	s_waitcnt lgkmcnt(6)
	v_perm_b32 v97, v19, v21, s94
	ds_read_u16 v19, v118 offset:176
	ds_read_u16 v21, v118
	ds_read_u16 v187, v118 offset:32
	ds_read_u16 v203, v118 offset:208
	;; [unrolled: 1-line block ×6, first 2 shown]
	s_waitcnt lgkmcnt(6)
	v_perm_b32 v96, v19, v21, s94
	v_cvt_f32_f16_e32 v18, v98
	v_cvt_f32_f16_sdwa v19, v98 dst_sel:DWORD dst_unused:UNUSED_PAD src0_sel:WORD_1
	v_pk_mul_f16 v95, v95, v22
	s_waitcnt lgkmcnt(4)
	v_perm_b32 v12, v203, v187, s94
	v_mfma_f32_16x16x16_f16 v[14:17], v[96:97], v[188:189], v[16:19]
	v_cvt_f32_f16_e32 v20, v104
	v_cvt_f32_f16_sdwa v21, v104 dst_sel:DWORD dst_unused:UNUSED_PAD src0_sel:WORD_1
	v_pk_mul_f16 v92, v92, v22
	v_pk_mul_f16 v91, v91, v22
	s_nop 3
	v_cvt_f16_f32_e32 v13, v14
	v_cvt_f16_f32_e32 v15, v15
	;; [unrolled: 1-line block ×4, first 2 shown]
	v_cvt_f32_f16_e32 v14, v13
	ds_read_u16 v13, v119 offset:5632
	ds_read_u16 v96, v119 offset:5664
	;; [unrolled: 1-line block ×13, first 2 shown]
	s_waitcnt lgkmcnt(7)
	v_perm_b32 v19, v18, v13, s94
	ds_read_u16 v13, v118 offset:5632
	ds_read_u16 v18, v118 offset:5808
	;; [unrolled: 1-line block ×8, first 2 shown]
	s_waitcnt lgkmcnt(6)
	v_perm_b32 v18, v18, v13, s94
	v_cvt_f32_f16_e32 v15, v15
	v_cvt_f32_f16_e32 v16, v16
	;; [unrolled: 1-line block ×3, first 2 shown]
	v_perm_b32 v13, v186, v105, s94
	ds_read_u16 v1, v118 offset:5840
	ds_read_u16 v104, v118 offset:5872
	;; [unrolled: 1-line block ×3, first 2 shown]
	v_mfma_f32_16x16x16_f16 v[14:17], v[18:19], v[194:195], v[14:17]
	v_cvt_f32_f16_e32 v18, v95
	v_cvt_f32_f16_sdwa v19, v95 dst_sel:DWORD dst_unused:UNUSED_PAD src0_sel:WORD_1
	v_pk_mul_f16 v90, v90, v22
	s_waitcnt lgkmcnt(0)
	v_mfma_f32_16x16x16_f16 v[18:21], v[12:13], v[188:189], v[18:21]
	s_barrier
	s_nop 6
	v_cvt_f16_f32_e32 v12, v19
	v_cvt_f16_f32_e32 v13, v20
	v_cvt_f16_f32_e32 v11, v18
	v_cvt_f16_f32_e32 v21, v21
	v_cvt_f32_f16_e32 v19, v12
	v_cvt_f32_f16_e32 v20, v13
	v_perm_b32 v13, v97, v96, s94
	v_perm_b32 v12, v1, v216, s94
	v_cvt_f32_f16_e32 v18, v11
	v_cvt_f32_f16_e32 v21, v21
	v_add_f32_e32 v1, v32, v10
	v_pk_mul_f16 v11, v94, v22
	v_pk_mul_f16 v32, v93, v22
	v_mfma_f32_16x16x16_f16 v[18:21], v[12:13], v[194:195], v[18:21]
	v_perm_b32 v13, v210, v184, s94
	v_perm_b32 v12, v205, v204, s94
	v_cvt_f32_f16_e32 v94, v11
	v_cvt_f32_f16_sdwa v95, v11 dst_sel:DWORD dst_unused:UNUSED_PAD src0_sel:WORD_1
	v_cvt_f32_f16_e32 v96, v32
	v_cvt_f32_f16_sdwa v97, v32 dst_sel:DWORD dst_unused:UNUSED_PAD src0_sel:WORD_1
	v_cndmask_b32_e64 v1, v10, v1, s[14:15]
	v_add_f32_e32 v10, v1, v102
	v_cndmask_b32_e64 v1, v1, v10, s[16:17]
	v_mfma_f32_16x16x16_f16 v[10:13], v[12:13], v[188:189], v[94:97]
	v_add_f32_e32 v32, v1, v103
	v_perm_b32 v93, v212, v185, s94
	v_cndmask_b32_e64 v1, v1, v32, s[18:19]
	v_perm_b32 v95, v211, v98, s94
	v_perm_b32 v94, v104, v217, s94
	s_nop 2
	v_cvt_f16_f32_e32 v10, v10
	v_cvt_f16_f32_e32 v11, v11
	;; [unrolled: 1-line block ×4, first 2 shown]
	v_cvt_f32_f16_e32 v10, v10
	v_cvt_f32_f16_e32 v11, v11
	;; [unrolled: 1-line block ×4, first 2 shown]
	v_add_f32_e32 v32, v196, v1
	v_cndmask_b32_e64 v1, v1, v32, s[20:21]
	v_mfma_f32_16x16x16_f16 v[102:105], v[94:95], v[194:195], v[10:13]
	v_add_f32_e32 v32, v197, v1
	v_cndmask_b32_e64 v1, v1, v32, s[22:23]
	s_nop 0
	v_cvt_f32_f16_e32 v10, v92
	v_cvt_f32_f16_sdwa v11, v92 dst_sel:DWORD dst_unused:UNUSED_PAD src0_sel:WORD_1
	v_perm_b32 v92, v218, v206, s94
	v_cvt_f32_f16_e32 v12, v91
	v_cvt_f32_f16_sdwa v13, v91 dst_sel:DWORD dst_unused:UNUSED_PAD src0_sel:WORD_1
	v_pk_mul_f16 v91, v23, v22
	v_perm_b32 v23, v215, v209, s94
	v_mfma_f32_16x16x16_f16 v[10:13], v[92:93], v[188:189], v[10:13]
	v_perm_b32 v93, v213, v208, s94
	v_perm_b32 v92, v186, v219, s94
	;; [unrolled: 1-line block ×3, first 2 shown]
	v_add_f32_e32 v32, v199, v1
	s_nop 3
	v_cvt_f16_f32_e32 v10, v10
	v_cvt_f16_f32_e32 v11, v11
	;; [unrolled: 1-line block ×4, first 2 shown]
	v_cvt_f32_f16_e32 v10, v10
	v_cvt_f32_f16_e32 v11, v11
	;; [unrolled: 1-line block ×4, first 2 shown]
	v_cndmask_b32_e64 v1, v1, v32, s[24:25]
	v_cvt_pk_f16_f32 v95, v18, v19
	v_mfma_f32_16x16x16_f16 v[184:187], v[92:93], v[194:195], v[10:13]
	v_cvt_pk_f16_f32 v96, v20, v21
	v_cvt_pk_f16_f32 v98, v14, v15
	s_nop 0
	v_cvt_f32_f16_e32 v10, v90
	v_cvt_f32_f16_sdwa v11, v90 dst_sel:DWORD dst_unused:UNUSED_PAD src0_sel:WORD_1
	v_cvt_f32_f16_e32 v12, v91
	v_cvt_f32_f16_sdwa v13, v91 dst_sel:DWORD dst_unused:UNUSED_PAD src0_sel:WORD_1
	v_cvt_pk_f16_f32 v97, v16, v17
	v_cvt_pk_f16_f32 v94, v102, v103
	v_mfma_f32_16x16x16_f16 v[10:13], v[22:23], v[188:189], v[10:13]
	s_nop 7
	v_cvt_f16_f32_e32 v10, v10
	v_cvt_f16_f32_e32 v11, v11
	;; [unrolled: 1-line block ×4, first 2 shown]
	v_cvt_f32_f16_e32 v90, v10
	v_cvt_f32_f16_e32 v91, v11
	v_perm_b32 v11, v214, v202, s94
	v_perm_b32 v10, v201, v220, s94
	v_cvt_f32_f16_e32 v92, v12
	v_cvt_f32_f16_e32 v93, v13
	v_add_f32_e32 v12, v200, v1
	v_cndmask_b32_e64 v12, v1, v12, s[26:27]
	v_mfma_f32_16x16x16_f16 v[194:197], v[10:11], v[194:195], v[90:93]
	v_fmac_f32_e32 v12, v101, v198
	s_nop 1
	v_cvt_pk_f16_f32 v93, v104, v105
	v_cvt_pk_f16_f32 v92, v184, v185
	;; [unrolled: 1-line block ×3, first 2 shown]
	s_nop 1
	v_cvt_pk_f16_f32 v90, v194, v195
	v_cvt_pk_f16_f32 v23, v196, v197
	s_cbranch_scc0 .LBB9_59
; %bb.56:                               ;   in Loop: Header=BB9_43 Depth=2
	v_mov_b32_e32 v101, v12
	v_mov_b32_e32 v10, v69
	s_branch .LBB9_43
.LBB9_57:                               ;   in Loop: Header=BB9_14 Depth=1
	s_cbranch_execz .LBB9_13
	s_branch .LBB9_133
.LBB9_58:                               ;   in Loop: Header=BB9_14 Depth=1
	v_mov_b32_e32 v69, 0xfeffffff
	v_mov_b32_e32 v12, 0
	;; [unrolled: 1-line block ×12, first 2 shown]
.LBB9_59:                               ;   in Loop: Header=BB9_14 Depth=1
	s_lshl_b32 s30, s42, 6
	v_readlane_b32 s34, v223, 4
	s_sub_i32 s77, s34, s30
	s_cmp_lg_u64 s[2:3], 0
	s_cselect_b64 s[36:37], -1, 0
	s_ashr_i32 s31, s30, 31
	s_cmp_eq_u64 s[2:3], 0
	v_readlane_b32 s35, v223, 5
	s_cbranch_scc1 .LBB9_69
; %bb.60:                               ;   in Loop: Header=BB9_14 Depth=1
	s_lshl_b64 s[34:35], s[30:31], 1
	s_add_u32 s38, s2, s34
	s_addc_u32 s39, s3, s35
	v_cmp_le_i32_e32 vcc, s77, v30
	s_and_saveexec_b64 s[34:35], vcc
	s_xor_b64 s[34:35], exec, s[34:35]
	s_cbranch_execz .LBB9_62
; %bb.61:                               ;   in Loop: Header=BB9_14 Depth=1
	ds_write_b16 v132, v33 offset:11264
	ds_write_b16 v156, v33 offset:11264
.LBB9_62:                               ;   in Loop: Header=BB9_14 Depth=1
	s_or_saveexec_b64 s[34:35], s[34:35]
	v_lshlrev_b32_e32 v32, 1, v30
	v_lshl_add_u64 v[10:11], s[38:39], 0, v[32:33]
	v_mov_b32_e32 v1, 0
	v_mov_b32_e32 v13, 0
	s_xor_b64 exec, exec, s[34:35]
	s_cbranch_execz .LBB9_64
; %bb.63:                               ;   in Loop: Header=BB9_14 Depth=1
	v_add_u32_e32 v1, s83, v27
	v_mul_hi_u32 v13, s86, v1
	v_add_u32_e32 v13, v1, v13
	v_lshrrev_b32_e32 v13, s87, v13
	v_mul_lo_u32 v13, v13, s72
	v_readlane_b32 s38, v223, 60
	v_sub_u32_e32 v1, v1, v13
	v_readlane_b32 s39, v223, 61
	s_mov_b32 s40, s38
	v_mad_i64_i32 v[14:15], s[38:39], v1, s40, 0
	v_lshl_add_u64 v[14:15], v[14:15], 1, v[10:11]
	v_add_u32_e32 v13, s83, v155
	global_load_ushort v1, v[14:15], off
	v_mul_hi_u32 v14, s86, v13
	v_add_u32_e32 v14, v13, v14
	v_lshrrev_b32_e32 v14, s87, v14
	v_mul_lo_u32 v14, v14, s72
	v_sub_u32_e32 v13, v13, v14
	v_mad_i64_i32 v[14:15], s[38:39], v13, s40, 0
	v_lshl_add_u64 v[14:15], v[14:15], 1, v[10:11]
	global_load_ushort v13, v[14:15], off
	s_waitcnt vmcnt(1)
	ds_write_b16 v132, v1 offset:11264
	s_waitcnt vmcnt(0)
	ds_write_b16 v156, v13 offset:11264
	v_add_u32_e32 v1, s83, v157
	v_mul_hi_u32 v13, s86, v1
	v_add_u32_e32 v13, v1, v13
	v_lshrrev_b32_e32 v13, s87, v13
	v_mul_lo_u32 v13, v13, s72
	v_sub_u32_e32 v1, v1, v13
	v_mad_i64_i32 v[14:15], s[38:39], v1, s40, 0
	v_lshl_add_u64 v[14:15], v[14:15], 1, v[10:11]
	v_add_u32_e32 v13, s83, v159
	global_load_ushort v1, v[14:15], off
	v_mul_hi_u32 v14, s86, v13
	v_add_u32_e32 v14, v13, v14
	v_lshrrev_b32_e32 v14, s87, v14
	v_mul_lo_u32 v14, v14, s72
	v_sub_u32_e32 v13, v13, v14
	v_mad_i64_i32 v[14:15], s[38:39], v13, s40, 0
	v_lshl_add_u64 v[14:15], v[14:15], 1, v[10:11]
	global_load_ushort v13, v[14:15], off
.LBB9_64:                               ;   in Loop: Header=BB9_14 Depth=1
	s_or_b64 exec, exec, s[34:35]
	s_waitcnt vmcnt(1)
	ds_write_b16 v158, v1 offset:11264
	s_waitcnt vmcnt(0)
	ds_write_b16 v160, v13 offset:11264
	s_and_saveexec_b64 s[34:35], vcc
	s_xor_b64 s[34:35], exec, s[34:35]
	s_cbranch_execz .LBB9_66
; %bb.65:                               ;   in Loop: Header=BB9_14 Depth=1
	ds_write_b16 v162, v33 offset:11264
	ds_write_b16 v164, v33 offset:11264
                                        ; implicit-def: $vgpr10_vgpr11
.LBB9_66:                               ;   in Loop: Header=BB9_14 Depth=1
	s_or_saveexec_b64 s[34:35], s[34:35]
	v_mov_b32_e32 v1, 0
	v_mov_b32_e32 v13, 0
	s_xor_b64 exec, exec, s[34:35]
	s_cbranch_execz .LBB9_68
; %bb.67:                               ;   in Loop: Header=BB9_14 Depth=1
	v_add_u32_e32 v1, s83, v161
	v_mul_hi_u32 v13, s86, v1
	v_add_u32_e32 v13, v1, v13
	v_lshrrev_b32_e32 v13, s87, v13
	v_mul_lo_u32 v13, v13, s72
	v_readlane_b32 s38, v223, 60
	v_sub_u32_e32 v1, v1, v13
	v_readlane_b32 s39, v223, 61
	s_mov_b32 s40, s38
	v_mad_i64_i32 v[14:15], s[38:39], v1, s40, 0
	v_lshl_add_u64 v[14:15], v[14:15], 1, v[10:11]
	v_add_u32_e32 v13, s83, v163
	global_load_ushort v1, v[14:15], off
	v_mul_hi_u32 v14, s86, v13
	v_add_u32_e32 v14, v13, v14
	v_lshrrev_b32_e32 v14, s87, v14
	v_mul_lo_u32 v14, v14, s72
	v_sub_u32_e32 v13, v13, v14
	v_mad_i64_i32 v[14:15], s[38:39], v13, s40, 0
	v_lshl_add_u64 v[14:15], v[14:15], 1, v[10:11]
	global_load_ushort v13, v[14:15], off
	s_waitcnt vmcnt(1)
	ds_write_b16 v162, v1 offset:11264
	s_waitcnt vmcnt(0)
	ds_write_b16 v164, v13 offset:11264
	v_add_u32_e32 v1, s83, v165
	v_mul_hi_u32 v13, s86, v1
	v_add_u32_e32 v13, v1, v13
	v_lshrrev_b32_e32 v13, s87, v13
	v_mul_lo_u32 v13, v13, s72
	v_sub_u32_e32 v1, v1, v13
	v_mad_i64_i32 v[14:15], s[38:39], v1, s40, 0
	v_lshl_add_u64 v[14:15], v[14:15], 1, v[10:11]
	v_add_u32_e32 v13, s83, v167
	global_load_ushort v1, v[14:15], off
	v_mul_hi_u32 v14, s86, v13
	v_add_u32_e32 v14, v13, v14
	v_lshrrev_b32_e32 v14, s87, v14
	v_mul_lo_u32 v14, v14, s72
	v_sub_u32_e32 v13, v13, v14
	v_mad_i64_i32 v[14:15], s[38:39], v13, s40, 0
	v_lshl_add_u64 v[10:11], v[14:15], 1, v[10:11]
	global_load_ushort v13, v[10:11], off
.LBB9_68:                               ;   in Loop: Header=BB9_14 Depth=1
	s_or_b64 exec, exec, s[34:35]
	s_waitcnt vmcnt(1)
	ds_write_b16 v166, v1 offset:11264
	s_waitcnt vmcnt(0)
	ds_write_b16 v168, v13 offset:11264
.LBB9_69:                               ;   in Loop: Header=BB9_14 Depth=1
	s_mul_hi_i32 s35, s30, s88
	s_mul_i32 s34, s30, s88
	s_lshl_b64 s[34:35], s[34:35], 2
	s_add_u32 s34, s90, s34
	s_addc_u32 s35, s76, s35
	scratch_store_dwordx4 off, v[190:193], off
	s_and_saveexec_b64 s[38:39], s[6:7]
	s_cbranch_execz .LBB9_71
; %bb.70:                               ;   in Loop: Header=BB9_14 Depth=1
	v_lshl_add_u64 v[10:11], v[46:47], 2, s[34:35]
	v_lshlrev_b32_e32 v32, 2, v36
	v_lshl_add_u64 v[10:11], v[10:11], 0, v[32:33]
	v_lshl_add_u64 v[10:11], v[10:11], 0, s[80:81]
	v_mov_b32_e32 v1, s5
	v_cmp_gt_i32_e32 vcc, s77, v113
	s_nop 1
	v_cndmask_b32_e32 v11, v1, v11, vcc
	v_cndmask_b32_e32 v10, v183, v10, vcc
	flat_load_dwordx4 v[14:17], v[10:11]
	s_waitcnt vmcnt(0) lgkmcnt(0)
	ds_write_b128 v117, v[14:17]
.LBB9_71:                               ;   in Loop: Header=BB9_14 Depth=1
	s_or_b64 exec, exec, s[38:39]
	v_lshl_add_u64 v[10:11], v[42:43], 2, s[34:35]
	v_lshlrev_b32_e32 v32, 2, v34
	v_lshl_add_u64 v[10:11], v[10:11], 0, v[32:33]
	v_mov_b32_e32 v1, s5
	v_cmp_gt_i32_e64 s[38:39], s77, v37
	v_writelane_b32 v222, s46, 11
	s_andn2_b64 vcc, exec, s[36:37]
	v_cndmask_b32_e64 v11, v1, v11, s[38:39]
	v_cndmask_b32_e64 v10, v183, v10, s[38:39]
	flat_load_dwordx4 v[14:17], v[10:11]
	v_lshl_add_u64 v[10:11], v[44:45], 2, s[34:35]
	v_lshl_add_u64 v[10:11], v[10:11], 0, v[32:33]
	v_cmp_gt_i32_e64 s[34:35], s77, v115
	v_writelane_b32 v222, s47, 12
	v_writelane_b32 v222, s48, 13
	v_cndmask_b32_e64 v11, v1, v11, s[34:35]
	v_cndmask_b32_e64 v10, v183, v10, s[34:35]
	v_add_u32_e32 v1, v111, v134
	s_waitcnt vmcnt(0) lgkmcnt(0)
	ds_write_b128 v114, v[14:17]
	flat_load_dwordx4 v[14:17], v[10:11]
	v_add_u32_e32 v10, 0x1000, v1
	s_waitcnt vmcnt(0) lgkmcnt(0)
	ds_write_b128 v116, v[14:17]
	s_waitcnt lgkmcnt(0)
	s_barrier
	ds_read2_b64 v[14:17], v1 offset1:4
	ds_read2_b64 v[70:73], v10 offset0:192 offset1:196
	s_waitcnt lgkmcnt(1)
	v_mfma_f32_16x16x16_f16 v[18:21], v[14:15], v[6:7], 0
	s_waitcnt lgkmcnt(0)
	v_mfma_f32_16x16x16_f16 v[74:77], v[70:71], v[6:7], 0
	v_mfma_f32_16x16x16_f16 v[14:17], v[16:17], v[8:9], v[18:21]
	s_nop 4
	ds_read2_b64 v[18:21], v1 offset0:8 offset1:12
	v_mfma_f32_16x16x16_f16 v[6:9], v[72:73], v[8:9], v[74:77]
	ds_read2_b64 v[70:73], v10 offset0:200 offset1:204
	ds_read_b64 v[10:11], v1 offset:128
	s_waitcnt lgkmcnt(2)
	v_mfma_f32_16x16x16_f16 v[14:17], v[18:19], v[2:3], v[14:17]
	ds_read_b64 v[18:19], v1 offset:5760
	s_waitcnt lgkmcnt(0)
	s_barrier
	v_mfma_f32_16x16x16_f16 v[6:9], v[70:71], v[2:3], v[6:9]
	v_mfma_f32_16x16x16_f16 v[14:17], v[20:21], v[4:5], v[14:17]
	;; [unrolled: 1-line block ×5, first 2 shown]
	s_cbranch_vccnz .LBB9_73
; %bb.72:                               ;   in Loop: Header=BB9_14 Depth=1
	v_add_u32_e32 v1, 0x2c00, v135
	ds_read2_b32 v[10:11], v1 offset1:1
	ds_read_b32 v1, v137 offset:11264
	s_waitcnt lgkmcnt(1)
	v_cvt_f32_f16_e32 v14, v10
	v_cvt_f32_f16_sdwa v15, v10 dst_sel:DWORD dst_unused:UNUSED_PAD src0_sel:WORD_1
	v_cvt_f32_f16_e32 v10, v11
	v_cvt_f32_f16_sdwa v11, v11 dst_sel:DWORD dst_unused:UNUSED_PAD src0_sel:WORD_1
	v_pk_fma_f32 v[6:7], v[68:69], v[14:15], v[6:7] op_sel_hi:[0,1,1]
	v_pk_fma_f32 v[8:9], v[68:69], v[10:11], v[8:9] op_sel_hi:[0,1,1]
	s_waitcnt lgkmcnt(0)
	v_cvt_f32_f16_sdwa v11, v1 dst_sel:DWORD dst_unused:UNUSED_PAD src0_sel:WORD_1
	v_cvt_f32_f16_e32 v10, v1
	ds_read_b32 v1, v139 offset:11264
	v_pk_fma_f32 v[2:3], v[68:69], v[10:11], v[2:3] op_sel_hi:[0,1,1]
	s_waitcnt lgkmcnt(0)
	v_cvt_f32_f16_sdwa v15, v1 dst_sel:DWORD dst_unused:UNUSED_PAD src0_sel:WORD_1
	v_cvt_f32_f16_e32 v14, v1
	v_pk_fma_f32 v[4:5], v[68:69], v[14:15], v[4:5] op_sel_hi:[0,1,1]
.LBB9_73:                               ;   in Loop: Header=BB9_14 Depth=1
	s_nop 5
	v_add_f32_e32 v1, 0x40051340, v6
	v_max_f32_e32 v10, v69, v69
	v_max_f32_e32 v1, v10, v1
	v_cmp_gt_u32_e64 s[50:51], s77, v133
	v_add_f32_e32 v10, 0x40051340, v7
	v_cmp_gt_u32_e64 s[48:49], s77, v169
	v_cndmask_b32_e64 v1, v69, v1, s[50:51]
	v_max_f32_e32 v11, v1, v1
	v_max_f32_e32 v10, v11, v10
	v_cndmask_b32_e64 v1, v1, v10, s[48:49]
	v_add_f32_e32 v10, 0x40051340, v8
	v_max_f32_e32 v11, v1, v1
	v_max_f32_e32 v10, v11, v10
	v_cmp_gt_u32_e64 s[46:47], s77, v170
	v_cmp_gt_u32_e32 vcc, s77, v171
	v_cmp_gt_u32_e64 s[44:45], s77, v136
	v_cndmask_b32_e64 v1, v1, v10, s[46:47]
	v_add_f32_e32 v10, 0x40051340, v9
	v_max_f32_e32 v11, v1, v1
	v_max_f32_e32 v10, v11, v10
	v_cndmask_b32_e32 v1, v1, v10, vcc
	v_add_f32_e32 v10, 0x40051340, v2
	v_max_f32_e32 v11, v1, v1
	v_max_f32_e32 v10, v11, v10
	v_cndmask_b32_e64 v1, v1, v10, s[44:45]
	v_add_f32_e32 v10, 0x40051340, v3
	v_max_f32_e32 v11, v1, v1
	v_max_f32_e32 v10, v11, v10
	v_cmp_gt_u32_e64 s[42:43], s77, v172
	v_cmp_gt_u32_e64 s[40:41], s77, v138
	;; [unrolled: 1-line block ×3, first 2 shown]
	v_cndmask_b32_e64 v1, v1, v10, s[42:43]
	v_add_f32_e32 v10, 0x40051340, v4
	v_max_f32_e32 v11, v1, v1
	v_max_f32_e32 v10, v11, v10
	v_cndmask_b32_e64 v1, v1, v10, s[40:41]
	v_add_f32_e32 v10, 0x40051340, v5
	v_max_f32_e32 v11, v1, v1
	v_max_f32_e32 v10, v11, v10
	v_cndmask_b32_e64 v1, v1, v10, s[36:37]
	v_and_b32_e32 v10, 64, v182
	v_add_u32_e32 v10, 64, v10
	v_xor_b32_e32 v11, 32, v182
	v_cmp_lt_i32_e64 s[54:55], v11, v10
	s_mul_hi_i32 s31, s30, s74
	s_mul_i32 s30, s30, s74
	v_cndmask_b32_e64 v11, v182, v11, s[54:55]
	v_lshlrev_b32_e32 v15, 2, v11
	ds_bpermute_b32 v11, v15, v1
	v_max_f32_e32 v1, v1, v1
	s_lshl_b64 s[30:31], s[30:31], 2
	s_add_u32 s30, s91, s30
	s_addc_u32 s31, s95, s31
	s_waitcnt lgkmcnt(0)
	v_max_f32_e32 v11, v11, v11
	v_max_f32_e32 v1, v1, v11
	v_xor_b32_e32 v11, 16, v182
	v_cmp_lt_i32_e64 s[54:55], v11, v10
	scratch_store_dwordx4 off, v[190:193], off
	s_nop 0
	v_cndmask_b32_e64 v10, v182, v11, s[54:55]
	v_lshlrev_b32_e32 v16, 2, v10
	ds_bpermute_b32 v10, v16, v1
	s_and_saveexec_b64 s[96:97], s[6:7]
	s_cbranch_execz .LBB9_75
; %bb.74:                               ;   in Loop: Header=BB9_14 Depth=1
	v_lshl_add_u64 v[18:19], v[48:49], 2, s[30:31]
	v_lshlrev_b32_e32 v20, 2, v36
	v_mov_b32_e32 v21, v33
	v_lshl_add_u64 v[18:19], v[18:19], 0, v[20:21]
	v_lshl_add_u64 v[18:19], v[18:19], 0, s[80:81]
	v_mov_b32_e32 v11, s5
	v_cmp_gt_i32_e64 s[54:55], s77, v113
	s_nop 1
	v_cndmask_b32_e64 v19, v11, v19, s[54:55]
	v_cndmask_b32_e64 v18, v183, v18, s[54:55]
	flat_load_dwordx4 v[18:21], v[18:19]
	s_waitcnt vmcnt(0) lgkmcnt(0)
	ds_write_b128 v117, v[18:21]
.LBB9_75:                               ;   in Loop: Header=BB9_14 Depth=1
	s_or_b64 exec, exec, s[96:97]
	s_waitcnt lgkmcnt(0)
	v_max_f32_e32 v10, v10, v10
	v_max_f32_e32 v1, v1, v1
	;; [unrolled: 1-line block ×3, first 2 shown]
	v_sub_f32_e32 v1, v6, v14
	v_mul_f32_e32 v6, 0x3fb8aa3b, v1
	v_fma_f32 v10, v1, s4, -v6
	v_rndne_f32_e32 v11, v6
	v_fmac_f32_e32 v10, 0x32a5705f, v1
	v_sub_f32_e32 v6, v6, v11
	v_add_f32_e32 v6, v6, v10
	v_cvt_i32_f32_e32 v13, v11
	v_lshl_add_u64 v[10:11], v[52:53], 2, s[30:31]
	v_lshl_add_u64 v[10:11], v[10:11], 0, v[32:33]
	v_mov_b32_e32 v17, s5
	v_cndmask_b32_e64 v11, v17, v11, s[38:39]
	v_cndmask_b32_e64 v10, v183, v10, s[38:39]
	flat_load_dwordx4 v[18:21], v[10:11]
	v_exp_f32_e32 v6, v6
	v_sub_f32_e32 v7, v7, v14
	v_mul_f32_e32 v10, 0x3fb8aa3b, v7
	v_fma_f32 v11, v7, s4, -v10
	v_ldexp_f32 v6, v6, v13
	v_rndne_f32_e32 v13, v10
	v_fmac_f32_e32 v11, 0x32a5705f, v7
	v_sub_f32_e32 v10, v10, v13
	v_add_f32_e32 v10, v10, v11
	v_exp_f32_e32 v10, v10
	v_cvt_i32_f32_e32 v11, v13
	v_cmp_ngt_f32_e64 s[38:39], s78, v1
	v_sub_f32_e32 v8, v8, v14
	v_sub_f32_e32 v9, v9, v14
	v_cndmask_b32_e64 v6, 0, v6, s[38:39]
	v_cmp_nlt_f32_e64 s[38:39], s73, v1
	v_sub_f32_e32 v2, v2, v14
	v_sub_f32_e32 v4, v4, v14
	v_cndmask_b32_e64 v1, v180, v6, s[38:39]
	v_cndmask_b32_e64 v6, 0, v1, s[50:51]
	v_ldexp_f32 v1, v10, v11
	v_cmp_ngt_f32_e64 s[38:39], s78, v7
	v_sub_f32_e32 v5, v5, v14
	v_readlane_b32 s96, v222, 1
	v_cndmask_b32_e64 v1, 0, v1, s[38:39]
	v_cmp_nlt_f32_e64 s[38:39], s73, v7
	v_readlane_b32 s97, v222, 2
	s_waitcnt vmcnt(0) lgkmcnt(0)
	ds_write_b128 v114, v[18:21]
	v_cndmask_b32_e64 v7, v180, v1, s[38:39]
	v_mul_f32_e32 v1, 0x3fb8aa3b, v8
	v_fma_f32 v11, v8, s4, -v1
	v_rndne_f32_e32 v13, v1
	v_fmac_f32_e32 v11, 0x32a5705f, v8
	v_sub_f32_e32 v1, v1, v13
	v_add_f32_e32 v1, v1, v11
	v_exp_f32_e32 v11, v1
	v_cvt_i32_f32_e32 v13, v13
	v_add_f32_e32 v10, v7, v6
	v_mov_b32_e32 v1, s93
	v_cndmask_b32_e64 v1, v1, v7, s[48:49]
	v_cndmask_b32_e64 v7, v6, v10, s[48:49]
	v_ldexp_f32 v10, v11, v13
	v_cmp_ngt_f32_e64 s[38:39], s78, v8
	v_cvt_pk_f16_f32 v74, v6, v1
	s_nop 0
	v_cndmask_b32_e64 v10, 0, v10, s[38:39]
	v_cmp_nlt_f32_e64 s[38:39], s73, v8
	v_mul_f32_e32 v8, 0x3fb8aa3b, v9
	v_fma_f32 v13, v9, s4, -v8
	v_rndne_f32_e32 v22, v8
	v_fmac_f32_e32 v13, 0x32a5705f, v9
	v_sub_f32_e32 v8, v8, v22
	v_add_f32_e32 v8, v8, v13
	v_exp_f32_e32 v13, v8
	v_cvt_i32_f32_e32 v22, v22
	v_cndmask_b32_e64 v10, v180, v10, s[38:39]
	v_mov_b32_e32 v8, s93
	v_add_f32_e32 v11, v7, v10
	v_cndmask_b32_e64 v8, v8, v10, s[46:47]
	v_ldexp_f32 v10, v13, v22
	v_cmp_ngt_f32_e64 s[38:39], s78, v9
	v_cndmask_b32_e64 v7, v7, v11, s[46:47]
	v_readlane_b32 s46, v222, 11
	v_cndmask_b32_e64 v10, 0, v10, s[38:39]
	v_cmp_nlt_f32_e64 s[38:39], s73, v9
	v_mul_f32_e32 v9, 0x3fb8aa3b, v2
	v_fma_f32 v11, v2, s4, -v9
	v_rndne_f32_e32 v13, v9
	v_fmac_f32_e32 v11, 0x32a5705f, v2
	v_sub_f32_e32 v9, v9, v13
	v_add_f32_e32 v9, v9, v11
	v_exp_f32_e32 v9, v9
	v_cvt_i32_f32_e32 v11, v13
	v_cndmask_b32_e64 v10, v180, v10, s[38:39]
	v_add_f32_e32 v13, v7, v10
	v_cmp_ngt_f32_e64 s[38:39], s78, v2
	v_ldexp_f32 v9, v9, v11
	v_cndmask_b32_e32 v7, v7, v13, vcc
	v_cndmask_b32_e64 v9, 0, v9, s[38:39]
	v_cmp_nlt_f32_e64 s[38:39], s73, v2
	v_sub_f32_e32 v13, v3, v14
	v_lshl_add_u64 v[2:3], v[50:51], 2, s[30:31]
	v_lshl_add_u64 v[2:3], v[2:3], 0, v[32:33]
	v_cndmask_b32_e64 v3, v17, v3, s[34:35]
	v_cndmask_b32_e64 v2, v183, v2, s[34:35]
	flat_load_dwordx4 v[70:73], v[2:3]
	v_mul_f32_e32 v22, 0x3fb8aa3b, v13
	v_fma_f32 v24, v13, s4, -v22
	v_rndne_f32_e32 v25, v22
	v_fmac_f32_e32 v24, 0x32a5705f, v13
	v_sub_f32_e32 v2, v22, v25
	v_add_f32_e32 v2, v2, v24
	v_exp_f32_e32 v3, v2
	v_cvt_i32_f32_e32 v17, v25
	v_cmp_ngt_f32_e64 s[34:35], s78, v13
	v_cndmask_b32_e64 v9, v180, v9, s[38:39]
	v_mov_b32_e32 v2, s93
	v_ldexp_f32 v3, v3, v17
	v_cndmask_b32_e64 v3, 0, v3, s[34:35]
	v_cmp_nlt_f32_e64 s[34:35], s73, v13
	v_add_f32_e32 v11, v9, v7
	v_cndmask_b32_e64 v2, v2, v9, s[44:45]
	v_cndmask_b32_e64 v9, v180, v3, s[34:35]
	v_mul_f32_e32 v3, 0x3fb8aa3b, v4
	v_fma_f32 v13, v4, s4, -v3
	v_rndne_f32_e32 v17, v3
	v_fmac_f32_e32 v13, 0x32a5705f, v4
	v_sub_f32_e32 v3, v3, v17
	v_add_f32_e32 v3, v3, v13
	v_exp_f32_e32 v13, v3
	v_cvt_i32_f32_e32 v17, v17
	v_cndmask_b32_e64 v7, v7, v11, s[44:45]
	v_mov_b32_e32 v3, s93
	v_add_f32_e32 v11, v9, v7
	v_cndmask_b32_e64 v3, v3, v9, s[42:43]
	v_ldexp_f32 v9, v13, v17
	v_cmp_ngt_f32_e64 s[34:35], s78, v4
	v_cndmask_b32_e64 v7, v7, v11, s[42:43]
	v_readlane_b32 s47, v222, 12
	v_cndmask_b32_e64 v9, 0, v9, s[34:35]
	v_cmp_nlt_f32_e64 s[34:35], s73, v4
	v_mul_f32_e32 v4, 0x3fb8aa3b, v5
	v_fma_f32 v13, v5, s4, -v4
	v_rndne_f32_e32 v17, v4
	v_fmac_f32_e32 v13, 0x32a5705f, v5
	v_sub_f32_e32 v4, v4, v17
	v_add_f32_e32 v4, v4, v13
	v_exp_f32_e32 v13, v4
	v_cvt_i32_f32_e32 v17, v17
	v_cndmask_b32_e64 v9, v180, v9, s[34:35]
	v_add_f32_e32 v11, v9, v7
	v_mov_b32_e32 v4, s93
	v_cndmask_b32_e64 v7, v7, v11, s[40:41]
	v_sub_f32_e32 v11, v69, v14
	v_cndmask_b32_e64 v4, v4, v9, s[40:41]
	v_ldexp_f32 v9, v13, v17
	v_mul_f32_e32 v13, 0x3fb8aa3b, v11
	v_fma_f32 v17, v11, s4, -v13
	v_rndne_f32_e32 v18, v13
	v_fmac_f32_e32 v17, 0x32a5705f, v11
	v_sub_f32_e32 v13, v13, v18
	v_add_f32_e32 v13, v13, v17
	v_exp_f32_e32 v13, v13
	v_cvt_i32_f32_e32 v17, v18
	v_cmp_ngt_f32_e64 s[34:35], s78, v5
	s_cmp_lg_u64 s[46:47], 0
	s_cselect_b64 s[30:31], -1, 0
	v_cndmask_b32_e64 v9, 0, v9, s[34:35]
	v_cmp_nlt_f32_e64 s[34:35], s73, v5
	v_ldexp_f32 v5, v13, v17
	s_waitcnt vmcnt(0) lgkmcnt(0)
	ds_write_b128 v116, v[70:73]
	v_cndmask_b32_e64 v9, v180, v9, s[34:35]
	v_cmp_ngt_f32_e64 s[34:35], s78, v11
	v_add_f32_e32 v13, v9, v7
	v_cndmask_b32_e64 v19, v7, v13, s[36:37]
	v_cndmask_b32_e64 v5, 0, v5, s[34:35]
	v_cmp_nlt_f32_e64 s[34:35], s73, v11
	s_waitcnt lgkmcnt(0)
	s_barrier
	v_cndmask_b32_e64 v5, v180, v5, s[34:35]
	v_cmp_le_f32_e64 s[34:35], s99, v11
	s_nop 1
	v_cndmask_b32_e64 v5, 0, v5, s[34:35]
	v_cvt_f16_f32_e32 v11, v5
	v_fmac_f32_e32 v19, v12, v5
	v_mov_b32_e32 v5, s93
	v_cndmask_b32_e64 v32, v5, v9, s[36:37]
	ds_read_u16 v9, v118 offset:176
	ds_read_u16 v20, v119
	ds_read_u16 v21, v120
	;; [unrolled: 1-line block ×3, first 2 shown]
	v_mul_u32_u24_e32 v17, 0x10001, v11
	v_pk_mul_f16 v7, v98, v17
	v_pk_mul_f16 v13, v97, v17
	s_waitcnt lgkmcnt(1)
	v_perm_b32 v21, v21, v20, s94
	s_waitcnt lgkmcnt(0)
	v_perm_b32 v20, v9, v69, s94
	v_cndmask_b32_e32 v5, v5, v10, vcc
	v_cvt_f32_f16_e32 v10, v7
	v_cvt_f32_f16_sdwa v11, v7 dst_sel:DWORD dst_unused:UNUSED_PAD src0_sel:WORD_1
	v_cvt_f32_f16_e32 v12, v13
	v_cvt_f32_f16_sdwa v13, v13 dst_sel:DWORD dst_unused:UNUSED_PAD src0_sel:WORD_1
	v_cvt_pk_f16_f32 v75, v8, v5
	ds_read_u16 v69, v119 offset:32
	ds_read_u16 v70, v120 offset:32
	v_mfma_f32_16x16x16_f16 v[6:9], v[20:21], v[74:75], v[10:13]
	s_nop 2
	ds_read_u16 v10, v118 offset:5632
	ds_read_u16 v11, v119 offset:5632
	;; [unrolled: 1-line block ×4, first 2 shown]
	v_pk_mul_f16 v18, v95, v17
	v_pk_mul_f16 v22, v96, v17
	v_cvt_f16_f32_e32 v1, v6
	v_cvt_f16_f32_e32 v5, v7
	;; [unrolled: 1-line block ×4, first 2 shown]
	s_waitcnt lgkmcnt(1)
	v_perm_b32 v11, v12, v11, s94
	s_waitcnt lgkmcnt(0)
	v_perm_b32 v10, v13, v10, s94
	v_cvt_f32_f16_e32 v6, v1
	v_cvt_f32_f16_e32 v7, v5
	;; [unrolled: 1-line block ×4, first 2 shown]
	v_cvt_pk_f16_f32 v13, v4, v32
	v_cvt_pk_f16_f32 v12, v2, v3
	ds_read_u16 v1, v118 offset:32
	v_pk_mul_f16 v24, v94, v17
	v_mfma_f32_16x16x16_f16 v[2:5], v[10:11], v[12:13], v[6:9]
	v_perm_b32 v11, v70, v69, s94
	v_pk_mul_f16 v25, v93, v17
	v_pk_mul_f16 v32, v91, v17
	ds_read_u16 v9, v118 offset:208
	v_cvt_f32_f16_e32 v6, v18
	v_cvt_f32_f16_sdwa v7, v18 dst_sel:DWORD dst_unused:UNUSED_PAD src0_sel:WORD_1
	v_cvt_f32_f16_e32 v8, v22
	v_pk_mul_f16 v18, v92, v17
	s_waitcnt lgkmcnt(0)
	v_perm_b32 v10, v9, v1, s94
	v_cvt_f32_f16_sdwa v9, v22 dst_sel:DWORD dst_unused:UNUSED_PAD src0_sel:WORD_1
	v_pk_mul_f16 v69, v90, v17
	v_pk_mul_f16 v78, v23, v17
	v_mfma_f32_16x16x16_f16 v[6:9], v[10:11], v[74:75], v[6:9]
	ds_read_u16 v10, v118 offset:5664
	ds_read_u16 v11, v119 offset:5664
	;; [unrolled: 1-line block ×4, first 2 shown]
	v_cvt_f16_f32_e32 v17, v5
	v_cvt_f32_f16_e32 v70, v18
	s_nop 1
	v_cvt_f16_f32_e32 v1, v6
	v_cvt_f16_f32_e32 v7, v7
	v_cvt_f16_f32_e32 v8, v8
	v_cvt_f16_f32_e32 v9, v9
	s_waitcnt lgkmcnt(1)
	v_perm_b32 v11, v20, v11, s94
	s_waitcnt lgkmcnt(0)
	v_perm_b32 v10, v21, v10, s94
	v_cvt_f32_f16_e32 v6, v1
	v_cvt_f32_f16_e32 v7, v7
	;; [unrolled: 1-line block ×4, first 2 shown]
	v_cvt_f16_f32_e32 v1, v4
	v_cvt_f32_f16_sdwa v71, v18 dst_sel:DWORD dst_unused:UNUSED_PAD src0_sel:WORD_1
	v_mfma_f32_16x16x16_f16 v[4:7], v[10:11], v[12:13], v[6:9]
	ds_read_u16 v11, v118 offset:64
	ds_read_u16 v20, v119 offset:64
	;; [unrolled: 1-line block ×4, first 2 shown]
	v_cvt_f32_f16_e32 v8, v24
	v_cvt_f32_f16_sdwa v9, v24 dst_sel:DWORD dst_unused:UNUSED_PAD src0_sel:WORD_1
	v_cvt_f32_f16_e32 v10, v25
	s_waitcnt lgkmcnt(1)
	v_perm_b32 v23, v21, v20, s94
	s_waitcnt lgkmcnt(0)
	v_perm_b32 v22, v22, v11, s94
	v_cvt_f32_f16_sdwa v11, v25 dst_sel:DWORD dst_unused:UNUSED_PAD src0_sel:WORD_1
	v_perm_b32 v1, v17, v1, s94
	v_cvt_f16_f32_e32 v76, v7
	v_mfma_f32_16x16x16_f16 v[8:11], v[22:23], v[74:75], v[8:11]
	ds_read_u16 v17, v118 offset:5696
	ds_read_u16 v22, v119 offset:5696
	;; [unrolled: 1-line block ×4, first 2 shown]
	v_cvt_f32_f16_e32 v72, v32
	v_cvt_f32_f16_sdwa v73, v32 dst_sel:DWORD dst_unused:UNUSED_PAD src0_sel:WORD_1
	s_nop 1
	v_cvt_f16_f32_e32 v8, v8
	v_cvt_f16_f32_e32 v9, v9
	v_cvt_f16_f32_e32 v10, v10
	v_cvt_f16_f32_e32 v11, v11
	s_waitcnt lgkmcnt(1)
	v_perm_b32 v25, v23, v22, s94
	s_waitcnt lgkmcnt(0)
	v_perm_b32 v24, v24, v17, s94
	v_cvt_f32_f16_e32 v8, v8
	v_cvt_f32_f16_e32 v9, v9
	v_cvt_f32_f16_e32 v10, v10
	v_cvt_f32_f16_e32 v11, v11
	v_cvt_f16_f32_e32 v17, v6
	ds_bpermute_b32 v15, v15, v19
	v_mfma_f32_16x16x16_f16 v[6:9], v[24:25], v[12:13], v[8:11]
	s_nop 2
	ds_read_u16 v10, v118 offset:96
	ds_read_u16 v11, v119 offset:96
	;; [unrolled: 1-line block ×4, first 2 shown]
	v_perm_b32 v17, v76, v17, s94
	s_waitcnt lgkmcnt(4)
	v_add_f32_e32 v15, v19, v15
	ds_bpermute_b32 v19, v16, v15
	s_waitcnt lgkmcnt(2)
	v_perm_b32 v11, v23, v11, s94
	s_waitcnt lgkmcnt(1)
	v_perm_b32 v10, v24, v10, s94
	v_cvt_f16_f32_e32 v20, v2
	v_cvt_f16_f32_e32 v21, v3
	v_mfma_f32_16x16x16_f16 v[70:73], v[10:11], v[74:75], v[70:73]
	v_cvt_f16_f32_e32 v22, v4
	v_cvt_f16_f32_e32 v23, v5
	;; [unrolled: 1-line block ×3, first 2 shown]
	s_nop 4
	v_cvt_f16_f32_e32 v25, v73
	ds_read_u16 v32, v118 offset:5728
	ds_read_u16 v73, v119 offset:5728
	;; [unrolled: 1-line block ×4, first 2 shown]
	v_cvt_f16_f32_e32 v10, v70
	v_cvt_f16_f32_e32 v11, v71
	;; [unrolled: 1-line block ×3, first 2 shown]
	s_waitcnt lgkmcnt(4)
	v_add_f32_e32 v15, v15, v19
	v_cvt_f32_f16_e32 v70, v10
	v_cvt_f32_f16_e32 v71, v11
	s_waitcnt lgkmcnt(1)
	v_perm_b32 v11, v76, v73, s94
	s_waitcnt lgkmcnt(0)
	v_perm_b32 v10, v77, v32, s94
	v_cvt_f32_f16_e32 v72, v18
	v_cvt_f32_f16_e32 v73, v25
	v_cvt_f16_f32_e32 v18, v8
	v_cvt_f16_f32_e32 v32, v9
	v_mfma_f32_16x16x16_f16 v[8:11], v[10:11], v[12:13], v[70:73]
	s_nop 2
	ds_read_u16 v73, v118 offset:128
	ds_read_u16 v76, v119 offset:128
	;; [unrolled: 1-line block ×4, first 2 shown]
	v_cvt_f32_f16_e32 v70, v69
	v_cvt_f32_f16_sdwa v71, v69 dst_sel:DWORD dst_unused:UNUSED_PAD src0_sel:WORD_1
	v_cvt_f32_f16_e32 v72, v78
	s_waitcnt lgkmcnt(1)
	v_perm_b32 v77, v77, v76, s94
	s_waitcnt lgkmcnt(0)
	v_perm_b32 v76, v79, v73, s94
	v_cvt_f32_f16_sdwa v73, v78 dst_sel:DWORD dst_unused:UNUSED_PAD src0_sel:WORD_1
	v_perm_b32 v18, v32, v18, s94
	v_cvt_f16_f32_e32 v10, v10
	v_mfma_f32_16x16x16_f16 v[70:73], v[76:77], v[74:75], v[70:73]
	v_cvt_f16_f32_e32 v11, v11
	v_cvt_f16_f32_e32 v25, v7
	s_and_b64 s[34:35], s[96:97], s[30:31]
	v_perm_b32 v19, v21, v20, s94
	s_nop 3
	v_cvt_f16_f32_e32 v32, v73
	ds_read_u16 v69, v118 offset:5760
	ds_read_u16 v73, v119 offset:5760
	;; [unrolled: 1-line block ×4, first 2 shown]
	v_cvt_f16_f32_e32 v70, v70
	v_cvt_f16_f32_e32 v71, v71
	;; [unrolled: 1-line block ×3, first 2 shown]
	s_waitcnt lgkmcnt(1)
	v_perm_b32 v75, v74, v73, s94
	s_waitcnt lgkmcnt(0)
	v_perm_b32 v74, v76, v69, s94
	v_cvt_f32_f16_e32 v70, v70
	v_cvt_f32_f16_e32 v71, v71
	;; [unrolled: 1-line block ×4, first 2 shown]
	v_perm_b32 v32, v11, v10, s94
	v_cvt_f16_f32_e32 v69, v8
	v_mfma_f32_16x16x16_f16 v[10:13], v[74:75], v[12:13], v[70:73]
	v_cvt_f16_f32_e32 v76, v9
	v_perm_b32 v20, v25, v24, s94
	s_barrier
	s_nop 4
	v_cvt_f16_f32_e32 v70, v10
	v_cvt_f16_f32_e32 v12, v12
	v_cvt_f16_f32_e32 v13, v13
	v_cvt_f16_f32_e32 v71, v11
	v_perm_b32 v21, v76, v69, s94
	v_perm_b32 v12, v13, v12, s94
	;; [unrolled: 1-line block ×4, first 2 shown]
	s_and_saveexec_b64 s[30:31], s[34:35]
	s_cbranch_execz .LBB9_77
; %bb.76:                               ;   in Loop: Header=BB9_14 Depth=1
	v_cvt_pk_f16_f32 v4, v4, v5
	v_cvt_pk_f16_f32 v5, v6, v7
	;; [unrolled: 1-line block ×3, first 2 shown]
	global_load_dword v8, v33, s[46:47]
	v_cvt_pk_f16_f32 v3, v2, v3
	v_max_f32_e32 v9, v14, v14
	v_cvt_pk_f16_f32 v7, v10, v11
	s_waitcnt vmcnt(0)
	v_max_f32_e32 v2, v8, v8
	v_max_f32_e32 v2, v9, v2
	v_sub_f32_e32 v9, v14, v2
	v_mul_f32_e32 v10, 0x3fb8aa3b, v9
	v_fma_f32 v11, v9, s4, -v10
	v_rndne_f32_e32 v13, v10
	v_fmac_f32_e32 v11, 0x32a5705f, v9
	v_sub_f32_e32 v10, v10, v13
	v_add_f32_e32 v10, v10, v11
	v_exp_f32_e32 v10, v10
	v_cvt_i32_f32_e32 v11, v13
	v_cmp_ngt_f32_e32 vcc, s78, v9
	v_sub_f32_e32 v8, v8, v2
	v_ldexp_f32 v10, v10, v11
	v_cndmask_b32_e32 v10, 0, v10, vcc
	v_cmp_nlt_f32_e32 vcc, s73, v9
	s_nop 1
	v_cndmask_b32_e32 v10, v180, v10, vcc
	v_cmp_le_f32_e32 vcc, s99, v9
	s_nop 1
	v_cndmask_b32_e32 v9, 0, v10, vcc
	v_cvt_f16_f32_e32 v10, v9
	v_cmp_ngt_f32_e32 vcc, s78, v8
	v_mul_u32_u24_e32 v10, 0x10001, v10
	v_pk_mul_f16 v19, v3, v10
	v_mul_f32_e32 v3, 0x3fb8aa3b, v8
	v_pk_mul_f16 v13, v4, v10
	v_pk_mul_f16 v20, v5, v10
	v_fma_f32 v4, v8, s4, -v3
	v_rndne_f32_e32 v5, v3
	v_fmac_f32_e32 v4, 0x32a5705f, v8
	v_sub_f32_e32 v3, v3, v5
	v_add_f32_e32 v3, v3, v4
	v_exp_f32_e32 v3, v3
	v_cvt_i32_f32_e32 v4, v5
	v_pk_mul_f16 v1, v1, v10
	v_pk_mul_f16 v17, v17, v10
	;; [unrolled: 1-line block ×3, first 2 shown]
	v_ldexp_f32 v3, v3, v4
	v_cndmask_b32_e32 v3, 0, v3, vcc
	v_cmp_nlt_f32_e32 vcc, s73, v8
	v_pk_mul_f16 v21, v6, v10
	v_pk_mul_f16 v32, v32, v10
	v_cndmask_b32_e32 v3, v180, v3, vcc
	v_fmac_f32_e32 v3, v15, v9
	v_pk_mul_f16 v22, v7, v10
	v_pk_mul_f16 v12, v12, v10
	v_mov_b64_e32 v[14:15], v[2:3]
.LBB9_77:                               ;   in Loop: Header=BB9_14 Depth=1
	s_or_b64 exec, exec, s[30:31]
	s_mov_b64 s[30:31], exec
	v_readlane_b32 s34, v223, 56
	v_readlane_b32 s35, v223, 57
	s_and_b64 s[34:35], s[30:31], s[34:35]
	v_readlane_b32 s48, v222, 13
	s_mov_b64 exec, s[34:35]
; %bb.78:                               ;   in Loop: Header=BB9_14 Depth=1
	v_add_u32_e32 v2, 0, v140
	ds_write2_b32 v2, v14, v15 offset0:40 offset1:41
; %bb.79:                               ;   in Loop: Header=BB9_14 Depth=1
	s_or_b64 exec, exec, s[30:31]
	s_waitcnt lgkmcnt(0)
	s_barrier
	s_mov_b64 s[30:31], exec
	v_readlane_b32 s34, v223, 39
	v_readlane_b32 s35, v223, 40
	s_and_b64 s[34:35], s[30:31], s[34:35]
	s_xor_b64 s[30:31], s[34:35], s[30:31]
	s_mov_b64 exec, s[34:35]
	s_cbranch_execz .LBB9_81
; %bb.80:                               ;   in Loop: Header=BB9_14 Depth=1
	s_barrier
                                        ; implicit-def: $vgpr16
.LBB9_81:                               ;   in Loop: Header=BB9_14 Depth=1
	s_andn2_saveexec_b64 s[30:31], s[30:31]
	s_cbranch_execz .LBB9_87
; %bb.82:                               ;   in Loop: Header=BB9_14 Depth=1
	v_add_u32_e32 v3, 0, v141
	ds_read_b64 v[6:7], v3 offset:160
	s_waitcnt lgkmcnt(0)
	s_barrier
	ds_bpermute_b32 v2, v16, v6
	v_max_f32_e32 v4, v6, v6
	s_waitcnt lgkmcnt(0)
	v_max_f32_e32 v2, v2, v2
	v_max_f32_e32 v2, v4, v2
	v_sub_f32_e32 v4, v6, v2
	v_mul_f32_e32 v5, 0x3fb8aa3b, v4
	v_fma_f32 v6, v4, s4, -v5
	v_rndne_f32_e32 v8, v5
	v_fmac_f32_e32 v6, 0x32a5705f, v4
	v_sub_f32_e32 v5, v5, v8
	v_add_f32_e32 v5, v5, v6
	v_cvt_i32_f32_e32 v8, v8
	v_exp_f32_e32 v5, v5
	v_cmp_ngt_f32_e32 vcc, s78, v4
	v_ldexp_f32 v5, v5, v8
	s_nop 0
	v_cndmask_b32_e32 v5, 0, v5, vcc
	v_cmp_nlt_f32_e32 vcc, s73, v4
	s_nop 1
	v_cndmask_b32_e32 v4, v180, v5, vcc
	v_mul_f32_e32 v5, v7, v4
	ds_bpermute_b32 v5, v16, v5
	s_waitcnt lgkmcnt(0)
	v_fmac_f32_e32 v5, v7, v4
	s_mov_b64 s[34:35], exec
	v_readlane_b32 s36, v223, 58
	v_readlane_b32 s37, v223, 59
	s_and_b64 s[36:37], s[34:35], s[36:37]
	s_mov_b64 exec, s[36:37]
; %bb.83:                               ;   in Loop: Header=BB9_14 Depth=1
	ds_write_b64 v3, v[4:5] offset:160
; %bb.84:                               ;   in Loop: Header=BB9_14 Depth=1
	s_or_b64 exec, exec, s[34:35]
	s_mov_b64 s[34:35], exec
	v_readlane_b32 s36, v223, 56
	v_readlane_b32 s37, v223, 57
	s_and_b64 s[36:37], s[34:35], s[36:37]
	s_mov_b64 exec, s[36:37]
	s_cbranch_execz .LBB9_86
; %bb.85:                               ;   in Loop: Header=BB9_14 Depth=1
	v_mov_b32_e32 v3, v5
	global_store_dwordx2 v[38:39], v[2:3], off
.LBB9_86:                               ;   in Loop: Header=BB9_14 Depth=1
	s_or_b64 exec, exec, s[34:35]
.LBB9_87:                               ;   in Loop: Header=BB9_14 Depth=1
	s_or_b64 exec, exec, s[30:31]
	ds_write2_b32 v121, v19, v1 offset1:1
	ds_write2_b32 v121, v13, v17 offset0:8 offset1:9
	ds_write2_b32 v121, v20, v18 offset0:16 offset1:17
	;; [unrolled: 1-line block ×4, first 2 shown]
	s_waitcnt lgkmcnt(0)
	s_barrier
	s_and_saveexec_b64 s[34:35], s[96:97]
	s_cbranch_execz .LBB9_132
; %bb.88:                               ;   in Loop: Header=BB9_14 Depth=1
	v_add_u32_e32 v1, s83, v122
	v_cmp_gt_i32_e32 vcc, s72, v1
	v_mov_b32_e32 v2, 0x47
	s_and_saveexec_b64 s[30:31], vcc
	s_cbranch_execz .LBB9_90
; %bb.89:                               ;   in Loop: Header=BB9_14 Depth=1
	v_add_u32_e32 v4, v154, v143
	ds_read2st64_b32 v[4:5], v4 offset1:11
	v_add_u32_e32 v2, 0, v143
	v_add_u32_e32 v2, 0xa0, v2
	ds_read2st64_b32 v[2:3], v2 offset1:11
	v_readlane_b32 s36, v223, 44
	s_waitcnt lgkmcnt(1)
	v_cvt_f32_f16_e32 v8, v4
	v_cvt_f32_f16_sdwa v9, v4 dst_sel:DWORD dst_unused:UNUSED_PAD src0_sel:WORD_1
	v_cvt_f32_f16_e32 v4, v5
	v_cvt_f32_f16_sdwa v5, v5 dst_sel:DWORD dst_unused:UNUSED_PAD src0_sel:WORD_1
	v_mad_u64_u32 v[6:7], s[36:37], v1, s36, v[26:27]
	v_readlane_b32 s36, v222, 3
	v_ashrrev_i32_e32 v7, 31, v6
	v_readlane_b32 s37, v222, 4
	s_waitcnt lgkmcnt(0)
	v_pk_fma_f32 v[8:9], v[2:3], v[8:9], 0 op_sel_hi:[0,1,0]
	v_mov_b32_e32 v2, v3
	v_lshl_add_u64 v[6:7], v[6:7], 3, s[36:37]
	v_pk_fma_f32 v[2:3], v[2:3], v[4:5], v[8:9] op_sel_hi:[0,1,1]
	global_store_dwordx2 v[6:7], v[2:3], off
	v_mov_b32_e32 v2, 0
.LBB9_90:                               ;   in Loop: Header=BB9_14 Depth=1
	s_or_b64 exec, exec, s[30:31]
	s_movk_i32 s30, 0x47
	v_cmp_gt_i32_e32 vcc, s30, v2
	s_mov_b64 s[30:31], -1
	s_and_saveexec_b64 s[36:37], vcc
; %bb.91:                               ;   in Loop: Header=BB9_14 Depth=1
	v_cmp_eq_u32_e32 vcc, 0, v2
	s_orn2_b64 s[30:31], vcc, exec
; %bb.92:                               ;   in Loop: Header=BB9_14 Depth=1
	s_or_b64 exec, exec, s[36:37]
	s_and_saveexec_b64 s[36:37], s[30:31]
	s_cbranch_execz .LBB9_125
; %bb.93:                               ;   in Loop: Header=BB9_14 Depth=1
	v_add_u32_e32 v1, s83, v124
	v_cmp_gt_i32_e32 vcc, s72, v1
	v_mov_b32_e32 v2, 0x47
	s_and_saveexec_b64 s[30:31], vcc
	s_cbranch_execz .LBB9_95
; %bb.94:                               ;   in Loop: Header=BB9_14 Depth=1
	v_add_u32_e32 v4, v154, v144
	ds_read2st64_b32 v[4:5], v4 offset1:11
	v_add_u32_e32 v2, 0, v144
	v_add_u32_e32 v2, 0xa0, v2
	ds_read2st64_b32 v[2:3], v2 offset1:11
	v_readlane_b32 s38, v223, 44
	s_waitcnt lgkmcnt(1)
	v_cvt_f32_f16_e32 v8, v4
	v_cvt_f32_f16_sdwa v9, v4 dst_sel:DWORD dst_unused:UNUSED_PAD src0_sel:WORD_1
	v_cvt_f32_f16_e32 v4, v5
	v_cvt_f32_f16_sdwa v5, v5 dst_sel:DWORD dst_unused:UNUSED_PAD src0_sel:WORD_1
	v_mad_u64_u32 v[6:7], s[38:39], v1, s38, v[26:27]
	v_readlane_b32 s38, v222, 3
	v_ashrrev_i32_e32 v7, 31, v6
	v_readlane_b32 s39, v222, 4
	s_waitcnt lgkmcnt(0)
	v_pk_fma_f32 v[8:9], v[2:3], v[8:9], 0 op_sel_hi:[0,1,0]
	v_mov_b32_e32 v2, v3
	v_lshl_add_u64 v[6:7], v[6:7], 3, s[38:39]
	v_pk_fma_f32 v[2:3], v[2:3], v[4:5], v[8:9] op_sel_hi:[0,1,1]
	global_store_dwordx2 v[6:7], v[2:3], off
	v_mov_b32_e32 v2, 0
.LBB9_95:                               ;   in Loop: Header=BB9_14 Depth=1
	s_or_b64 exec, exec, s[30:31]
	s_movk_i32 s30, 0x47
	v_cmp_gt_i32_e32 vcc, s30, v2
	s_mov_b64 s[30:31], -1
	s_and_saveexec_b64 s[38:39], vcc
; %bb.96:                               ;   in Loop: Header=BB9_14 Depth=1
	v_cmp_eq_u32_e32 vcc, 0, v2
	s_orn2_b64 s[30:31], vcc, exec
; %bb.97:                               ;   in Loop: Header=BB9_14 Depth=1
	s_or_b64 exec, exec, s[38:39]
	s_and_b64 exec, exec, s[30:31]
	s_cbranch_execz .LBB9_125
; %bb.98:                               ;   in Loop: Header=BB9_14 Depth=1
	v_add_u32_e32 v1, s83, v125
	v_cmp_gt_i32_e32 vcc, s72, v1
	v_mov_b32_e32 v2, 0x47
	s_and_saveexec_b64 s[30:31], vcc
	s_cbranch_execz .LBB9_100
; %bb.99:                               ;   in Loop: Header=BB9_14 Depth=1
	v_add_u32_e32 v4, v154, v145
	ds_read2st64_b32 v[4:5], v4 offset1:11
	v_add_u32_e32 v2, 0, v145
	v_add_u32_e32 v2, 0xa0, v2
	ds_read2st64_b32 v[2:3], v2 offset1:11
	v_readlane_b32 s38, v223, 44
	s_waitcnt lgkmcnt(1)
	v_cvt_f32_f16_e32 v8, v4
	v_cvt_f32_f16_sdwa v9, v4 dst_sel:DWORD dst_unused:UNUSED_PAD src0_sel:WORD_1
	v_cvt_f32_f16_e32 v4, v5
	v_cvt_f32_f16_sdwa v5, v5 dst_sel:DWORD dst_unused:UNUSED_PAD src0_sel:WORD_1
	v_mad_u64_u32 v[6:7], s[38:39], v1, s38, v[26:27]
	v_readlane_b32 s38, v222, 3
	v_ashrrev_i32_e32 v7, 31, v6
	v_readlane_b32 s39, v222, 4
	s_waitcnt lgkmcnt(0)
	v_pk_fma_f32 v[8:9], v[2:3], v[8:9], 0 op_sel_hi:[0,1,0]
	v_mov_b32_e32 v2, v3
	v_lshl_add_u64 v[6:7], v[6:7], 3, s[38:39]
	v_pk_fma_f32 v[2:3], v[2:3], v[4:5], v[8:9] op_sel_hi:[0,1,1]
	global_store_dwordx2 v[6:7], v[2:3], off
	v_mov_b32_e32 v2, 0
.LBB9_100:                              ;   in Loop: Header=BB9_14 Depth=1
	s_or_b64 exec, exec, s[30:31]
	s_movk_i32 s30, 0x47
	v_cmp_gt_i32_e32 vcc, s30, v2
	s_mov_b64 s[30:31], -1
	s_and_saveexec_b64 s[38:39], vcc
; %bb.101:                              ;   in Loop: Header=BB9_14 Depth=1
	v_cmp_eq_u32_e32 vcc, 0, v2
	s_orn2_b64 s[30:31], vcc, exec
; %bb.102:                              ;   in Loop: Header=BB9_14 Depth=1
	s_or_b64 exec, exec, s[38:39]
	s_and_b64 exec, exec, s[30:31]
	s_cbranch_execz .LBB9_125
; %bb.103:                              ;   in Loop: Header=BB9_14 Depth=1
	v_add_u32_e32 v1, s83, v126
	v_cmp_gt_i32_e32 vcc, s72, v1
	v_mov_b32_e32 v2, 0x47
	s_and_saveexec_b64 s[30:31], vcc
	s_cbranch_execz .LBB9_105
; %bb.104:                              ;   in Loop: Header=BB9_14 Depth=1
	v_add_u32_e32 v4, v154, v146
	ds_read2st64_b32 v[4:5], v4 offset1:11
	v_add_u32_e32 v2, 0, v146
	v_add_u32_e32 v2, 0xa0, v2
	ds_read2st64_b32 v[2:3], v2 offset1:11
	v_readlane_b32 s38, v223, 44
	s_waitcnt lgkmcnt(1)
	v_cvt_f32_f16_e32 v8, v4
	v_cvt_f32_f16_sdwa v9, v4 dst_sel:DWORD dst_unused:UNUSED_PAD src0_sel:WORD_1
	v_cvt_f32_f16_e32 v4, v5
	v_cvt_f32_f16_sdwa v5, v5 dst_sel:DWORD dst_unused:UNUSED_PAD src0_sel:WORD_1
	v_mad_u64_u32 v[6:7], s[38:39], v1, s38, v[26:27]
	v_readlane_b32 s38, v222, 3
	v_ashrrev_i32_e32 v7, 31, v6
	v_readlane_b32 s39, v222, 4
	s_waitcnt lgkmcnt(0)
	v_pk_fma_f32 v[8:9], v[2:3], v[8:9], 0 op_sel_hi:[0,1,0]
	v_mov_b32_e32 v2, v3
	v_lshl_add_u64 v[6:7], v[6:7], 3, s[38:39]
	v_pk_fma_f32 v[2:3], v[2:3], v[4:5], v[8:9] op_sel_hi:[0,1,1]
	global_store_dwordx2 v[6:7], v[2:3], off
	v_mov_b32_e32 v2, 0
.LBB9_105:                              ;   in Loop: Header=BB9_14 Depth=1
	s_or_b64 exec, exec, s[30:31]
	s_movk_i32 s30, 0x47
	v_cmp_gt_i32_e32 vcc, s30, v2
	s_mov_b64 s[30:31], -1
	s_and_saveexec_b64 s[38:39], vcc
; %bb.106:                              ;   in Loop: Header=BB9_14 Depth=1
	v_cmp_eq_u32_e32 vcc, 0, v2
	s_orn2_b64 s[30:31], vcc, exec
; %bb.107:                              ;   in Loop: Header=BB9_14 Depth=1
	s_or_b64 exec, exec, s[38:39]
	s_and_b64 exec, exec, s[30:31]
	s_cbranch_execz .LBB9_125
; %bb.108:                              ;   in Loop: Header=BB9_14 Depth=1
	v_add_u32_e32 v1, s83, v127
	v_cmp_gt_i32_e32 vcc, s72, v1
	v_mov_b32_e32 v2, 0x47
	s_and_saveexec_b64 s[30:31], vcc
	s_cbranch_execz .LBB9_110
; %bb.109:                              ;   in Loop: Header=BB9_14 Depth=1
	v_add_u32_e32 v4, v154, v147
	ds_read2st64_b32 v[4:5], v4 offset1:11
	v_add_u32_e32 v2, 0, v147
	v_add_u32_e32 v2, 0xa0, v2
	ds_read2st64_b32 v[2:3], v2 offset1:11
	v_readlane_b32 s38, v223, 44
	s_waitcnt lgkmcnt(1)
	v_cvt_f32_f16_e32 v8, v4
	v_cvt_f32_f16_sdwa v9, v4 dst_sel:DWORD dst_unused:UNUSED_PAD src0_sel:WORD_1
	v_cvt_f32_f16_e32 v4, v5
	v_cvt_f32_f16_sdwa v5, v5 dst_sel:DWORD dst_unused:UNUSED_PAD src0_sel:WORD_1
	v_mad_u64_u32 v[6:7], s[38:39], v1, s38, v[26:27]
	v_readlane_b32 s38, v222, 3
	v_ashrrev_i32_e32 v7, 31, v6
	v_readlane_b32 s39, v222, 4
	s_waitcnt lgkmcnt(0)
	v_pk_fma_f32 v[8:9], v[2:3], v[8:9], 0 op_sel_hi:[0,1,0]
	v_mov_b32_e32 v2, v3
	v_lshl_add_u64 v[6:7], v[6:7], 3, s[38:39]
	v_pk_fma_f32 v[2:3], v[2:3], v[4:5], v[8:9] op_sel_hi:[0,1,1]
	global_store_dwordx2 v[6:7], v[2:3], off
	v_mov_b32_e32 v2, 0
.LBB9_110:                              ;   in Loop: Header=BB9_14 Depth=1
	;; [unrolled: 42-line block ×4, first 2 shown]
	s_or_b64 exec, exec, s[30:31]
	s_movk_i32 s30, 0x47
	v_cmp_gt_i32_e32 vcc, s30, v2
	s_mov_b64 s[30:31], -1
	s_and_saveexec_b64 s[38:39], vcc
; %bb.121:                              ;   in Loop: Header=BB9_14 Depth=1
	v_cmp_eq_u32_e32 vcc, 0, v2
	s_orn2_b64 s[30:31], vcc, exec
; %bb.122:                              ;   in Loop: Header=BB9_14 Depth=1
	s_or_b64 exec, exec, s[38:39]
	s_and_b64 exec, exec, s[30:31]
	s_cbranch_execz .LBB9_125
; %bb.123:                              ;   in Loop: Header=BB9_14 Depth=1
	v_add_u32_e32 v1, s83, v130
	v_cmp_gt_i32_e32 vcc, s72, v1
	s_and_b64 exec, exec, vcc
	s_cbranch_execz .LBB9_125
; %bb.124:                              ;   in Loop: Header=BB9_14 Depth=1
	v_add_u32_e32 v4, v154, v150
	ds_read2st64_b32 v[4:5], v4 offset1:11
	v_add_u32_e32 v2, 0, v150
	v_add_u32_e32 v2, 0xa0, v2
	ds_read2st64_b32 v[2:3], v2 offset1:11
	v_readlane_b32 s30, v223, 44
	s_waitcnt lgkmcnt(1)
	v_cvt_f32_f16_e32 v8, v4
	v_cvt_f32_f16_sdwa v9, v4 dst_sel:DWORD dst_unused:UNUSED_PAD src0_sel:WORD_1
	v_cvt_f32_f16_e32 v4, v5
	v_cvt_f32_f16_sdwa v5, v5 dst_sel:DWORD dst_unused:UNUSED_PAD src0_sel:WORD_1
	v_mad_u64_u32 v[6:7], s[30:31], v1, s30, v[26:27]
	v_readlane_b32 s30, v222, 3
	v_ashrrev_i32_e32 v7, 31, v6
	v_readlane_b32 s31, v222, 4
	s_waitcnt lgkmcnt(0)
	v_pk_fma_f32 v[8:9], v[2:3], v[8:9], 0 op_sel_hi:[0,1,0]
	v_mov_b32_e32 v2, v3
	v_lshl_add_u64 v[6:7], v[6:7], 3, s[30:31]
	v_pk_fma_f32 v[2:3], v[2:3], v[4:5], v[8:9] op_sel_hi:[0,1,1]
	global_store_dwordx2 v[6:7], v[2:3], off
.LBB9_125:                              ;   in Loop: Header=BB9_14 Depth=1
	s_or_b64 exec, exec, s[36:37]
	v_add_u32_e32 v2, s83, v123
	v_cmp_gt_i32_e32 vcc, s72, v2
	v_mov_b32_e32 v1, 0x47
	s_and_saveexec_b64 s[30:31], vcc
	s_cbranch_execz .LBB9_127
; %bb.126:                              ;   in Loop: Header=BB9_14 Depth=1
	v_add_u32_e32 v1, 0, v151
	v_add_u32_e32 v1, 0xa0, v1
	ds_read2st64_b32 v[4:5], v1 offset1:11
	v_add_u32_e32 v1, v142, v151
	v_add_u32_e32 v1, 0x80, v1
	ds_read2st64_b32 v[6:7], v1 offset1:11
	v_readlane_b32 s36, v223, 44
	v_mov_b32_e32 v1, 0
	s_waitcnt lgkmcnt(0)
	v_cvt_f32_f16_e32 v8, v6
	v_cvt_f32_f16_sdwa v9, v6 dst_sel:DWORD dst_unused:UNUSED_PAD src0_sel:WORD_1
	v_cvt_f32_f16_e32 v6, v7
	v_cvt_f32_f16_sdwa v7, v7 dst_sel:DWORD dst_unused:UNUSED_PAD src0_sel:WORD_1
	v_mul_lo_u32 v2, v2, s36
	v_ashrrev_i32_e32 v3, 31, v2
	v_readlane_b32 s36, v222, 3
	v_lshl_add_u64 v[2:3], v[2:3], 0, v[28:29]
	v_readlane_b32 s37, v222, 4
	v_pk_fma_f32 v[8:9], v[4:5], v[8:9], 0 op_sel_hi:[0,1,0]
	v_mov_b32_e32 v4, v5
	v_lshl_add_u64 v[2:3], v[2:3], 3, s[36:37]
	v_pk_fma_f32 v[4:5], v[4:5], v[6:7], v[8:9] op_sel_hi:[0,1,1]
	global_store_dwordx2 v[2:3], v[4:5], off offset:256
.LBB9_127:                              ;   in Loop: Header=BB9_14 Depth=1
	s_or_b64 exec, exec, s[30:31]
	s_movk_i32 s30, 0x47
	v_cmp_gt_i32_e32 vcc, s30, v1
	s_mov_b64 s[30:31], -1
	s_and_saveexec_b64 s[36:37], vcc
; %bb.128:                              ;   in Loop: Header=BB9_14 Depth=1
	v_cmp_eq_u32_e32 vcc, 0, v1
	s_orn2_b64 s[30:31], vcc, exec
; %bb.129:                              ;   in Loop: Header=BB9_14 Depth=1
	s_or_b64 exec, exec, s[36:37]
	s_and_b64 exec, exec, s[30:31]
	s_cbranch_execz .LBB9_132
; %bb.130:                              ;   in Loop: Header=BB9_14 Depth=1
	v_add_u32_e32 v1, s83, v131
	v_cmp_gt_i32_e32 vcc, s72, v1
	s_and_b64 exec, exec, vcc
	s_cbranch_execz .LBB9_132
; %bb.131:                              ;   in Loop: Header=BB9_14 Depth=1
	v_readlane_b32 s30, v223, 44
	s_nop 1
	v_mul_lo_u32 v2, v1, s30
	v_add_u32_e32 v1, 0, v152
	v_add_u32_e32 v1, 0xa0, v1
	ds_read2st64_b32 v[4:5], v1 offset1:11
	v_add_u32_e32 v1, v142, v152
	v_add_u32_e32 v1, 0x80, v1
	ds_read2st64_b32 v[6:7], v1 offset1:11
	v_ashrrev_i32_e32 v3, 31, v2
	v_readlane_b32 s30, v222, 3
	v_lshl_add_u64 v[2:3], v[2:3], 0, v[28:29]
	v_readlane_b32 s31, v222, 4
	s_waitcnt lgkmcnt(0)
	v_cvt_f32_f16_e32 v8, v6
	v_cvt_f32_f16_sdwa v9, v6 dst_sel:DWORD dst_unused:UNUSED_PAD src0_sel:WORD_1
	v_cvt_f32_f16_e32 v6, v7
	v_cvt_f32_f16_sdwa v7, v7 dst_sel:DWORD dst_unused:UNUSED_PAD src0_sel:WORD_1
	v_lshl_add_u64 v[2:3], v[2:3], 3, s[30:31]
	v_pk_fma_f32 v[8:9], v[4:5], v[8:9], 0 op_sel_hi:[0,1,0]
	v_mov_b32_e32 v4, v5
	v_pk_fma_f32 v[4:5], v[4:5], v[6:7], v[8:9] op_sel_hi:[0,1,1]
	global_store_dwordx2 v[2:3], v[4:5], off offset:256
.LBB9_132:                              ;   in Loop: Header=BB9_14 Depth=1
	s_or_b64 exec, exec, s[34:35]
	s_barrier
	s_branch .LBB9_13
.LBB9_133:                              ;   in Loop: Header=BB9_14 Depth=1
	s_lshl_b32 s77, s48, 5
	v_add_u32_e32 v1, s77, v31
	v_cmp_le_i32_e32 vcc, s72, v1
	s_and_saveexec_b64 s[30:31], vcc
	s_xor_b64 s[30:31], exec, s[30:31]
; %bb.134:                              ;   in Loop: Header=BB9_14 Depth=1
	v_add_u32_e32 v1, v154, v174
	ds_write_b32 v1, v33
                                        ; implicit-def: $vgpr1
; %bb.135:                              ;   in Loop: Header=BB9_14 Depth=1
	s_andn2_saveexec_b64 s[30:31], s[30:31]
	s_cbranch_execz .LBB9_137
; %bb.136:                              ;   in Loop: Header=BB9_14 Depth=1
	v_readlane_b32 s34, v223, 17
	s_nop 1
	v_mad_u64_u32 v[2:3], s[34:35], v1, s34, v[26:27]
	v_ashrrev_i32_e32 v3, 31, v2
	v_lshl_add_u64 v[2:3], v[2:3], 3, s[52:53]
	global_load_dwordx2 v[2:3], v[2:3], off
	s_waitcnt vmcnt(0)
	v_cvt_pk_f16_f32 v1, v2, v3
	v_pk_mul_f16 v1, v1, v153
	v_add_u32_e32 v2, v154, v174
	ds_write_b32 v2, v1
.LBB9_137:                              ;   in Loop: Header=BB9_14 Depth=1
	s_or_b64 exec, exec, s[30:31]
	v_add_u32_e32 v1, s77, v175
	v_cmp_le_i32_e32 vcc, s72, v1
	s_and_saveexec_b64 s[30:31], vcc
	s_xor_b64 s[30:31], exec, s[30:31]
; %bb.138:                              ;   in Loop: Header=BB9_14 Depth=1
	v_add_u32_e32 v1, v154, v174
	ds_write_b32 v1, v33 offset:1408
                                        ; implicit-def: $vgpr1
; %bb.139:                              ;   in Loop: Header=BB9_14 Depth=1
	s_andn2_saveexec_b64 s[30:31], s[30:31]
	s_cbranch_execz .LBB9_141
; %bb.140:                              ;   in Loop: Header=BB9_14 Depth=1
	v_readlane_b32 s34, v223, 17
	s_nop 1
	v_mad_u64_u32 v[2:3], s[34:35], v1, s34, v[26:27]
	v_ashrrev_i32_e32 v3, 31, v2
	v_lshl_add_u64 v[2:3], v[2:3], 3, s[52:53]
	global_load_dwordx2 v[2:3], v[2:3], off
	s_waitcnt vmcnt(0)
	v_cvt_pk_f16_f32 v1, v2, v3
	v_pk_mul_f16 v1, v1, v153
	v_add_u32_e32 v2, v154, v174
	ds_write_b32 v2, v1 offset:1408
.LBB9_141:                              ;   in Loop: Header=BB9_14 Depth=1
	s_or_b64 exec, exec, s[30:31]
	v_add_u32_e32 v1, s77, v176
	v_cmp_le_i32_e32 vcc, s72, v1
	s_and_saveexec_b64 s[30:31], vcc
	s_xor_b64 s[30:31], exec, s[30:31]
; %bb.142:                              ;   in Loop: Header=BB9_14 Depth=1
	v_add_u32_e32 v1, v154, v174
	ds_write_b32 v1, v33 offset:2816
                                        ; implicit-def: $vgpr1
; %bb.143:                              ;   in Loop: Header=BB9_14 Depth=1
	s_andn2_saveexec_b64 s[30:31], s[30:31]
	s_cbranch_execz .LBB9_145
; %bb.144:                              ;   in Loop: Header=BB9_14 Depth=1
	v_readlane_b32 s34, v223, 17
	s_nop 1
	v_mad_u64_u32 v[2:3], s[34:35], v1, s34, v[26:27]
	v_ashrrev_i32_e32 v3, 31, v2
	v_lshl_add_u64 v[2:3], v[2:3], 3, s[52:53]
	global_load_dwordx2 v[2:3], v[2:3], off
	s_waitcnt vmcnt(0)
	v_cvt_pk_f16_f32 v1, v2, v3
	v_pk_mul_f16 v1, v1, v153
	v_add_u32_e32 v2, v154, v174
	ds_write_b32 v2, v1 offset:2816
.LBB9_145:                              ;   in Loop: Header=BB9_14 Depth=1
	;; [unrolled: 25-line block ×3, first 2 shown]
	s_or_b64 exec, exec, s[30:31]
	v_add_u32_e32 v1, s77, v37
	v_cmp_le_i32_e32 vcc, s72, v1
	s_and_saveexec_b64 s[30:31], vcc
	s_xor_b64 s[30:31], exec, s[30:31]
; %bb.150:                              ;   in Loop: Header=BB9_14 Depth=1
	ds_write_b32 v110, v33 offset:128
                                        ; implicit-def: $vgpr1
; %bb.151:                              ;   in Loop: Header=BB9_14 Depth=1
	s_andn2_saveexec_b64 s[30:31], s[30:31]
	s_cbranch_execz .LBB9_153
; %bb.152:                              ;   in Loop: Header=BB9_14 Depth=1
	v_readlane_b32 s34, v223, 17
	s_nop 1
	v_mul_lo_u32 v2, v1, s34
	v_ashrrev_i32_e32 v3, 31, v2
	v_lshl_add_u64 v[2:3], v[2:3], 0, v[28:29]
	v_lshl_add_u64 v[2:3], v[2:3], 3, s[52:53]
	global_load_dwordx2 v[2:3], v[2:3], off offset:256
	s_waitcnt vmcnt(0)
	v_cvt_pk_f16_f32 v1, v2, v3
	v_pk_mul_f16 v1, v1, v153
	ds_write_b32 v110, v1 offset:128
.LBB9_153:                              ;   in Loop: Header=BB9_14 Depth=1
	s_or_b64 exec, exec, s[30:31]
	s_waitcnt lgkmcnt(0)
	s_barrier
	ds_read2_b64 v[6:9], v112 offset1:4
	ds_read2_b64 v[2:5], v112 offset0:8 offset1:12
	ds_read_b64 v[70:71], v112 offset:128
	s_cmp_lt_i32 s79, 2
	s_waitcnt lgkmcnt(0)
	s_barrier
	s_cbranch_scc1 .LBB9_168
; %bb.154:                              ;   in Loop: Header=BB9_14 Depth=1
	v_add_u32_e32 v1, s77, v27
	v_mul_hi_u32 v10, s86, v1
	v_add_u32_e32 v10, v1, v10
	v_lshrrev_b32_e32 v10, s87, v10
	v_mul_lo_u32 v10, v10, s72
	v_sub_u32_e32 v1, v1, v10
	v_add_u32_e32 v10, s77, v155
	v_mul_hi_u32 v11, s86, v10
	v_add_u32_e32 v11, v10, v11
	v_lshrrev_b32_e32 v11, s87, v11
	v_mul_lo_u32 v11, v11, s72
	v_sub_u32_e32 v12, v10, v11
	;; [unrolled: 6-line block ×8, first 2 shown]
	v_and_b32_e32 v10, 64, v182
	v_add_u32_e32 v10, 64, v10
	v_xor_b32_e32 v11, 32, v182
	v_cmp_lt_i32_e32 vcc, v11, v10
	v_readlane_b32 s30, v223, 62
	v_readlane_b32 s31, v223, 63
	v_cndmask_b32_e32 v11, v182, v11, vcc
	v_lshlrev_b32_e32 v32, 2, v11
	v_xor_b32_e32 v11, 16, v182
	v_cmp_lt_i32_e32 vcc, v11, v10
	s_mov_b32 s34, s30
	s_add_i32 s38, s79, -1
	v_cndmask_b32_e32 v10, v182, v11, vcc
	v_lshlrev_b32_e32 v185, 2, v10
	v_mov_b64_e32 v[10:11], s[2:3]
	v_mad_i64_i32 v[74:75], s[30:31], s34, v1, v[10:11]
	v_mad_i64_i32 v[76:77], s[30:31], s34, v12, v[10:11]
	;; [unrolled: 1-line block ×8, first 2 shown]
	s_cmp_lg_u64 s[2:3], 0
	v_readlane_b32 s30, v222, 5
	s_cselect_b64 s[36:37], -1, 0
	s_add_u32 s30, s30, s92
	v_readlane_b32 s31, v222, 6
	v_readlane_b32 s34, v222, 7
	s_addc_u32 s31, s31, s34
	v_lshl_add_u64 v[90:91], v[54:55], 0, s[30:31]
	v_lshl_add_u64 v[92:93], v[60:61], 0, s[30:31]
	;; [unrolled: 1-line block ×3, first 2 shown]
	v_readlane_b32 s30, v222, 8
	s_add_u32 s30, s30, s82
	v_readlane_b32 s31, v222, 9
	v_readlane_b32 s34, v222, 10
	s_addc_u32 s31, s31, s34
	v_mov_b32_e32 v72, v68
	v_mov_b32_e32 v73, v68
	v_lshl_add_u64 v[96:97], v[64:65], 0, s[30:31]
	v_lshl_add_u64 v[98:99], v[66:67], 0, s[30:31]
	;; [unrolled: 1-line block ×3, first 2 shown]
	v_mov_b32_e32 v102, 0
	v_mov_b32_e32 v23, 0xfeffffff
	;; [unrolled: 1-line block ×3, first 2 shown]
	s_mov_b32 s39, s38
	v_mov_b32_e32 v104, 0
	v_mov_b32_e32 v187, 0
	;; [unrolled: 1-line block ×9, first 2 shown]
	v_cndmask_b32_e64 v1, 0, 1, s[36:37]
	v_cmp_ne_u32_e64 s[34:35], 1, v1
	s_andn2_b64 vcc, exec, s[36:37]
	s_cbranch_vccnz .LBB9_160
.LBB9_155:                              ;   in Loop: Header=BB9_14 Depth=1
	s_and_saveexec_b64 s[30:31], s[0:1]
	s_xor_b64 s[30:31], exec, s[30:31]
	s_cbranch_execz .LBB9_157
; %bb.156:                              ;   in Loop: Header=BB9_14 Depth=1
	ds_write_b16 v132, v33 offset:11264
	ds_write_b16 v156, v33 offset:11264
	;; [unrolled: 1-line block ×4, first 2 shown]
.LBB9_157:                              ;   in Loop: Header=BB9_14 Depth=1
	s_or_saveexec_b64 s[30:31], s[30:31]
	v_mov_b32_e32 v1, 0
	v_mov_b32_e32 v10, 0
	;; [unrolled: 1-line block ×4, first 2 shown]
	s_xor_b64 exec, exec, s[30:31]
	s_cbranch_execz .LBB9_159
; %bb.158:                              ;   in Loop: Header=BB9_14 Depth=1
	v_lshl_add_u64 v[10:11], v[74:75], 0, v[40:41]
	global_load_ushort v1, v[10:11], off
	v_lshl_add_u64 v[10:11], v[76:77], 0, v[40:41]
	global_load_ushort v12, v[10:11], off
	;; [unrolled: 2-line block ×4, first 2 shown]
	s_waitcnt vmcnt(3)
	ds_write_b16 v132, v1 offset:11264
	s_waitcnt vmcnt(2)
	ds_write_b16 v156, v12 offset:11264
	;; [unrolled: 2-line block ×4, first 2 shown]
	v_lshl_add_u64 v[10:11], v[82:83], 0, v[40:41]
	global_load_ushort v1, v[10:11], off
	v_lshl_add_u64 v[10:11], v[84:85], 0, v[40:41]
	v_lshl_add_u64 v[12:13], v[86:87], 0, v[40:41]
	global_load_ushort v10, v[10:11], off
	s_nop 0
	global_load_ushort v11, v[12:13], off
	v_lshl_add_u64 v[12:13], v[88:89], 0, v[40:41]
	global_load_ushort v12, v[12:13], off
.LBB9_159:                              ;   in Loop: Header=BB9_14 Depth=1
	s_or_b64 exec, exec, s[30:31]
	s_waitcnt vmcnt(3)
	ds_write_b16 v162, v1 offset:11264
	s_waitcnt vmcnt(2)
	ds_write_b16 v164, v10 offset:11264
	;; [unrolled: 2-line block ×4, first 2 shown]
.LBB9_160:                              ;   Parent Loop BB9_14 Depth=1
                                        ; =>  This Inner Loop Header: Depth=2
	scratch_store_dwordx4 off, v[190:193], off
	s_and_saveexec_b64 s[30:31], s[6:7]
	s_cbranch_execz .LBB9_162
; %bb.161:                              ;   in Loop: Header=BB9_160 Depth=2
	global_load_dwordx4 v[10:13], v[100:101], off
	s_waitcnt vmcnt(0)
	ds_write_b128 v117, v[10:13]
.LBB9_162:                              ;   in Loop: Header=BB9_160 Depth=2
	s_or_b64 exec, exec, s[30:31]
	v_lshl_add_u64 v[10:11], v[96:97], 0, v[56:57]
	v_mov_b32_e32 v1, s5
	v_cndmask_b32_e64 v11, v1, v11, s[8:9]
	v_cndmask_b32_e64 v10, v183, v10, s[8:9]
	v_lshl_add_u64 v[12:13], v[98:99], 0, v[56:57]
	v_cndmask_b32_e64 v15, v1, v13, s[10:11]
	v_cndmask_b32_e64 v14, v183, v12, s[10:11]
	flat_load_dwordx4 v[10:13], v[10:11]
	v_add_u32_e32 v1, v111, v134
	v_add_u32_e32 v24, 0x1000, v1
	s_and_b64 vcc, exec, s[34:35]
	s_waitcnt vmcnt(0) lgkmcnt(0)
	ds_write_b128 v114, v[10:13]
	flat_load_dwordx4 v[10:13], v[14:15]
	s_waitcnt vmcnt(0) lgkmcnt(0)
	ds_write_b128 v116, v[10:13]
	s_waitcnt lgkmcnt(0)
	s_barrier
	ds_read2_b64 v[10:13], v1 offset1:4
	s_waitcnt lgkmcnt(0)
	v_mfma_f32_16x16x16_f16 v[14:17], v[10:11], v[6:7], 0
	v_mfma_f32_16x16x16_f16 v[10:13], v[12:13], v[8:9], v[14:17]
	s_nop 6
	ds_read2_b64 v[14:17], v1 offset0:8 offset1:12
	s_waitcnt lgkmcnt(0)
	v_mfma_f32_16x16x16_f16 v[10:13], v[14:15], v[2:3], v[10:13]
	ds_read_b64 v[14:15], v1 offset:128
	v_mfma_f32_16x16x16_f16 v[10:13], v[16:17], v[4:5], v[10:13]
	s_waitcnt lgkmcnt(0)
	v_mfma_f32_16x16x16_f16 v[10:13], v[14:15], v[70:71], v[10:13]
	ds_read2_b64 v[14:17], v24 offset0:192 offset1:196
	s_waitcnt lgkmcnt(0)
	v_mfma_f32_16x16x16_f16 v[194:197], v[14:15], v[6:7], 0
	v_mfma_f32_16x16x16_f16 v[14:17], v[16:17], v[8:9], v[194:197]
	s_nop 6
	ds_read2_b64 v[194:197], v24 offset0:200 offset1:204
	ds_read_b64 v[24:25], v1 offset:5760
	s_waitcnt lgkmcnt(1)
	v_mfma_f32_16x16x16_f16 v[14:17], v[194:195], v[2:3], v[14:17]
	s_waitcnt lgkmcnt(0)
	s_barrier
	v_mfma_f32_16x16x16_f16 v[14:17], v[196:197], v[4:5], v[14:17]
	v_mfma_f32_16x16x16_f16 v[14:17], v[24:25], v[70:71], v[14:17]
	s_cbranch_vccnz .LBB9_164
; %bb.163:                              ;   in Loop: Header=BB9_160 Depth=2
	v_add_u32_e32 v1, 0x2c00, v135
	ds_read2_b32 v[24:25], v1 offset1:1
	ds_read_b32 v1, v137 offset:11264
	v_mov_b32_e32 v69, v68
	s_waitcnt lgkmcnt(1)
	v_cvt_f32_f16_e32 v188, v24
	v_cvt_f32_f16_sdwa v189, v24 dst_sel:DWORD dst_unused:UNUSED_PAD src0_sel:WORD_1
	v_cvt_f32_f16_e32 v24, v25
	v_cvt_f32_f16_sdwa v25, v25 dst_sel:DWORD dst_unused:UNUSED_PAD src0_sel:WORD_1
	v_pk_fma_f32 v[10:11], v[72:73], v[188:189], v[10:11]
	v_pk_fma_f32 v[12:13], v[68:69], v[24:25], v[12:13]
	s_waitcnt lgkmcnt(0)
	v_cvt_f32_f16_sdwa v25, v1 dst_sel:DWORD dst_unused:UNUSED_PAD src0_sel:WORD_1
	v_cvt_f32_f16_e32 v24, v1
	ds_read_b32 v1, v139 offset:11264
	v_pk_fma_f32 v[14:15], v[72:73], v[24:25], v[14:15]
	s_waitcnt lgkmcnt(0)
	v_cvt_f32_f16_sdwa v189, v1 dst_sel:DWORD dst_unused:UNUSED_PAD src0_sel:WORD_1
	v_cvt_f32_f16_e32 v188, v1
	v_pk_fma_f32 v[16:17], v[68:69], v[188:189], v[16:17]
.LBB9_164:                              ;   in Loop: Header=BB9_160 Depth=2
	v_add_f32_e32 v1, 0x40051340, v10
	v_max_f32_e32 v24, v23, v23
	v_max_f32_e32 v1, v24, v1
	v_cndmask_b32_e64 v1, v23, v1, s[12:13]
	v_add_f32_e32 v24, 0x40051340, v11
	v_max_f32_e32 v25, v1, v1
	v_max_f32_e32 v24, v25, v24
	v_cndmask_b32_e64 v1, v1, v24, s[14:15]
	v_add_f32_e32 v24, 0x40051340, v12
	v_max_f32_e32 v25, v1, v1
	v_max_f32_e32 v24, v25, v24
	v_cndmask_b32_e64 v1, v1, v24, s[16:17]
	v_add_f32_e32 v24, 0x40051340, v13
	v_max_f32_e32 v25, v1, v1
	v_max_f32_e32 v24, v25, v24
	v_cndmask_b32_e64 v1, v1, v24, s[18:19]
	v_add_f32_e32 v24, 0x40051340, v14
	v_max_f32_e32 v25, v1, v1
	v_max_f32_e32 v24, v25, v24
	v_cndmask_b32_e64 v1, v1, v24, s[20:21]
	v_add_f32_e32 v24, 0x40051340, v15
	v_max_f32_e32 v25, v1, v1
	v_max_f32_e32 v24, v25, v24
	v_cndmask_b32_e64 v1, v1, v24, s[22:23]
	v_add_f32_e32 v24, 0x40051340, v16
	v_max_f32_e32 v25, v1, v1
	v_max_f32_e32 v24, v25, v24
	v_cndmask_b32_e64 v1, v1, v24, s[24:25]
	v_add_f32_e32 v24, 0x40051340, v17
	v_max_f32_e32 v25, v1, v1
	v_max_f32_e32 v24, v25, v24
	v_cndmask_b32_e64 v1, v1, v24, s[26:27]
	ds_bpermute_b32 v24, v32, v1
	v_max_f32_e32 v1, v1, v1
	scratch_store_dwordx4 off, v[190:193], off
	s_waitcnt lgkmcnt(0)
	v_max_f32_e32 v24, v24, v24
	v_max_f32_e32 v1, v1, v24
	ds_bpermute_b32 v24, v185, v1
	s_and_saveexec_b64 s[30:31], s[6:7]
	s_cbranch_execz .LBB9_166
; %bb.165:                              ;   in Loop: Header=BB9_160 Depth=2
	global_load_dwordx4 v[194:197], v[90:91], off
	s_waitcnt vmcnt(0)
	ds_write_b128 v117, v[194:197]
.LBB9_166:                              ;   in Loop: Header=BB9_160 Depth=2
	s_or_b64 exec, exec, s[30:31]
	s_waitcnt lgkmcnt(0)
	v_max_f32_e32 v24, v24, v24
	v_max_f32_e32 v1, v1, v1
	;; [unrolled: 1-line block ×3, first 2 shown]
	v_sub_f32_e32 v1, v10, v69
	v_mul_f32_e32 v10, 0x3fb8aa3b, v1
	v_fma_f32 v24, v1, s4, -v10
	v_rndne_f32_e32 v25, v10
	v_fmac_f32_e32 v24, 0x32a5705f, v1
	v_sub_f32_e32 v10, v10, v25
	v_add_f32_e32 v10, v10, v24
	v_exp_f32_e32 v10, v10
	v_cvt_i32_f32_e32 v24, v25
	v_cmp_ngt_f32_e32 vcc, s78, v1
	v_sub_f32_e32 v12, v12, v69
	v_sub_f32_e32 v13, v13, v69
	v_ldexp_f32 v10, v10, v24
	v_cndmask_b32_e32 v10, 0, v10, vcc
	v_cmp_nlt_f32_e32 vcc, s73, v1
	s_add_i32 s39, s39, -1
	v_lshl_add_u64 v[74:75], v[74:75], 0, s[80:81]
	v_cndmask_b32_e32 v1, v180, v10, vcc
	v_cndmask_b32_e64 v10, 0, v1, s[12:13]
	v_sub_f32_e32 v1, v11, v69
	v_mul_f32_e32 v11, 0x3fb8aa3b, v1
	v_fma_f32 v24, v1, s4, -v11
	v_rndne_f32_e32 v25, v11
	v_fmac_f32_e32 v24, 0x32a5705f, v1
	v_sub_f32_e32 v11, v11, v25
	v_add_f32_e32 v11, v11, v24
	v_exp_f32_e32 v11, v11
	v_cvt_i32_f32_e32 v24, v25
	v_cmp_ngt_f32_e32 vcc, s78, v1
	v_lshl_add_u64 v[76:77], v[76:77], 0, s[80:81]
	v_lshl_add_u64 v[78:79], v[78:79], 0, s[80:81]
	v_ldexp_f32 v11, v11, v24
	v_cndmask_b32_e32 v11, 0, v11, vcc
	v_cmp_nlt_f32_e32 vcc, s73, v1
	v_mov_b32_e32 v1, s93
	v_lshl_add_u64 v[80:81], v[80:81], 0, s[80:81]
	v_cndmask_b32_e32 v11, v180, v11, vcc
	v_add_f32_e32 v24, v11, v10
	v_cndmask_b32_e64 v1, v1, v11, s[14:15]
	v_cndmask_b32_e64 v11, v10, v24, s[14:15]
	v_mul_f32_e32 v24, 0x3fb8aa3b, v12
	v_fma_f32 v25, v12, s4, -v24
	v_rndne_f32_e32 v184, v24
	v_fmac_f32_e32 v25, 0x32a5705f, v12
	v_sub_f32_e32 v24, v24, v184
	v_add_f32_e32 v24, v24, v25
	v_exp_f32_e32 v24, v24
	v_cvt_i32_f32_e32 v25, v184
	v_cmp_ngt_f32_e32 vcc, s78, v12
	v_lshl_add_u64 v[82:83], v[82:83], 0, s[80:81]
	v_lshl_add_u64 v[84:85], v[84:85], 0, s[80:81]
	v_ldexp_f32 v24, v24, v25
	v_cndmask_b32_e32 v24, 0, v24, vcc
	v_cmp_nlt_f32_e32 vcc, s73, v12
	v_mov_b32_e32 v12, s93
	v_lshl_add_u64 v[86:87], v[86:87], 0, s[80:81]
	v_cndmask_b32_e32 v24, v180, v24, vcc
	v_add_f32_e32 v25, v11, v24
	v_cndmask_b32_e64 v12, v12, v24, s[16:17]
	v_mul_f32_e32 v24, 0x3fb8aa3b, v13
	v_cndmask_b32_e64 v11, v11, v25, s[16:17]
	v_fma_f32 v25, v13, s4, -v24
	v_rndne_f32_e32 v184, v24
	v_fmac_f32_e32 v25, 0x32a5705f, v13
	v_sub_f32_e32 v24, v24, v184
	v_add_f32_e32 v24, v24, v25
	v_exp_f32_e32 v24, v24
	v_cvt_i32_f32_e32 v25, v184
	v_cmp_ngt_f32_e32 vcc, s78, v13
	v_lshl_add_u64 v[88:89], v[88:89], 0, s[80:81]
	v_lshl_add_u64 v[90:91], v[90:91], 0, s[84:85]
	v_ldexp_f32 v24, v24, v25
	v_cndmask_b32_e32 v24, 0, v24, vcc
	v_cmp_nlt_f32_e32 vcc, s73, v13
	v_lshl_add_u64 v[96:97], v[96:97], 0, s[28:29]
	v_lshl_add_u64 v[98:99], v[98:99], 0, s[28:29]
	v_cndmask_b32_e32 v194, v180, v24, vcc
	v_add_f32_e32 v13, v11, v194
	v_cndmask_b32_e64 v11, v11, v13, s[18:19]
	v_sub_f32_e32 v13, v14, v69
	v_mul_f32_e32 v14, 0x3fb8aa3b, v13
	v_fma_f32 v24, v13, s4, -v14
	v_rndne_f32_e32 v25, v14
	v_fmac_f32_e32 v24, 0x32a5705f, v13
	v_sub_f32_e32 v14, v14, v25
	v_add_f32_e32 v14, v14, v24
	v_exp_f32_e32 v14, v14
	v_cvt_i32_f32_e32 v24, v25
	v_cmp_ngt_f32_e32 vcc, s78, v13
	v_lshl_add_u64 v[100:101], v[100:101], 0, s[28:29]
	s_cmp_lg_u32 s39, 0
	v_ldexp_f32 v14, v14, v24
	v_cndmask_b32_e32 v14, 0, v14, vcc
	v_cmp_nlt_f32_e32 vcc, s73, v13
	s_nop 1
	v_cndmask_b32_e32 v13, v180, v14, vcc
	v_add_f32_e32 v24, v13, v11
	v_mov_b32_e32 v14, s93
	v_cndmask_b32_e64 v14, v14, v13, s[20:21]
	v_cndmask_b32_e64 v13, v11, v24, s[20:21]
	v_sub_f32_e32 v11, v15, v69
	v_mul_f32_e32 v15, 0x3fb8aa3b, v11
	v_fma_f32 v24, v11, s4, -v15
	v_rndne_f32_e32 v25, v15
	v_fmac_f32_e32 v24, 0x32a5705f, v11
	v_sub_f32_e32 v15, v15, v25
	v_add_f32_e32 v15, v15, v24
	v_exp_f32_e32 v15, v15
	v_cvt_i32_f32_e32 v24, v25
	v_cmp_ngt_f32_e32 vcc, s78, v11
	v_ldexp_f32 v15, v15, v24
	s_nop 0
	v_cndmask_b32_e32 v15, 0, v15, vcc
	v_cmp_nlt_f32_e32 vcc, s73, v11
	v_mov_b32_e32 v11, s93
	s_nop 0
	v_cndmask_b32_e32 v15, v180, v15, vcc
	v_add_f32_e32 v24, v15, v13
	v_cndmask_b32_e64 v11, v11, v15, s[22:23]
	v_sub_f32_e32 v15, v16, v69
	v_mul_f32_e32 v16, 0x3fb8aa3b, v15
	v_cndmask_b32_e64 v13, v13, v24, s[22:23]
	v_fma_f32 v24, v15, s4, -v16
	v_rndne_f32_e32 v25, v16
	v_fmac_f32_e32 v24, 0x32a5705f, v15
	v_sub_f32_e32 v16, v16, v25
	v_add_f32_e32 v16, v16, v24
	v_exp_f32_e32 v16, v16
	v_cvt_i32_f32_e32 v24, v25
	v_cmp_ngt_f32_e32 vcc, s78, v15
	v_ldexp_f32 v16, v16, v24
	s_nop 0
	v_cndmask_b32_e32 v16, 0, v16, vcc
	v_cmp_nlt_f32_e32 vcc, s73, v15
	s_nop 1
	v_cndmask_b32_e32 v15, v180, v16, vcc
	v_mov_b32_e32 v16, s93
	v_add_f32_e32 v24, v15, v13
	v_cndmask_b32_e64 v16, v16, v15, s[24:25]
	v_sub_f32_e32 v15, v17, v69
	v_mul_f32_e32 v17, 0x3fb8aa3b, v15
	v_cndmask_b32_e64 v13, v13, v24, s[24:25]
	v_fma_f32 v24, v15, s4, -v17
	v_rndne_f32_e32 v25, v17
	v_fmac_f32_e32 v24, 0x32a5705f, v15
	v_sub_f32_e32 v17, v17, v25
	v_add_f32_e32 v17, v17, v24
	v_exp_f32_e32 v17, v17
	v_cvt_i32_f32_e32 v24, v25
	v_cmp_ngt_f32_e32 vcc, s78, v15
	v_ldexp_f32 v17, v17, v24
	s_nop 0
	v_cndmask_b32_e32 v17, 0, v17, vcc
	v_cmp_nlt_f32_e32 vcc, s73, v15
	s_nop 1
	v_cndmask_b32_e32 v195, v180, v17, vcc
	v_add_f32_e32 v15, v195, v13
	v_cndmask_b32_e64 v184, v13, v15, s[26:27]
	v_sub_f32_e32 v13, v23, v69
	v_mul_f32_e32 v15, 0x3fb8aa3b, v13
	v_fma_f32 v17, v13, s4, -v15
	v_rndne_f32_e32 v23, v15
	v_fmac_f32_e32 v17, 0x32a5705f, v13
	v_sub_f32_e32 v15, v15, v23
	v_add_f32_e32 v15, v15, v17
	v_exp_f32_e32 v15, v15
	v_cvt_i32_f32_e32 v17, v23
	v_cmp_ngt_f32_e32 vcc, s78, v13
	v_ldexp_f32 v15, v15, v17
	s_nop 0
	v_cndmask_b32_e32 v15, 0, v15, vcc
	v_cmp_nlt_f32_e32 vcc, s73, v13
	s_nop 1
	v_cndmask_b32_e32 v15, v180, v15, vcc
	v_cmp_le_f32_e32 vcc, s99, v13
	s_nop 1
	v_cndmask_b32_e32 v13, 0, v15, vcc
	v_fmac_f32_e32 v184, v22, v13
	v_cvt_f16_f32_e32 v13, v13
	v_mul_u32_u24_e32 v13, 0x10001, v13
	v_pk_mul_f16 v189, v187, v13
	v_pk_mul_f16 v187, v19, v13
	v_mov_b32_e32 v19, s93
	v_pk_mul_f16 v188, v186, v13
	v_pk_mul_f16 v17, v102, v13
	;; [unrolled: 1-line block ×4, first 2 shown]
	v_cndmask_b32_e64 v102, v19, v194, s[18:19]
	v_lshl_add_u64 v[18:19], v[92:93], 0, v[56:57]
	v_mov_b32_e32 v103, s5
	v_cndmask_b32_e64 v19, v103, v19, s[8:9]
	v_cndmask_b32_e64 v18, v183, v18, s[8:9]
	v_pk_mul_f16 v23, v21, v13
	v_pk_mul_f16 v22, v20, v13
	flat_load_dwordx4 v[18:21], v[18:19]
	v_pk_mul_f16 v15, v104, v13
	v_pk_mul_f16 v25, v105, v13
	v_mov_b32_e32 v13, s93
	v_cndmask_b32_e64 v13, v13, v195, s[26:27]
	v_cvt_f32_f16_sdwa v197, v22 dst_sel:DWORD dst_unused:UNUSED_PAD src0_sel:WORD_1
	v_lshl_add_u64 v[92:93], v[92:93], 0, s[84:85]
	s_waitcnt vmcnt(0) lgkmcnt(0)
	ds_write_b128 v114, v[18:21]
	v_lshl_add_u64 v[18:19], v[94:95], 0, v[56:57]
	v_cndmask_b32_e64 v19, v103, v19, s[10:11]
	v_cndmask_b32_e64 v18, v183, v18, s[10:11]
	flat_load_dwordx4 v[18:21], v[18:19]
	v_lshl_add_u64 v[94:95], v[94:95], 0, s[84:85]
	s_waitcnt vmcnt(0) lgkmcnt(0)
	ds_write_b128 v116, v[18:21]
	s_waitcnt lgkmcnt(0)
	s_barrier
	ds_read_u16 v103, v118 offset:176
	ds_read_u16 v104, v119
	ds_read_u16 v194, v119 offset:32
	ds_read_u16 v105, v120
	ds_read_u16 v195, v120 offset:32
	v_cvt_f32_f16_e32 v18, v189
	v_cvt_f32_f16_sdwa v19, v189 dst_sel:DWORD dst_unused:UNUSED_PAD src0_sel:WORD_1
	v_cvt_f32_f16_e32 v20, v188
	s_waitcnt lgkmcnt(1)
	v_perm_b32 v189, v105, v104, s94
	ds_read_u16 v104, v118
	ds_read_u16 v196, v118 offset:32
	v_cvt_f32_f16_sdwa v21, v188 dst_sel:DWORD dst_unused:UNUSED_PAD src0_sel:WORD_1
	v_cvt_pk_f16_f32 v105, v12, v102
	s_waitcnt lgkmcnt(1)
	v_perm_b32 v188, v103, v104, s94
	v_cvt_pk_f16_f32 v104, v10, v1
	s_nop 1
	v_mfma_f32_16x16x16_f16 v[18:21], v[188:189], v[104:105], v[18:21]
	ds_read_u16 v102, v118 offset:5632
	ds_read_u16 v103, v118 offset:5808
	;; [unrolled: 1-line block ×4, first 2 shown]
	s_nop 3
	v_cvt_f16_f32_e32 v1, v18
	v_cvt_f16_f32_e32 v10, v19
	v_cvt_f16_f32_e32 v12, v20
	v_cvt_f16_f32_e32 v21, v21
	v_cvt_f32_f16_e32 v18, v1
	s_waitcnt lgkmcnt(0)
	v_perm_b32 v189, v189, v188, s94
	v_perm_b32 v188, v103, v102, s94
	ds_read_u16 v1, v118 offset:208
	v_cvt_f32_f16_e32 v19, v10
	v_cvt_f32_f16_e32 v20, v12
	;; [unrolled: 1-line block ×3, first 2 shown]
	v_cvt_pk_f16_f32 v103, v16, v13
	v_cvt_pk_f16_f32 v102, v14, v11
	s_waitcnt lgkmcnt(0)
	v_perm_b32 v14, v1, v196, s94
	v_cvt_f32_f16_e32 v16, v17
	v_mfma_f32_16x16x16_f16 v[10:13], v[188:189], v[102:103], v[18:21]
	v_cvt_f32_f16_sdwa v17, v17 dst_sel:DWORD dst_unused:UNUSED_PAD src0_sel:WORD_1
	v_cvt_f32_f16_e32 v196, v22
	s_nop 0
	v_cvt_f32_f16_e32 v18, v15
	v_cvt_f32_f16_sdwa v19, v15 dst_sel:DWORD dst_unused:UNUSED_PAD src0_sel:WORD_1
	v_perm_b32 v15, v195, v194, s94
	v_cvt_f32_f16_sdwa v195, v23 dst_sel:DWORD dst_unused:UNUSED_PAD src0_sel:WORD_1
	s_nop 0
	v_mfma_f32_16x16x16_f16 v[14:17], v[14:15], v[104:105], v[16:19]
	s_nop 2
	ds_read_u16 v18, v118 offset:5664
	ds_read_u16 v20, v118 offset:5840
	;; [unrolled: 1-line block ×4, first 2 shown]
	s_nop 0
	v_cvt_f16_f32_e32 v1, v14
	v_cvt_f16_f32_e32 v15, v15
	v_cvt_f16_f32_e32 v16, v16
	v_cvt_f16_f32_e32 v17, v17
	v_cvt_f32_f16_e32 v14, v1
	s_waitcnt lgkmcnt(0)
	v_perm_b32 v19, v21, v19, s94
	v_perm_b32 v18, v20, v18, s94
	ds_read_u16 v1, v118 offset:64
	ds_read_u16 v188, v118 offset:240
	;; [unrolled: 1-line block ×4, first 2 shown]
	v_cvt_f32_f16_e32 v15, v15
	v_cvt_f32_f16_e32 v16, v16
	;; [unrolled: 1-line block ×4, first 2 shown]
	v_cvt_f32_f16_sdwa v21, v24 dst_sel:DWORD dst_unused:UNUSED_PAD src0_sel:WORD_1
	v_mfma_f32_16x16x16_f16 v[14:17], v[18:19], v[102:103], v[14:17]
	v_cvt_f32_f16_e32 v18, v25
	v_cvt_f32_f16_sdwa v19, v25 dst_sel:DWORD dst_unused:UNUSED_PAD src0_sel:WORD_1
	s_waitcnt lgkmcnt(0)
	v_perm_b32 v25, v194, v189, s94
	v_perm_b32 v24, v188, v1, s94
	v_cvt_f32_f16_e32 v194, v23
	s_nop 0
	v_mfma_f32_16x16x16_f16 v[18:21], v[24:25], v[104:105], v[18:21]
	ds_read_u16 v24, v118 offset:5696
	ds_read_u16 v188, v118 offset:5872
	;; [unrolled: 1-line block ×4, first 2 shown]
	s_nop 3
	v_cvt_f16_f32_e32 v1, v18
	v_cvt_f16_f32_e32 v19, v19
	v_cvt_f16_f32_e32 v20, v20
	v_cvt_f16_f32_e32 v21, v21
	s_waitcnt lgkmcnt(0)
	v_perm_b32 v25, v189, v25, s94
	v_perm_b32 v24, v188, v24, s94
	v_cvt_f32_f16_e32 v18, v1
	v_cvt_f32_f16_e32 v19, v19
	;; [unrolled: 1-line block ×4, first 2 shown]
	s_nop 1
	v_mfma_f32_16x16x16_f16 v[18:21], v[24:25], v[102:103], v[18:21]
	ds_read_u16 v1, v118 offset:96
	ds_read_u16 v24, v118 offset:272
	;; [unrolled: 1-line block ×4, first 2 shown]
	s_waitcnt lgkmcnt(2)
	v_perm_b32 v22, v24, v1, s94
	s_waitcnt lgkmcnt(0)
	v_perm_b32 v23, v188, v25, s94
	s_nop 1
	v_mfma_f32_16x16x16_f16 v[22:25], v[22:23], v[104:105], v[194:197]
	ds_read_u16 v188, v118 offset:5728
	s_nop 1
	ds_read_u16 v194, v118 offset:5904
	ds_read_u16 v189, v119 offset:5728
	;; [unrolled: 1-line block ×3, first 2 shown]
	v_cvt_f32_f16_e32 v196, v186
	v_cvt_f32_f16_sdwa v197, v186 dst_sel:DWORD dst_unused:UNUSED_PAD src0_sel:WORD_1
	v_cvt_f16_f32_e32 v1, v22
	v_cvt_f16_f32_e32 v23, v23
	;; [unrolled: 1-line block ×4, first 2 shown]
	s_waitcnt lgkmcnt(0)
	v_perm_b32 v189, v195, v189, s94
	v_perm_b32 v188, v194, v188, s94
	v_cvt_f32_f16_e32 v22, v1
	v_cvt_f32_f16_e32 v23, v23
	;; [unrolled: 1-line block ×5, first 2 shown]
	v_cvt_f32_f16_sdwa v195, v187 dst_sel:DWORD dst_unused:UNUSED_PAD src0_sel:WORD_1
	v_mfma_f32_16x16x16_f16 v[22:25], v[188:189], v[102:103], v[22:25]
	ds_read_u16 v1, v118 offset:128
	ds_read_u16 v188, v118 offset:304
	;; [unrolled: 1-line block ×4, first 2 shown]
	s_waitcnt lgkmcnt(2)
	v_perm_b32 v186, v188, v1, s94
	s_waitcnt lgkmcnt(0)
	v_perm_b32 v187, v198, v189, s94
	s_nop 1
	v_mfma_f32_16x16x16_f16 v[186:189], v[186:187], v[104:105], v[194:197]
	s_nop 7
	v_cvt_f16_f32_e32 v104, v186
	v_cvt_f16_f32_e32 v105, v187
	;; [unrolled: 1-line block ×4, first 2 shown]
	ds_read_u16 v1, v118 offset:5760
	ds_read_u16 v188, v118 offset:5936
	ds_read_u16 v189, v119 offset:5760
	ds_read_u16 v198, v120 offset:5760
	v_cvt_f32_f16_e32 v194, v104
	v_cvt_f32_f16_e32 v195, v105
	s_waitcnt lgkmcnt(2)
	v_perm_b32 v104, v188, v1, s94
	v_cvt_f32_f16_e32 v196, v186
	s_waitcnt lgkmcnt(0)
	v_perm_b32 v105, v198, v189, s94
	v_cvt_f32_f16_e32 v197, v187
	v_cvt_pk_f16_f32 v187, v10, v11
	v_cvt_pk_f16_f32 v186, v12, v13
	v_mfma_f32_16x16x16_f16 v[194:197], v[104:105], v[102:103], v[194:197]
	v_cvt_pk_f16_f32 v102, v14, v15
	v_cvt_pk_f16_f32 v104, v16, v17
	;; [unrolled: 1-line block ×6, first 2 shown]
	s_nop 1
	v_cvt_pk_f16_f32 v19, v194, v195
	v_cvt_pk_f16_f32 v18, v196, v197
	s_barrier
	s_cbranch_scc0 .LBB9_169
; %bb.167:                              ;   in Loop: Header=BB9_160 Depth=2
	v_mov_b32_e32 v22, v184
	v_mov_b32_e32 v23, v69
	v_cndmask_b32_e64 v1, 0, 1, s[36:37]
	v_cmp_ne_u32_e64 s[34:35], 1, v1
	s_andn2_b64 vcc, exec, s[36:37]
	s_cbranch_vccz .LBB9_155
	s_branch .LBB9_160
.LBB9_168:                              ;   in Loop: Header=BB9_14 Depth=1
	v_mov_b32_e32 v69, 0xfeffffff
	s_mov_b32 s92, 0
	v_mov_b32_e32 v184, 0
	v_mov_b32_e32 v18, 0
	;; [unrolled: 1-line block ×11, first 2 shown]
	s_branch .LBB9_170
.LBB9_169:                              ;   in Loop: Header=BB9_14 Depth=1
	s_lshl_b32 s92, s38, 6
.LBB9_170:                              ;   in Loop: Header=BB9_14 Depth=1
	v_readlane_b32 s30, v223, 4
	s_sub_i32 s52, s30, s92
	v_readlane_b32 s31, v223, 5
	s_cmp_lg_u64 s[2:3], 0
	s_cselect_b64 s[30:31], -1, 0
	s_cmp_eq_u64 s[2:3], 0
	s_cbranch_scc1 .LBB9_180
; %bb.171:                              ;   in Loop: Header=BB9_14 Depth=1
	s_lshl_b64 s[34:35], s[92:93], 1
	s_add_u32 s34, s2, s34
	s_addc_u32 s35, s3, s35
	v_cmp_le_i32_e32 vcc, s52, v30
	s_and_saveexec_b64 s[2:3], vcc
	s_xor_b64 s[2:3], exec, s[2:3]
	s_cbranch_execz .LBB9_173
; %bb.172:                              ;   in Loop: Header=BB9_14 Depth=1
	ds_write_b16 v132, v33 offset:11264
	ds_write_b16 v156, v33 offset:11264
.LBB9_173:                              ;   in Loop: Header=BB9_14 Depth=1
	s_or_saveexec_b64 s[2:3], s[2:3]
	v_lshlrev_b32_e32 v32, 1, v30
	v_lshl_add_u64 v[10:11], s[34:35], 0, v[32:33]
	v_mov_b32_e32 v1, 0
	v_mov_b32_e32 v12, 0
	s_xor_b64 exec, exec, s[2:3]
	s_cbranch_execz .LBB9_175
; %bb.174:                              ;   in Loop: Header=BB9_14 Depth=1
	v_add_u32_e32 v1, s77, v27
	v_mul_hi_u32 v12, s86, v1
	v_add_u32_e32 v12, v1, v12
	v_lshrrev_b32_e32 v12, s87, v12
	v_mul_lo_u32 v12, v12, s72
	v_readlane_b32 s34, v223, 60
	v_sub_u32_e32 v1, v1, v12
	v_readlane_b32 s35, v223, 61
	s_mov_b32 s36, s34
	v_mad_i64_i32 v[12:13], s[34:35], v1, s36, 0
	v_lshl_add_u64 v[12:13], v[12:13], 1, v[10:11]
	global_load_ushort v1, v[12:13], off
	v_add_u32_e32 v12, s77, v155
	v_mul_hi_u32 v13, s86, v12
	v_add_u32_e32 v13, v12, v13
	v_lshrrev_b32_e32 v13, s87, v13
	v_mul_lo_u32 v13, v13, s72
	v_sub_u32_e32 v12, v12, v13
	v_mad_i64_i32 v[12:13], s[34:35], v12, s36, 0
	v_lshl_add_u64 v[12:13], v[12:13], 1, v[10:11]
	global_load_ushort v12, v[12:13], off
	s_waitcnt vmcnt(1)
	ds_write_b16 v132, v1 offset:11264
	s_waitcnt vmcnt(0)
	ds_write_b16 v156, v12 offset:11264
	v_add_u32_e32 v1, s77, v157
	v_mul_hi_u32 v12, s86, v1
	v_add_u32_e32 v12, v1, v12
	v_lshrrev_b32_e32 v12, s87, v12
	v_mul_lo_u32 v12, v12, s72
	v_sub_u32_e32 v1, v1, v12
	v_mad_i64_i32 v[12:13], s[34:35], v1, s36, 0
	v_lshl_add_u64 v[12:13], v[12:13], 1, v[10:11]
	global_load_ushort v1, v[12:13], off
	v_add_u32_e32 v12, s77, v159
	v_mul_hi_u32 v13, s86, v12
	v_add_u32_e32 v13, v12, v13
	v_lshrrev_b32_e32 v13, s87, v13
	v_mul_lo_u32 v13, v13, s72
	v_sub_u32_e32 v12, v12, v13
	v_mad_i64_i32 v[12:13], s[34:35], v12, s36, 0
	v_lshl_add_u64 v[12:13], v[12:13], 1, v[10:11]
	global_load_ushort v12, v[12:13], off
.LBB9_175:                              ;   in Loop: Header=BB9_14 Depth=1
	s_or_b64 exec, exec, s[2:3]
	s_waitcnt vmcnt(1)
	ds_write_b16 v158, v1 offset:11264
	s_waitcnt vmcnt(0)
	ds_write_b16 v160, v12 offset:11264
	s_and_saveexec_b64 s[2:3], vcc
	s_xor_b64 s[2:3], exec, s[2:3]
	s_cbranch_execz .LBB9_177
; %bb.176:                              ;   in Loop: Header=BB9_14 Depth=1
	ds_write_b16 v162, v33 offset:11264
	ds_write_b16 v164, v33 offset:11264
                                        ; implicit-def: $vgpr10_vgpr11
.LBB9_177:                              ;   in Loop: Header=BB9_14 Depth=1
	s_or_saveexec_b64 s[2:3], s[2:3]
	v_mov_b32_e32 v1, 0
	v_mov_b32_e32 v12, 0
	s_xor_b64 exec, exec, s[2:3]
	s_cbranch_execz .LBB9_179
; %bb.178:                              ;   in Loop: Header=BB9_14 Depth=1
	v_add_u32_e32 v1, s77, v161
	v_mul_hi_u32 v12, s86, v1
	v_add_u32_e32 v12, v1, v12
	v_lshrrev_b32_e32 v12, s87, v12
	v_mul_lo_u32 v12, v12, s72
	v_readlane_b32 s34, v223, 60
	v_sub_u32_e32 v1, v1, v12
	v_readlane_b32 s35, v223, 61
	s_mov_b32 s36, s34
	v_mad_i64_i32 v[12:13], s[34:35], v1, s36, 0
	v_lshl_add_u64 v[12:13], v[12:13], 1, v[10:11]
	global_load_ushort v1, v[12:13], off
	v_add_u32_e32 v12, s77, v163
	v_mul_hi_u32 v13, s86, v12
	v_add_u32_e32 v13, v12, v13
	v_lshrrev_b32_e32 v13, s87, v13
	v_mul_lo_u32 v13, v13, s72
	v_sub_u32_e32 v12, v12, v13
	v_mad_i64_i32 v[12:13], s[34:35], v12, s36, 0
	v_lshl_add_u64 v[12:13], v[12:13], 1, v[10:11]
	global_load_ushort v12, v[12:13], off
	s_waitcnt vmcnt(1)
	ds_write_b16 v162, v1 offset:11264
	s_waitcnt vmcnt(0)
	ds_write_b16 v164, v12 offset:11264
	v_add_u32_e32 v1, s77, v165
	v_mul_hi_u32 v12, s86, v1
	v_add_u32_e32 v12, v1, v12
	v_lshrrev_b32_e32 v12, s87, v12
	v_mul_lo_u32 v12, v12, s72
	v_sub_u32_e32 v1, v1, v12
	v_mad_i64_i32 v[12:13], s[34:35], v1, s36, 0
	v_lshl_add_u64 v[12:13], v[12:13], 1, v[10:11]
	global_load_ushort v1, v[12:13], off
	v_add_u32_e32 v12, s77, v167
	v_mul_hi_u32 v13, s86, v12
	v_add_u32_e32 v13, v12, v13
	v_lshrrev_b32_e32 v13, s87, v13
	v_mul_lo_u32 v13, v13, s72
	v_sub_u32_e32 v12, v12, v13
	v_mad_i64_i32 v[12:13], s[34:35], v12, s36, 0
	v_lshl_add_u64 v[10:11], v[12:13], 1, v[10:11]
	global_load_ushort v12, v[10:11], off
.LBB9_179:                              ;   in Loop: Header=BB9_14 Depth=1
	s_or_b64 exec, exec, s[2:3]
	s_waitcnt vmcnt(1)
	ds_write_b16 v166, v1 offset:11264
	s_waitcnt vmcnt(0)
	ds_write_b16 v168, v12 offset:11264
.LBB9_180:                              ;   in Loop: Header=BB9_14 Depth=1
	s_mul_i32 s2, s92, s89
	s_mul_hi_u32 s3, s92, s88
	s_add_i32 s3, s3, s2
	s_mul_i32 s2, s92, s88
	s_lshl_b64 s[2:3], s[2:3], 2
	s_add_u32 s2, s90, s2
	s_addc_u32 s3, s76, s3
	scratch_store_dwordx4 off, v[190:193], off
	s_and_saveexec_b64 s[34:35], s[6:7]
	s_cbranch_execz .LBB9_182
; %bb.181:                              ;   in Loop: Header=BB9_14 Depth=1
	v_lshl_add_u64 v[10:11], v[46:47], 2, s[2:3]
	v_lshlrev_b32_e32 v32, 2, v36
	v_lshl_add_u64 v[10:11], v[10:11], 0, v[32:33]
	v_lshl_add_u64 v[10:11], v[10:11], 0, s[80:81]
	v_mov_b32_e32 v1, s5
	v_cmp_gt_i32_e32 vcc, s52, v113
	s_nop 1
	v_cndmask_b32_e32 v11, v1, v11, vcc
	v_cndmask_b32_e32 v10, v183, v10, vcc
	flat_load_dwordx4 v[10:13], v[10:11]
	s_waitcnt vmcnt(0) lgkmcnt(0)
	ds_write_b128 v117, v[10:13]
.LBB9_182:                              ;   in Loop: Header=BB9_14 Depth=1
	s_or_b64 exec, exec, s[34:35]
	v_lshl_add_u64 v[10:11], v[42:43], 2, s[2:3]
	v_lshlrev_b32_e32 v32, 2, v34
	v_lshl_add_u64 v[10:11], v[10:11], 0, v[32:33]
	v_mov_b32_e32 v1, s5
	v_cmp_gt_i32_e64 s[38:39], s52, v37
	v_lshl_add_u64 v[14:15], v[44:45], 2, s[2:3]
	v_lshl_add_u64 v[14:15], v[14:15], 0, v[32:33]
	v_cndmask_b32_e64 v11, v1, v11, s[38:39]
	v_cndmask_b32_e64 v10, v183, v10, s[38:39]
	flat_load_dwordx4 v[10:13], v[10:11]
	v_cmp_gt_i32_e64 s[34:35], s52, v115
	s_andn2_b64 vcc, exec, s[30:31]
	s_mov_b64 s[82:83], s[46:47]
	v_cndmask_b32_e64 v15, v1, v15, s[34:35]
	v_cndmask_b32_e64 v14, v183, v14, s[34:35]
	v_add_u32_e32 v1, v111, v134
	v_add_u32_e32 v76, 0x1000, v1
	s_waitcnt vmcnt(0) lgkmcnt(0)
	ds_write_b128 v114, v[10:13]
	flat_load_dwordx4 v[10:13], v[14:15]
	s_waitcnt vmcnt(0) lgkmcnt(0)
	ds_write_b128 v116, v[10:13]
	s_waitcnt lgkmcnt(0)
	s_barrier
	ds_read2_b64 v[10:13], v1 offset1:4
	ds_read2_b64 v[22:25], v76 offset0:192 offset1:196
	s_waitcnt lgkmcnt(1)
	v_mfma_f32_16x16x16_f16 v[14:17], v[10:11], v[6:7], 0
	v_mfma_f32_16x16x16_f16 v[10:13], v[12:13], v[8:9], v[14:17]
	s_nop 6
	ds_read2_b64 v[14:17], v1 offset0:8 offset1:12
	s_waitcnt lgkmcnt(1)
	v_mfma_f32_16x16x16_f16 v[72:75], v[22:23], v[6:7], 0
	v_mfma_f32_16x16x16_f16 v[6:9], v[24:25], v[8:9], v[72:75]
	ds_read2_b64 v[22:25], v76 offset0:200 offset1:204
	s_waitcnt lgkmcnt(1)
	v_mfma_f32_16x16x16_f16 v[10:13], v[14:15], v[2:3], v[10:13]
	ds_read_b64 v[14:15], v1 offset:128
	v_mfma_f32_16x16x16_f16 v[10:13], v[16:17], v[4:5], v[10:13]
	ds_read_b64 v[16:17], v1 offset:5760
	s_waitcnt lgkmcnt(0)
	s_barrier
	v_mfma_f32_16x16x16_f16 v[6:9], v[22:23], v[2:3], v[6:9]
	v_mfma_f32_16x16x16_f16 v[2:5], v[24:25], v[4:5], v[6:9]
	;; [unrolled: 1-line block ×4, first 2 shown]
	s_cbranch_vccnz .LBB9_184
; %bb.183:                              ;   in Loop: Header=BB9_14 Depth=1
	v_add_u32_e32 v1, 0x2c00, v135
	ds_read2_b32 v[10:11], v1 offset1:1
	ds_read_b32 v1, v137 offset:11264
	s_waitcnt lgkmcnt(1)
	v_cvt_f32_f16_e32 v12, v10
	v_cvt_f32_f16_sdwa v13, v10 dst_sel:DWORD dst_unused:UNUSED_PAD src0_sel:WORD_1
	v_cvt_f32_f16_e32 v10, v11
	v_cvt_f32_f16_sdwa v11, v11 dst_sel:DWORD dst_unused:UNUSED_PAD src0_sel:WORD_1
	v_pk_fma_f32 v[6:7], v[68:69], v[12:13], v[6:7] op_sel_hi:[0,1,1]
	v_pk_fma_f32 v[8:9], v[68:69], v[10:11], v[8:9] op_sel_hi:[0,1,1]
	s_waitcnt lgkmcnt(0)
	v_cvt_f32_f16_sdwa v11, v1 dst_sel:DWORD dst_unused:UNUSED_PAD src0_sel:WORD_1
	v_cvt_f32_f16_e32 v10, v1
	ds_read_b32 v1, v139 offset:11264
	v_pk_fma_f32 v[2:3], v[68:69], v[10:11], v[2:3] op_sel_hi:[0,1,1]
	s_waitcnt lgkmcnt(0)
	v_cvt_f32_f16_sdwa v13, v1 dst_sel:DWORD dst_unused:UNUSED_PAD src0_sel:WORD_1
	v_cvt_f32_f16_e32 v12, v1
	v_pk_fma_f32 v[4:5], v[68:69], v[12:13], v[4:5] op_sel_hi:[0,1,1]
.LBB9_184:                              ;   in Loop: Header=BB9_14 Depth=1
	s_nop 5
	v_add_f32_e32 v1, 0x40051340, v6
	v_max_f32_e32 v10, v69, v69
	v_max_f32_e32 v1, v10, v1
	v_cmp_gt_u32_e64 s[50:51], s52, v133
	v_add_f32_e32 v10, 0x40051340, v7
	v_cmp_gt_u32_e64 s[48:49], s52, v169
	v_cndmask_b32_e64 v1, v69, v1, s[50:51]
	v_max_f32_e32 v11, v1, v1
	v_max_f32_e32 v10, v11, v10
	v_cndmask_b32_e64 v1, v1, v10, s[48:49]
	v_add_f32_e32 v10, 0x40051340, v8
	v_max_f32_e32 v11, v1, v1
	v_max_f32_e32 v10, v11, v10
	v_cmp_gt_u32_e64 s[46:47], s52, v170
	v_cmp_gt_u32_e32 vcc, s52, v171
	v_cmp_gt_u32_e64 s[44:45], s52, v136
	v_cndmask_b32_e64 v1, v1, v10, s[46:47]
	v_add_f32_e32 v10, 0x40051340, v9
	v_max_f32_e32 v11, v1, v1
	v_max_f32_e32 v10, v11, v10
	v_cndmask_b32_e32 v1, v1, v10, vcc
	v_add_f32_e32 v10, 0x40051340, v2
	v_max_f32_e32 v11, v1, v1
	v_max_f32_e32 v10, v11, v10
	v_cndmask_b32_e64 v1, v1, v10, s[44:45]
	v_add_f32_e32 v10, 0x40051340, v3
	v_max_f32_e32 v11, v1, v1
	v_max_f32_e32 v10, v11, v10
	v_cmp_gt_u32_e64 s[42:43], s52, v172
	v_cmp_gt_u32_e64 s[40:41], s52, v138
	;; [unrolled: 1-line block ×3, first 2 shown]
	v_cndmask_b32_e64 v1, v1, v10, s[42:43]
	v_add_f32_e32 v10, 0x40051340, v4
	v_max_f32_e32 v11, v1, v1
	v_max_f32_e32 v10, v11, v10
	v_cndmask_b32_e64 v1, v1, v10, s[40:41]
	v_add_f32_e32 v10, 0x40051340, v5
	v_max_f32_e32 v11, v1, v1
	v_max_f32_e32 v10, v11, v10
	v_cndmask_b32_e64 v1, v1, v10, s[36:37]
	v_and_b32_e32 v10, 64, v182
	v_add_u32_e32 v10, 64, v10
	v_xor_b32_e32 v11, 32, v182
	v_cmp_lt_i32_e64 s[54:55], v11, v10
	s_mul_i32 s2, s92, s75
	s_mul_hi_u32 s3, s92, s74
	v_cndmask_b32_e64 v11, v182, v11, s[54:55]
	v_lshlrev_b32_e32 v15, 2, v11
	ds_bpermute_b32 v11, v15, v1
	v_max_f32_e32 v1, v1, v1
	s_add_i32 s3, s3, s2
	s_mul_i32 s2, s92, s74
	s_lshl_b64 s[2:3], s[2:3], 2
	s_waitcnt lgkmcnt(0)
	v_max_f32_e32 v11, v11, v11
	v_max_f32_e32 v1, v1, v11
	v_xor_b32_e32 v11, 16, v182
	v_cmp_lt_i32_e64 s[54:55], v11, v10
	s_add_u32 s2, s91, s2
	s_addc_u32 s3, s95, s3
	v_cndmask_b32_e64 v10, v182, v11, s[54:55]
	v_lshlrev_b32_e32 v16, 2, v10
	ds_bpermute_b32 v10, v16, v1
	scratch_store_dwordx4 off, v[190:193], off
	s_and_saveexec_b64 s[30:31], s[6:7]
	s_cbranch_execz .LBB9_186
; %bb.185:                              ;   in Loop: Header=BB9_14 Depth=1
	v_lshl_add_u64 v[12:13], v[48:49], 2, s[2:3]
	v_lshlrev_b32_e32 v22, 2, v36
	v_mov_b32_e32 v23, v33
	v_lshl_add_u64 v[12:13], v[12:13], 0, v[22:23]
	v_lshl_add_u64 v[12:13], v[12:13], 0, s[80:81]
	v_mov_b32_e32 v11, s5
	v_cmp_gt_i32_e64 s[54:55], s52, v113
	s_nop 1
	v_cndmask_b32_e64 v13, v11, v13, s[54:55]
	v_cndmask_b32_e64 v12, v183, v12, s[54:55]
	flat_load_dwordx4 v[22:25], v[12:13]
	s_waitcnt vmcnt(0) lgkmcnt(0)
	ds_write_b128 v117, v[22:25]
.LBB9_186:                              ;   in Loop: Header=BB9_14 Depth=1
	s_or_b64 exec, exec, s[30:31]
	s_waitcnt lgkmcnt(0)
	v_max_f32_e32 v10, v10, v10
	v_max_f32_e32 v1, v1, v1
	;; [unrolled: 1-line block ×3, first 2 shown]
	v_sub_f32_e32 v1, v6, v14
	v_mul_f32_e32 v6, 0x3fb8aa3b, v1
	v_fma_f32 v10, v1, s4, -v6
	v_rndne_f32_e32 v11, v6
	v_fmac_f32_e32 v10, 0x32a5705f, v1
	v_sub_f32_e32 v6, v6, v11
	v_add_f32_e32 v6, v6, v10
	v_cvt_i32_f32_e32 v17, v11
	v_lshl_add_u64 v[10:11], v[52:53], 2, s[2:3]
	v_lshl_add_u64 v[10:11], v[10:11], 0, v[32:33]
	v_mov_b32_e32 v22, s5
	v_cndmask_b32_e64 v11, v22, v11, s[38:39]
	v_cndmask_b32_e64 v10, v183, v10, s[38:39]
	flat_load_dwordx4 v[10:13], v[10:11]
	v_exp_f32_e32 v6, v6
	v_sub_f32_e32 v7, v7, v14
	v_cmp_ngt_f32_e64 s[38:39], s78, v1
	v_sub_f32_e32 v8, v8, v14
	v_ldexp_f32 v6, v6, v17
	v_mul_f32_e32 v17, 0x3fb8aa3b, v7
	v_fma_f32 v23, v7, s4, -v17
	v_rndne_f32_e32 v24, v17
	v_fmac_f32_e32 v23, 0x32a5705f, v7
	v_sub_f32_e32 v17, v17, v24
	v_add_f32_e32 v17, v17, v23
	v_exp_f32_e32 v17, v17
	v_cvt_i32_f32_e32 v23, v24
	v_cndmask_b32_e64 v6, 0, v6, s[38:39]
	v_cmp_nlt_f32_e64 s[38:39], s73, v1
	v_sub_f32_e32 v9, v9, v14
	v_sub_f32_e32 v2, v2, v14
	v_cndmask_b32_e64 v1, v180, v6, s[38:39]
	v_cndmask_b32_e64 v6, 0, v1, s[50:51]
	v_ldexp_f32 v1, v17, v23
	v_cmp_ngt_f32_e64 s[38:39], s78, v7
	v_sub_f32_e32 v4, v4, v14
	v_sub_f32_e32 v5, v5, v14
	v_cndmask_b32_e64 v1, 0, v1, s[38:39]
	v_cmp_nlt_f32_e64 s[38:39], s73, v7
	s_cmp_lg_u64 s[82:83], 0
	s_waitcnt vmcnt(0) lgkmcnt(0)
	ds_write_b128 v114, v[10:13]
	v_cndmask_b32_e64 v7, v180, v1, s[38:39]
	v_mul_f32_e32 v1, 0x3fb8aa3b, v8
	v_fma_f32 v23, v8, s4, -v1
	v_rndne_f32_e32 v24, v1
	v_fmac_f32_e32 v23, 0x32a5705f, v8
	v_sub_f32_e32 v1, v1, v24
	v_add_f32_e32 v1, v1, v23
	v_exp_f32_e32 v23, v1
	v_cvt_i32_f32_e32 v24, v24
	v_add_f32_e32 v17, v7, v6
	v_mov_b32_e32 v1, s93
	v_cndmask_b32_e64 v1, v1, v7, s[48:49]
	v_cndmask_b32_e64 v7, v6, v17, s[48:49]
	v_ldexp_f32 v17, v23, v24
	v_cmp_ngt_f32_e64 s[38:39], s78, v8
	s_nop 1
	v_cndmask_b32_e64 v17, 0, v17, s[38:39]
	v_cmp_nlt_f32_e64 s[38:39], s73, v8
	v_mul_f32_e32 v8, 0x3fb8aa3b, v9
	v_fma_f32 v24, v9, s4, -v8
	v_rndne_f32_e32 v25, v8
	v_fmac_f32_e32 v24, 0x32a5705f, v9
	v_sub_f32_e32 v8, v8, v25
	v_add_f32_e32 v8, v8, v24
	v_exp_f32_e32 v24, v8
	v_cvt_i32_f32_e32 v25, v25
	v_cndmask_b32_e64 v17, v180, v17, s[38:39]
	v_mov_b32_e32 v8, s93
	v_add_f32_e32 v23, v7, v17
	v_cndmask_b32_e64 v8, v8, v17, s[46:47]
	v_ldexp_f32 v17, v24, v25
	v_cmp_ngt_f32_e64 s[38:39], s78, v9
	v_cndmask_b32_e64 v7, v7, v23, s[46:47]
	s_nop 0
	v_cndmask_b32_e64 v17, 0, v17, s[38:39]
	v_cmp_nlt_f32_e64 s[38:39], s73, v9
	v_mul_f32_e32 v9, 0x3fb8aa3b, v2
	v_fma_f32 v23, v2, s4, -v9
	v_rndne_f32_e32 v24, v9
	v_fmac_f32_e32 v23, 0x32a5705f, v2
	v_sub_f32_e32 v9, v9, v24
	v_add_f32_e32 v9, v9, v23
	v_exp_f32_e32 v9, v9
	v_cvt_i32_f32_e32 v23, v24
	v_cndmask_b32_e64 v17, v180, v17, s[38:39]
	v_add_f32_e32 v24, v7, v17
	v_cmp_ngt_f32_e64 s[38:39], s78, v2
	v_ldexp_f32 v9, v9, v23
	v_cndmask_b32_e32 v7, v7, v24, vcc
	v_cndmask_b32_e64 v9, 0, v9, s[38:39]
	v_cmp_nlt_f32_e64 s[38:39], s73, v2
	v_sub_f32_e32 v24, v3, v14
	v_lshl_add_u64 v[2:3], v[50:51], 2, s[2:3]
	v_lshl_add_u64 v[2:3], v[2:3], 0, v[32:33]
	v_cndmask_b32_e64 v3, v22, v3, s[34:35]
	v_cndmask_b32_e64 v2, v183, v2, s[34:35]
	flat_load_dwordx4 v[10:13], v[2:3]
	v_mul_f32_e32 v25, 0x3fb8aa3b, v24
	v_fma_f32 v68, v24, s4, -v25
	v_rndne_f32_e32 v70, v25
	v_fmac_f32_e32 v68, 0x32a5705f, v24
	v_sub_f32_e32 v2, v25, v70
	v_add_f32_e32 v2, v2, v68
	v_exp_f32_e32 v3, v2
	v_cvt_i32_f32_e32 v22, v70
	v_cmp_ngt_f32_e64 s[34:35], s78, v24
	v_cndmask_b32_e64 v9, v180, v9, s[38:39]
	v_mov_b32_e32 v2, s93
	v_ldexp_f32 v3, v3, v22
	v_cndmask_b32_e64 v3, 0, v3, s[34:35]
	v_cmp_nlt_f32_e64 s[34:35], s73, v24
	v_add_f32_e32 v23, v9, v7
	v_cndmask_b32_e64 v2, v2, v9, s[44:45]
	v_cndmask_b32_e64 v9, v180, v3, s[34:35]
	v_mul_f32_e32 v3, 0x3fb8aa3b, v4
	v_cndmask_b32_e64 v7, v7, v23, s[44:45]
	v_fma_f32 v23, v4, s4, -v3
	v_rndne_f32_e32 v24, v3
	v_fmac_f32_e32 v23, 0x32a5705f, v4
	v_sub_f32_e32 v3, v3, v24
	v_add_f32_e32 v3, v3, v23
	v_exp_f32_e32 v23, v3
	v_cvt_i32_f32_e32 v24, v24
	v_mov_b32_e32 v3, s93
	v_add_f32_e32 v22, v9, v7
	v_cndmask_b32_e64 v3, v3, v9, s[42:43]
	v_ldexp_f32 v9, v23, v24
	v_cmp_ngt_f32_e64 s[34:35], s78, v4
	v_cndmask_b32_e64 v7, v7, v22, s[42:43]
	s_cselect_b64 s[2:3], -1, 0
	v_cndmask_b32_e64 v9, 0, v9, s[34:35]
	v_cmp_nlt_f32_e64 s[34:35], s73, v4
	v_mul_f32_e32 v4, 0x3fb8aa3b, v5
	v_fma_f32 v23, v5, s4, -v4
	v_rndne_f32_e32 v24, v4
	v_fmac_f32_e32 v23, 0x32a5705f, v5
	v_sub_f32_e32 v4, v4, v24
	v_add_f32_e32 v4, v4, v23
	v_exp_f32_e32 v23, v4
	v_cvt_i32_f32_e32 v24, v24
	v_cndmask_b32_e64 v9, v180, v9, s[34:35]
	v_add_f32_e32 v22, v9, v7
	v_mov_b32_e32 v4, s93
	v_cndmask_b32_e64 v7, v7, v22, s[40:41]
	v_sub_f32_e32 v22, v69, v14
	v_cndmask_b32_e64 v4, v4, v9, s[40:41]
	v_ldexp_f32 v9, v23, v24
	v_mul_f32_e32 v23, 0x3fb8aa3b, v22
	v_fma_f32 v24, v22, s4, -v23
	v_rndne_f32_e32 v25, v23
	v_fmac_f32_e32 v24, 0x32a5705f, v22
	v_sub_f32_e32 v23, v23, v25
	v_add_f32_e32 v23, v23, v24
	v_exp_f32_e32 v23, v23
	v_cvt_i32_f32_e32 v24, v25
	v_cmp_ngt_f32_e64 s[34:35], s78, v5
	s_and_b64 s[30:31], s[96:97], s[2:3]
	s_waitcnt vmcnt(0) lgkmcnt(0)
	ds_write_b128 v116, v[10:13]
	v_cndmask_b32_e64 v9, 0, v9, s[34:35]
	v_cmp_nlt_f32_e64 s[34:35], s73, v5
	v_ldexp_f32 v5, v23, v24
	s_waitcnt lgkmcnt(0)
	v_cndmask_b32_e64 v9, v180, v9, s[34:35]
	v_cmp_ngt_f32_e64 s[34:35], s78, v22
	s_barrier
	s_nop 0
	v_cndmask_b32_e64 v5, 0, v5, s[34:35]
	v_cmp_nlt_f32_e64 s[34:35], s73, v22
	s_nop 1
	v_cndmask_b32_e64 v5, v180, v5, s[34:35]
	v_cmp_le_f32_e64 s[34:35], s99, v22
	v_add_f32_e32 v22, v9, v7
	v_cndmask_b32_e64 v22, v7, v22, s[36:37]
	v_cndmask_b32_e64 v5, 0, v5, s[34:35]
	v_cvt_f16_f32_e32 v23, v5
	v_fmac_f32_e32 v22, v184, v5
	v_mov_b32_e32 v5, s93
	v_cndmask_b32_e64 v71, v5, v9, s[36:37]
	v_cndmask_b32_e32 v5, v5, v17, vcc
	ds_read_u16 v9, v118 offset:176
	ds_read_u16 v17, v119
	ds_read_u16 v25, v120
	;; [unrolled: 1-line block ×3, first 2 shown]
	v_mul_u32_u24_e32 v23, 0x10001, v23
	v_pk_mul_f16 v24, v186, v23
	v_pk_mul_f16 v7, v187, v23
	v_cvt_f32_f16_e32 v12, v24
	v_cvt_f32_f16_sdwa v13, v24 dst_sel:DWORD dst_unused:UNUSED_PAD src0_sel:WORD_1
	s_waitcnt lgkmcnt(1)
	v_perm_b32 v25, v25, v17, s94
	s_waitcnt lgkmcnt(0)
	v_perm_b32 v24, v9, v72, s94
	v_cvt_f32_f16_e32 v10, v7
	v_cvt_f32_f16_sdwa v11, v7 dst_sel:DWORD dst_unused:UNUSED_PAD src0_sel:WORD_1
	v_cvt_pk_f16_f32 v73, v8, v5
	v_cvt_pk_f16_f32 v72, v6, v1
	ds_read_u16 v17, v119 offset:32
	ds_read_u16 v74, v120 offset:32
	v_mfma_f32_16x16x16_f16 v[6:9], v[24:25], v[72:73], v[10:13]
	s_nop 2
	ds_read_u16 v10, v118 offset:5632
	ds_read_u16 v11, v119 offset:5632
	;; [unrolled: 1-line block ×4, first 2 shown]
	v_pk_mul_f16 v32, v102, v23
	v_pk_mul_f16 v68, v104, v23
	v_cvt_f16_f32_e32 v1, v6
	v_cvt_f16_f32_e32 v5, v7
	;; [unrolled: 1-line block ×4, first 2 shown]
	s_waitcnt lgkmcnt(1)
	v_perm_b32 v11, v12, v11, s94
	s_waitcnt lgkmcnt(0)
	v_perm_b32 v10, v13, v10, s94
	v_cvt_f32_f16_e32 v6, v1
	v_cvt_f32_f16_e32 v7, v5
	v_cvt_f32_f16_e32 v8, v8
	v_cvt_f32_f16_e32 v9, v9
	v_cvt_pk_f16_f32 v13, v4, v71
	v_cvt_pk_f16_f32 v12, v2, v3
	ds_read_u16 v1, v118 offset:32
	v_pk_mul_f16 v69, v105, v23
	v_mfma_f32_16x16x16_f16 v[2:5], v[10:11], v[12:13], v[6:9]
	v_perm_b32 v11, v74, v17, s94
	v_pk_mul_f16 v74, v19, v23
	v_pk_mul_f16 v70, v103, v23
	ds_read_u16 v9, v118 offset:208
	v_cvt_f32_f16_e32 v6, v32
	v_cvt_f32_f16_sdwa v7, v32 dst_sel:DWORD dst_unused:UNUSED_PAD src0_sel:WORD_1
	v_cvt_f32_f16_e32 v8, v68
	v_pk_mul_f16 v32, v20, v23
	s_waitcnt lgkmcnt(0)
	v_perm_b32 v10, v9, v1, s94
	v_cvt_f32_f16_sdwa v9, v68 dst_sel:DWORD dst_unused:UNUSED_PAD src0_sel:WORD_1
	v_pk_mul_f16 v17, v21, v23
	v_pk_mul_f16 v18, v18, v23
	v_mfma_f32_16x16x16_f16 v[6:9], v[10:11], v[72:73], v[6:9]
	ds_read_u16 v10, v118 offset:5664
	ds_read_u16 v11, v119 offset:5664
	;; [unrolled: 1-line block ×4, first 2 shown]
	v_cvt_f16_f32_e32 v21, v5
	v_cvt_f32_f16_sdwa v71, v32 dst_sel:DWORD dst_unused:UNUSED_PAD src0_sel:WORD_1
	s_nop 1
	v_cvt_f16_f32_e32 v1, v6
	v_cvt_f16_f32_e32 v7, v7
	;; [unrolled: 1-line block ×4, first 2 shown]
	s_waitcnt lgkmcnt(1)
	v_perm_b32 v11, v19, v11, s94
	s_waitcnt lgkmcnt(0)
	v_perm_b32 v10, v20, v10, s94
	v_cvt_f32_f16_e32 v6, v1
	v_cvt_f32_f16_e32 v7, v7
	;; [unrolled: 1-line block ×4, first 2 shown]
	v_cvt_f16_f32_e32 v1, v4
	ds_bpermute_b32 v15, v15, v22
	v_mfma_f32_16x16x16_f16 v[4:7], v[10:11], v[12:13], v[6:9]
	ds_read_u16 v11, v118 offset:64
	ds_read_u16 v19, v119 offset:64
	;; [unrolled: 1-line block ×4, first 2 shown]
	v_cvt_f32_f16_e32 v8, v69
	v_cvt_f32_f16_sdwa v9, v69 dst_sel:DWORD dst_unused:UNUSED_PAD src0_sel:WORD_1
	v_cvt_f32_f16_e32 v10, v70
	s_waitcnt lgkmcnt(1)
	v_perm_b32 v25, v20, v19, s94
	s_waitcnt lgkmcnt(0)
	v_perm_b32 v24, v23, v11, s94
	v_cvt_f32_f16_sdwa v11, v70 dst_sel:DWORD dst_unused:UNUSED_PAD src0_sel:WORD_1
	v_perm_b32 v1, v21, v1, s94
	v_cvt_f16_f32_e32 v75, v6
	v_mfma_f32_16x16x16_f16 v[8:11], v[24:25], v[72:73], v[8:11]
	ds_read_u16 v21, v118 offset:5696
	ds_read_u16 v23, v119 offset:5696
	ds_read_u16 v24, v120 offset:5696
	ds_read_u16 v68, v118 offset:5872
	v_cvt_f16_f32_e32 v76, v7
	v_cvt_f32_f16_sdwa v69, v17 dst_sel:DWORD dst_unused:UNUSED_PAD src0_sel:WORD_1
	s_nop 1
	v_cvt_f16_f32_e32 v8, v8
	v_cvt_f16_f32_e32 v9, v9
	;; [unrolled: 1-line block ×4, first 2 shown]
	s_waitcnt lgkmcnt(1)
	v_perm_b32 v25, v24, v23, s94
	s_waitcnt lgkmcnt(0)
	v_perm_b32 v24, v68, v21, s94
	v_cvt_f32_f16_e32 v8, v8
	v_cvt_f32_f16_e32 v9, v9
	v_cvt_f32_f16_e32 v10, v10
	v_cvt_f32_f16_e32 v11, v11
	v_cvt_f32_f16_e32 v68, v17
	v_cvt_f32_f16_e32 v70, v32
	v_mfma_f32_16x16x16_f16 v[6:9], v[24:25], v[12:13], v[8:11]
	s_nop 2
	ds_read_u16 v10, v118 offset:96
	ds_read_u16 v11, v119 offset:96
	;; [unrolled: 1-line block ×4, first 2 shown]
	v_perm_b32 v17, v76, v75, s94
	v_add_f32_e32 v15, v22, v15
	ds_bpermute_b32 v22, v16, v15
	s_waitcnt lgkmcnt(2)
	v_perm_b32 v11, v23, v11, s94
	s_waitcnt lgkmcnt(1)
	v_perm_b32 v10, v24, v10, s94
	v_cvt_f16_f32_e32 v19, v2
	v_cvt_f16_f32_e32 v20, v3
	v_mfma_f32_16x16x16_f16 v[68:71], v[10:11], v[72:73], v[68:71]
	v_cvt_f16_f32_e32 v21, v4
	v_cvt_f16_f32_e32 v23, v5
	;; [unrolled: 1-line block ×3, first 2 shown]
	s_nop 4
	v_cvt_f16_f32_e32 v32, v71
	ds_read_u16 v71, v118 offset:5728
	ds_read_u16 v75, v119 offset:5728
	;; [unrolled: 1-line block ×4, first 2 shown]
	v_cvt_f16_f32_e32 v10, v68
	v_cvt_f16_f32_e32 v11, v69
	v_cvt_f16_f32_e32 v25, v70
	s_waitcnt lgkmcnt(4)
	v_add_f32_e32 v15, v15, v22
	v_cvt_f32_f16_e32 v68, v10
	v_cvt_f32_f16_e32 v69, v11
	s_waitcnt lgkmcnt(1)
	v_perm_b32 v11, v76, v75, s94
	s_waitcnt lgkmcnt(0)
	v_perm_b32 v10, v77, v71, s94
	v_cvt_f32_f16_e32 v70, v25
	v_cvt_f32_f16_e32 v71, v32
	v_cvt_f16_f32_e32 v32, v8
	v_cvt_f16_f32_e32 v76, v9
	v_mfma_f32_16x16x16_f16 v[8:11], v[10:11], v[12:13], v[68:71]
	s_nop 2
	ds_read_u16 v71, v118 offset:128
	ds_read_u16 v75, v119 offset:128
	;; [unrolled: 1-line block ×4, first 2 shown]
	v_cvt_f32_f16_e32 v68, v74
	v_cvt_f32_f16_sdwa v69, v74 dst_sel:DWORD dst_unused:UNUSED_PAD src0_sel:WORD_1
	v_cvt_f32_f16_e32 v70, v18
	s_waitcnt lgkmcnt(1)
	v_perm_b32 v75, v77, v75, s94
	s_waitcnt lgkmcnt(0)
	v_perm_b32 v74, v78, v71, s94
	v_cvt_f32_f16_sdwa v71, v18 dst_sel:DWORD dst_unused:UNUSED_PAD src0_sel:WORD_1
	v_perm_b32 v18, v76, v32, s94
	v_cvt_f16_f32_e32 v10, v10
	v_mfma_f32_16x16x16_f16 v[70:73], v[74:75], v[72:73], v[68:71]
	s_nop 2
	ds_read_u16 v68, v118 offset:5760
	ds_read_u16 v75, v119 offset:5760
	ds_read_u16 v76, v120 offset:5760
	ds_read_u16 v77, v118 offset:5936
	v_cvt_f16_f32_e32 v11, v11
	v_cvt_f16_f32_e32 v25, v7
	;; [unrolled: 1-line block ×6, first 2 shown]
	v_cvt_f32_f16_e32 v72, v69
	s_waitcnt lgkmcnt(1)
	v_perm_b32 v69, v76, v75, s94
	s_waitcnt lgkmcnt(0)
	v_perm_b32 v68, v77, v68, s94
	v_cvt_f32_f16_e32 v73, v70
	v_cvt_f32_f16_e32 v74, v71
	;; [unrolled: 1-line block ×3, first 2 shown]
	v_perm_b32 v32, v11, v10, s94
	v_cvt_f16_f32_e32 v70, v8
	v_mfma_f32_16x16x16_f16 v[10:13], v[68:69], v[12:13], v[72:75]
	v_cvt_f16_f32_e32 v71, v9
	v_perm_b32 v19, v20, v19, s94
	v_perm_b32 v20, v25, v24, s94
	s_nop 4
	v_cvt_f16_f32_e32 v68, v10
	v_cvt_f16_f32_e32 v12, v12
	;; [unrolled: 1-line block ×4, first 2 shown]
	s_barrier
	v_perm_b32 v12, v13, v12, s94
	v_perm_b32 v13, v23, v21, s94
	;; [unrolled: 1-line block ×4, first 2 shown]
	s_and_saveexec_b64 s[2:3], s[30:31]
	s_cbranch_execz .LBB9_188
; %bb.187:                              ;   in Loop: Header=BB9_14 Depth=1
	v_cvt_pk_f16_f32 v4, v4, v5
	v_cvt_pk_f16_f32 v5, v6, v7
	;; [unrolled: 1-line block ×3, first 2 shown]
	global_load_dword v8, v33, s[82:83]
	v_cvt_pk_f16_f32 v3, v2, v3
	v_max_f32_e32 v9, v14, v14
	v_cvt_pk_f16_f32 v7, v10, v11
	s_waitcnt vmcnt(0)
	v_max_f32_e32 v2, v8, v8
	v_max_f32_e32 v2, v9, v2
	v_sub_f32_e32 v9, v14, v2
	v_mul_f32_e32 v10, 0x3fb8aa3b, v9
	v_fma_f32 v11, v9, s4, -v10
	v_rndne_f32_e32 v13, v10
	v_fmac_f32_e32 v11, 0x32a5705f, v9
	v_sub_f32_e32 v10, v10, v13
	v_add_f32_e32 v10, v10, v11
	v_exp_f32_e32 v10, v10
	v_cvt_i32_f32_e32 v11, v13
	v_cmp_ngt_f32_e32 vcc, s78, v9
	v_sub_f32_e32 v8, v8, v2
	v_ldexp_f32 v10, v10, v11
	v_cndmask_b32_e32 v10, 0, v10, vcc
	v_cmp_nlt_f32_e32 vcc, s73, v9
	s_nop 1
	v_cndmask_b32_e32 v10, v180, v10, vcc
	v_cmp_le_f32_e32 vcc, s99, v9
	s_nop 1
	v_cndmask_b32_e32 v9, 0, v10, vcc
	v_cvt_f16_f32_e32 v10, v9
	v_cmp_ngt_f32_e32 vcc, s78, v8
	v_mul_u32_u24_e32 v10, 0x10001, v10
	v_pk_mul_f16 v19, v3, v10
	v_mul_f32_e32 v3, 0x3fb8aa3b, v8
	v_pk_mul_f16 v13, v4, v10
	v_pk_mul_f16 v20, v5, v10
	v_fma_f32 v4, v8, s4, -v3
	v_rndne_f32_e32 v5, v3
	v_fmac_f32_e32 v4, 0x32a5705f, v8
	v_sub_f32_e32 v3, v3, v5
	v_add_f32_e32 v3, v3, v4
	v_exp_f32_e32 v3, v3
	v_cvt_i32_f32_e32 v4, v5
	v_pk_mul_f16 v1, v1, v10
	v_pk_mul_f16 v17, v17, v10
	;; [unrolled: 1-line block ×3, first 2 shown]
	v_ldexp_f32 v3, v3, v4
	v_cndmask_b32_e32 v3, 0, v3, vcc
	v_cmp_nlt_f32_e32 vcc, s73, v8
	v_pk_mul_f16 v21, v6, v10
	v_pk_mul_f16 v32, v32, v10
	v_cndmask_b32_e32 v3, v180, v3, vcc
	v_fmac_f32_e32 v3, v15, v9
	v_pk_mul_f16 v22, v7, v10
	v_pk_mul_f16 v12, v12, v10
	v_mov_b64_e32 v[14:15], v[2:3]
.LBB9_188:                              ;   in Loop: Header=BB9_14 Depth=1
	s_or_b64 exec, exec, s[2:3]
	s_mov_b64 s[2:3], exec
	v_readlane_b32 s30, v223, 56
	v_readlane_b32 s31, v223, 57
	s_and_b64 s[30:31], s[2:3], s[30:31]
	s_mov_b64 exec, s[30:31]
; %bb.189:                              ;   in Loop: Header=BB9_14 Depth=1
	v_add_u32_e32 v2, 0, v140
	ds_write2_b32 v2, v14, v15 offset0:40 offset1:41
; %bb.190:                              ;   in Loop: Header=BB9_14 Depth=1
	s_or_b64 exec, exec, s[2:3]
	s_waitcnt lgkmcnt(0)
	s_barrier
	s_mov_b64 s[2:3], exec
	v_readlane_b32 s30, v223, 39
	v_readlane_b32 s31, v223, 40
	s_and_b64 s[30:31], s[2:3], s[30:31]
	s_xor_b64 s[2:3], s[30:31], s[2:3]
	s_mov_b64 exec, s[30:31]
	s_cbranch_execz .LBB9_192
; %bb.191:                              ;   in Loop: Header=BB9_14 Depth=1
	s_barrier
                                        ; implicit-def: $vgpr16
.LBB9_192:                              ;   in Loop: Header=BB9_14 Depth=1
	s_andn2_saveexec_b64 s[2:3], s[2:3]
	s_cbranch_execz .LBB9_196
; %bb.193:                              ;   in Loop: Header=BB9_14 Depth=1
	v_add_u32_e32 v4, 0, v141
	ds_read_b64 v[2:3], v4 offset:160
	s_waitcnt lgkmcnt(0)
	s_barrier
	ds_bpermute_b32 v5, v16, v2
	v_max_f32_e32 v6, v2, v2
	s_waitcnt lgkmcnt(0)
	v_max_f32_e32 v5, v5, v5
	v_max_f32_e32 v5, v6, v5
	v_sub_f32_e32 v2, v2, v5
	v_mul_f32_e32 v5, 0x3fb8aa3b, v2
	v_fma_f32 v6, v2, s4, -v5
	v_rndne_f32_e32 v7, v5
	v_fmac_f32_e32 v6, 0x32a5705f, v2
	v_sub_f32_e32 v5, v5, v7
	v_add_f32_e32 v5, v5, v6
	v_cvt_i32_f32_e32 v7, v7
	v_exp_f32_e32 v5, v5
	v_cmp_ngt_f32_e32 vcc, s78, v2
	v_ldexp_f32 v5, v5, v7
	s_nop 0
	v_cndmask_b32_e32 v5, 0, v5, vcc
	v_cmp_nlt_f32_e32 vcc, s73, v2
	s_nop 1
	v_cndmask_b32_e32 v2, v180, v5, vcc
	v_mul_f32_e32 v3, v3, v2
	ds_bpermute_b32 v5, v16, v3
	s_mov_b64 s[30:31], exec
	v_readlane_b32 s34, v223, 58
	v_readlane_b32 s35, v223, 59
	s_and_b64 s[34:35], s[30:31], s[34:35]
	s_mov_b64 exec, s[34:35]
	s_cbranch_execz .LBB9_195
; %bb.194:                              ;   in Loop: Header=BB9_14 Depth=1
	s_waitcnt lgkmcnt(0)
	v_add_f32_e32 v3, v3, v5
	ds_write_b64 v4, v[2:3] offset:160
.LBB9_195:                              ;   in Loop: Header=BB9_14 Depth=1
	s_or_b64 exec, exec, s[30:31]
.LBB9_196:                              ;   in Loop: Header=BB9_14 Depth=1
	s_or_b64 exec, exec, s[2:3]
	ds_write2_b32 v121, v19, v1 offset1:1
	ds_write2_b32 v121, v13, v17 offset0:8 offset1:9
	ds_write2_b32 v121, v20, v18 offset0:16 offset1:17
	;; [unrolled: 1-line block ×4, first 2 shown]
	s_waitcnt lgkmcnt(0)
	s_barrier
	s_and_saveexec_b64 s[2:3], s[96:97]
	s_cbranch_execz .LBB9_12
; %bb.197:                              ;   in Loop: Header=BB9_14 Depth=1
	v_add_u32_e32 v1, s77, v122
	v_cmp_gt_i32_e32 vcc, s72, v1
	v_mov_b32_e32 v2, 0x47
	s_and_saveexec_b64 s[30:31], vcc
	s_cbranch_execz .LBB9_199
; %bb.198:                              ;   in Loop: Header=BB9_14 Depth=1
	v_add_u32_e32 v6, 0, v143
	v_add_u32_e32 v4, v154, v143
	ds_read2_b32 v[2:3], v6 offset0:40 offset1:41
	ds_read2st64_b32 v[4:5], v4 offset1:11
	ds_read_b32 v6, v6 offset:2976
	v_readlane_b32 s34, v223, 44
	s_waitcnt lgkmcnt(1)
	v_cvt_f32_f16_e32 v10, v4
	v_cvt_f32_f16_sdwa v11, v4 dst_sel:DWORD dst_unused:UNUSED_PAD src0_sel:WORD_1
	v_cvt_f32_f16_e32 v4, v5
	v_cvt_f32_f16_sdwa v5, v5 dst_sel:DWORD dst_unused:UNUSED_PAD src0_sel:WORD_1
	v_mad_u64_u32 v[8:9], s[34:35], v1, s34, v[26:27]
	v_readlane_b32 s34, v222, 3
	v_pk_fma_f32 v[10:11], v[2:3], v[10:11], 0 op_sel_hi:[0,1,0]
	v_ashrrev_i32_e32 v9, 31, v8
	v_readlane_b32 s35, v222, 4
	s_waitcnt lgkmcnt(0)
	v_pk_fma_f32 v[4:5], v[6:7], v[4:5], v[10:11] op_sel_hi:[0,1,1]
	v_lshl_add_u64 v[8:9], v[8:9], 3, s[34:35]
	v_div_scale_f32 v1, s[34:35], v3, v3, v5
	v_rcp_f32_e32 v2, v1
	s_nop 0
	v_fma_f32 v6, -v1, v2, 1.0
	v_fmac_f32_e32 v2, v6, v2
	v_div_scale_f32 v6, vcc, v5, v3, v5
	v_mul_f32_e32 v7, v6, v2
	v_fma_f32 v10, -v1, v7, v6
	v_fmac_f32_e32 v7, v10, v2
	v_fma_f32 v1, -v1, v7, v6
	v_div_fmas_f32 v1, v1, v2, v7
	v_div_fixup_f32 v5, v1, v3, v5
	v_div_scale_f32 v1, s[34:35], v3, v3, v4
	v_rcp_f32_e32 v2, v1
	s_nop 0
	v_fma_f32 v6, -v1, v2, 1.0
	v_fmac_f32_e32 v2, v6, v2
	v_div_scale_f32 v6, vcc, v4, v3, v4
	v_mul_f32_e32 v7, v6, v2
	v_fma_f32 v10, -v1, v7, v6
	v_fmac_f32_e32 v7, v10, v2
	v_fma_f32 v1, -v1, v7, v6
	v_div_fmas_f32 v1, v1, v2, v7
	v_div_fixup_f32 v4, v1, v3, v4
	v_mov_b32_e32 v2, 0
	global_store_dwordx2 v[8:9], v[4:5], off
.LBB9_199:                              ;   in Loop: Header=BB9_14 Depth=1
	s_or_b64 exec, exec, s[30:31]
	s_movk_i32 s30, 0x47
	v_cmp_gt_i32_e32 vcc, s30, v2
	s_mov_b64 s[30:31], -1
	s_and_saveexec_b64 s[34:35], vcc
; %bb.200:                              ;   in Loop: Header=BB9_14 Depth=1
	v_cmp_eq_u32_e32 vcc, 0, v2
	s_orn2_b64 s[30:31], vcc, exec
; %bb.201:                              ;   in Loop: Header=BB9_14 Depth=1
	s_or_b64 exec, exec, s[34:35]
	s_and_saveexec_b64 s[34:35], s[30:31]
	s_cbranch_execz .LBB9_234
; %bb.202:                              ;   in Loop: Header=BB9_14 Depth=1
	v_add_u32_e32 v1, s77, v124
	v_cmp_gt_i32_e32 vcc, s72, v1
	v_mov_b32_e32 v2, 0x47
	s_and_saveexec_b64 s[30:31], vcc
	s_cbranch_execz .LBB9_204
; %bb.203:                              ;   in Loop: Header=BB9_14 Depth=1
	v_add_u32_e32 v6, 0, v144
	v_add_u32_e32 v4, v154, v144
	ds_read2_b32 v[2:3], v6 offset0:40 offset1:41
	ds_read2st64_b32 v[4:5], v4 offset1:11
	ds_read_b32 v6, v6 offset:2976
	v_readlane_b32 s36, v223, 44
	s_waitcnt lgkmcnt(1)
	v_cvt_f32_f16_e32 v10, v4
	v_cvt_f32_f16_sdwa v11, v4 dst_sel:DWORD dst_unused:UNUSED_PAD src0_sel:WORD_1
	v_cvt_f32_f16_e32 v4, v5
	v_cvt_f32_f16_sdwa v5, v5 dst_sel:DWORD dst_unused:UNUSED_PAD src0_sel:WORD_1
	v_mad_u64_u32 v[8:9], s[36:37], v1, s36, v[26:27]
	v_readlane_b32 s36, v222, 3
	v_pk_fma_f32 v[10:11], v[2:3], v[10:11], 0 op_sel_hi:[0,1,0]
	v_ashrrev_i32_e32 v9, 31, v8
	v_readlane_b32 s37, v222, 4
	s_waitcnt lgkmcnt(0)
	v_pk_fma_f32 v[4:5], v[6:7], v[4:5], v[10:11] op_sel_hi:[0,1,1]
	v_lshl_add_u64 v[8:9], v[8:9], 3, s[36:37]
	v_div_scale_f32 v1, s[36:37], v3, v3, v5
	v_rcp_f32_e32 v2, v1
	s_nop 0
	v_fma_f32 v6, -v1, v2, 1.0
	v_fmac_f32_e32 v2, v6, v2
	v_div_scale_f32 v6, vcc, v5, v3, v5
	v_mul_f32_e32 v7, v6, v2
	v_fma_f32 v10, -v1, v7, v6
	v_fmac_f32_e32 v7, v10, v2
	v_fma_f32 v1, -v1, v7, v6
	v_div_fmas_f32 v1, v1, v2, v7
	v_div_fixup_f32 v5, v1, v3, v5
	v_div_scale_f32 v1, s[36:37], v3, v3, v4
	v_rcp_f32_e32 v2, v1
	s_nop 0
	v_fma_f32 v6, -v1, v2, 1.0
	v_fmac_f32_e32 v2, v6, v2
	v_div_scale_f32 v6, vcc, v4, v3, v4
	v_mul_f32_e32 v7, v6, v2
	v_fma_f32 v10, -v1, v7, v6
	v_fmac_f32_e32 v7, v10, v2
	v_fma_f32 v1, -v1, v7, v6
	v_div_fmas_f32 v1, v1, v2, v7
	v_div_fixup_f32 v4, v1, v3, v4
	v_mov_b32_e32 v2, 0
	global_store_dwordx2 v[8:9], v[4:5], off
.LBB9_204:                              ;   in Loop: Header=BB9_14 Depth=1
	s_or_b64 exec, exec, s[30:31]
	s_movk_i32 s30, 0x47
	v_cmp_gt_i32_e32 vcc, s30, v2
	s_mov_b64 s[30:31], -1
	s_and_saveexec_b64 s[36:37], vcc
; %bb.205:                              ;   in Loop: Header=BB9_14 Depth=1
	v_cmp_eq_u32_e32 vcc, 0, v2
	s_orn2_b64 s[30:31], vcc, exec
; %bb.206:                              ;   in Loop: Header=BB9_14 Depth=1
	s_or_b64 exec, exec, s[36:37]
	s_and_b64 exec, exec, s[30:31]
	s_cbranch_execz .LBB9_234
; %bb.207:                              ;   in Loop: Header=BB9_14 Depth=1
	v_add_u32_e32 v1, s77, v125
	v_cmp_gt_i32_e32 vcc, s72, v1
	v_mov_b32_e32 v2, 0x47
	s_and_saveexec_b64 s[30:31], vcc
	s_cbranch_execz .LBB9_209
; %bb.208:                              ;   in Loop: Header=BB9_14 Depth=1
	v_add_u32_e32 v6, 0, v145
	v_add_u32_e32 v4, v154, v145
	ds_read2_b32 v[2:3], v6 offset0:40 offset1:41
	ds_read2st64_b32 v[4:5], v4 offset1:11
	ds_read_b32 v6, v6 offset:2976
	v_readlane_b32 s36, v223, 44
	s_waitcnt lgkmcnt(1)
	v_cvt_f32_f16_e32 v10, v4
	v_cvt_f32_f16_sdwa v11, v4 dst_sel:DWORD dst_unused:UNUSED_PAD src0_sel:WORD_1
	v_cvt_f32_f16_e32 v4, v5
	v_cvt_f32_f16_sdwa v5, v5 dst_sel:DWORD dst_unused:UNUSED_PAD src0_sel:WORD_1
	v_mad_u64_u32 v[8:9], s[36:37], v1, s36, v[26:27]
	v_readlane_b32 s36, v222, 3
	v_pk_fma_f32 v[10:11], v[2:3], v[10:11], 0 op_sel_hi:[0,1,0]
	v_ashrrev_i32_e32 v9, 31, v8
	v_readlane_b32 s37, v222, 4
	s_waitcnt lgkmcnt(0)
	v_pk_fma_f32 v[4:5], v[6:7], v[4:5], v[10:11] op_sel_hi:[0,1,1]
	v_lshl_add_u64 v[8:9], v[8:9], 3, s[36:37]
	v_div_scale_f32 v1, s[36:37], v3, v3, v5
	v_rcp_f32_e32 v2, v1
	s_nop 0
	v_fma_f32 v6, -v1, v2, 1.0
	v_fmac_f32_e32 v2, v6, v2
	v_div_scale_f32 v6, vcc, v5, v3, v5
	v_mul_f32_e32 v7, v6, v2
	v_fma_f32 v10, -v1, v7, v6
	v_fmac_f32_e32 v7, v10, v2
	v_fma_f32 v1, -v1, v7, v6
	v_div_fmas_f32 v1, v1, v2, v7
	v_div_fixup_f32 v5, v1, v3, v5
	v_div_scale_f32 v1, s[36:37], v3, v3, v4
	v_rcp_f32_e32 v2, v1
	s_nop 0
	v_fma_f32 v6, -v1, v2, 1.0
	v_fmac_f32_e32 v2, v6, v2
	v_div_scale_f32 v6, vcc, v4, v3, v4
	v_mul_f32_e32 v7, v6, v2
	v_fma_f32 v10, -v1, v7, v6
	v_fmac_f32_e32 v7, v10, v2
	v_fma_f32 v1, -v1, v7, v6
	v_div_fmas_f32 v1, v1, v2, v7
	v_div_fixup_f32 v4, v1, v3, v4
	v_mov_b32_e32 v2, 0
	global_store_dwordx2 v[8:9], v[4:5], off
.LBB9_209:                              ;   in Loop: Header=BB9_14 Depth=1
	s_or_b64 exec, exec, s[30:31]
	s_movk_i32 s30, 0x47
	v_cmp_gt_i32_e32 vcc, s30, v2
	s_mov_b64 s[30:31], -1
	s_and_saveexec_b64 s[36:37], vcc
; %bb.210:                              ;   in Loop: Header=BB9_14 Depth=1
	v_cmp_eq_u32_e32 vcc, 0, v2
	s_orn2_b64 s[30:31], vcc, exec
; %bb.211:                              ;   in Loop: Header=BB9_14 Depth=1
	s_or_b64 exec, exec, s[36:37]
	s_and_b64 exec, exec, s[30:31]
	s_cbranch_execz .LBB9_234
; %bb.212:                              ;   in Loop: Header=BB9_14 Depth=1
	v_add_u32_e32 v1, s77, v126
	v_cmp_gt_i32_e32 vcc, s72, v1
	v_mov_b32_e32 v2, 0x47
	s_and_saveexec_b64 s[30:31], vcc
	s_cbranch_execz .LBB9_214
; %bb.213:                              ;   in Loop: Header=BB9_14 Depth=1
	v_add_u32_e32 v6, 0, v146
	v_add_u32_e32 v4, v154, v146
	ds_read2_b32 v[2:3], v6 offset0:40 offset1:41
	ds_read2st64_b32 v[4:5], v4 offset1:11
	ds_read_b32 v6, v6 offset:2976
	v_readlane_b32 s36, v223, 44
	s_waitcnt lgkmcnt(1)
	v_cvt_f32_f16_e32 v10, v4
	v_cvt_f32_f16_sdwa v11, v4 dst_sel:DWORD dst_unused:UNUSED_PAD src0_sel:WORD_1
	v_cvt_f32_f16_e32 v4, v5
	v_cvt_f32_f16_sdwa v5, v5 dst_sel:DWORD dst_unused:UNUSED_PAD src0_sel:WORD_1
	v_mad_u64_u32 v[8:9], s[36:37], v1, s36, v[26:27]
	v_readlane_b32 s36, v222, 3
	v_pk_fma_f32 v[10:11], v[2:3], v[10:11], 0 op_sel_hi:[0,1,0]
	v_ashrrev_i32_e32 v9, 31, v8
	v_readlane_b32 s37, v222, 4
	s_waitcnt lgkmcnt(0)
	v_pk_fma_f32 v[4:5], v[6:7], v[4:5], v[10:11] op_sel_hi:[0,1,1]
	v_lshl_add_u64 v[8:9], v[8:9], 3, s[36:37]
	v_div_scale_f32 v1, s[36:37], v3, v3, v5
	v_rcp_f32_e32 v2, v1
	s_nop 0
	v_fma_f32 v6, -v1, v2, 1.0
	v_fmac_f32_e32 v2, v6, v2
	v_div_scale_f32 v6, vcc, v5, v3, v5
	v_mul_f32_e32 v7, v6, v2
	v_fma_f32 v10, -v1, v7, v6
	v_fmac_f32_e32 v7, v10, v2
	v_fma_f32 v1, -v1, v7, v6
	v_div_fmas_f32 v1, v1, v2, v7
	v_div_fixup_f32 v5, v1, v3, v5
	v_div_scale_f32 v1, s[36:37], v3, v3, v4
	v_rcp_f32_e32 v2, v1
	s_nop 0
	v_fma_f32 v6, -v1, v2, 1.0
	v_fmac_f32_e32 v2, v6, v2
	v_div_scale_f32 v6, vcc, v4, v3, v4
	v_mul_f32_e32 v7, v6, v2
	v_fma_f32 v10, -v1, v7, v6
	v_fmac_f32_e32 v7, v10, v2
	v_fma_f32 v1, -v1, v7, v6
	v_div_fmas_f32 v1, v1, v2, v7
	v_div_fixup_f32 v4, v1, v3, v4
	v_mov_b32_e32 v2, 0
	global_store_dwordx2 v[8:9], v[4:5], off
.LBB9_214:                              ;   in Loop: Header=BB9_14 Depth=1
	s_or_b64 exec, exec, s[30:31]
	s_movk_i32 s30, 0x47
	v_cmp_gt_i32_e32 vcc, s30, v2
	s_mov_b64 s[30:31], -1
	s_and_saveexec_b64 s[36:37], vcc
; %bb.215:                              ;   in Loop: Header=BB9_14 Depth=1
	v_cmp_eq_u32_e32 vcc, 0, v2
	s_orn2_b64 s[30:31], vcc, exec
; %bb.216:                              ;   in Loop: Header=BB9_14 Depth=1
	s_or_b64 exec, exec, s[36:37]
	s_and_b64 exec, exec, s[30:31]
	s_cbranch_execz .LBB9_234
; %bb.217:                              ;   in Loop: Header=BB9_14 Depth=1
	v_add_u32_e32 v1, s77, v127
	v_cmp_gt_i32_e32 vcc, s72, v1
	v_mov_b32_e32 v2, 0x47
	s_and_saveexec_b64 s[30:31], vcc
	s_cbranch_execz .LBB9_219
; %bb.218:                              ;   in Loop: Header=BB9_14 Depth=1
	v_add_u32_e32 v6, 0, v147
	v_add_u32_e32 v4, v154, v147
	ds_read2_b32 v[2:3], v6 offset0:40 offset1:41
	ds_read2st64_b32 v[4:5], v4 offset1:11
	ds_read_b32 v6, v6 offset:2976
	v_readlane_b32 s36, v223, 44
	s_waitcnt lgkmcnt(1)
	v_cvt_f32_f16_e32 v10, v4
	v_cvt_f32_f16_sdwa v11, v4 dst_sel:DWORD dst_unused:UNUSED_PAD src0_sel:WORD_1
	v_cvt_f32_f16_e32 v4, v5
	v_cvt_f32_f16_sdwa v5, v5 dst_sel:DWORD dst_unused:UNUSED_PAD src0_sel:WORD_1
	v_mad_u64_u32 v[8:9], s[36:37], v1, s36, v[26:27]
	v_readlane_b32 s36, v222, 3
	v_pk_fma_f32 v[10:11], v[2:3], v[10:11], 0 op_sel_hi:[0,1,0]
	v_ashrrev_i32_e32 v9, 31, v8
	v_readlane_b32 s37, v222, 4
	s_waitcnt lgkmcnt(0)
	v_pk_fma_f32 v[4:5], v[6:7], v[4:5], v[10:11] op_sel_hi:[0,1,1]
	v_lshl_add_u64 v[8:9], v[8:9], 3, s[36:37]
	v_div_scale_f32 v1, s[36:37], v3, v3, v5
	v_rcp_f32_e32 v2, v1
	s_nop 0
	v_fma_f32 v6, -v1, v2, 1.0
	v_fmac_f32_e32 v2, v6, v2
	v_div_scale_f32 v6, vcc, v5, v3, v5
	v_mul_f32_e32 v7, v6, v2
	v_fma_f32 v10, -v1, v7, v6
	v_fmac_f32_e32 v7, v10, v2
	v_fma_f32 v1, -v1, v7, v6
	v_div_fmas_f32 v1, v1, v2, v7
	v_div_fixup_f32 v5, v1, v3, v5
	v_div_scale_f32 v1, s[36:37], v3, v3, v4
	v_rcp_f32_e32 v2, v1
	s_nop 0
	v_fma_f32 v6, -v1, v2, 1.0
	v_fmac_f32_e32 v2, v6, v2
	v_div_scale_f32 v6, vcc, v4, v3, v4
	v_mul_f32_e32 v7, v6, v2
	v_fma_f32 v10, -v1, v7, v6
	v_fmac_f32_e32 v7, v10, v2
	v_fma_f32 v1, -v1, v7, v6
	v_div_fmas_f32 v1, v1, v2, v7
	v_div_fixup_f32 v4, v1, v3, v4
	v_mov_b32_e32 v2, 0
	global_store_dwordx2 v[8:9], v[4:5], off
.LBB9_219:                              ;   in Loop: Header=BB9_14 Depth=1
	s_or_b64 exec, exec, s[30:31]
	s_movk_i32 s30, 0x47
	v_cmp_gt_i32_e32 vcc, s30, v2
	s_mov_b64 s[30:31], -1
	s_and_saveexec_b64 s[36:37], vcc
; %bb.220:                              ;   in Loop: Header=BB9_14 Depth=1
	v_cmp_eq_u32_e32 vcc, 0, v2
	s_orn2_b64 s[30:31], vcc, exec
; %bb.221:                              ;   in Loop: Header=BB9_14 Depth=1
	s_or_b64 exec, exec, s[36:37]
	s_and_b64 exec, exec, s[30:31]
	s_cbranch_execz .LBB9_234
; %bb.222:                              ;   in Loop: Header=BB9_14 Depth=1
	v_add_u32_e32 v1, s77, v128
	v_cmp_gt_i32_e32 vcc, s72, v1
	v_mov_b32_e32 v2, 0x47
	s_and_saveexec_b64 s[30:31], vcc
	s_cbranch_execz .LBB9_224
; %bb.223:                              ;   in Loop: Header=BB9_14 Depth=1
	v_add_u32_e32 v6, 0, v148
	v_add_u32_e32 v4, v154, v148
	ds_read2_b32 v[2:3], v6 offset0:40 offset1:41
	ds_read2st64_b32 v[4:5], v4 offset1:11
	ds_read_b32 v6, v6 offset:2976
	v_readlane_b32 s36, v223, 44
	s_waitcnt lgkmcnt(1)
	v_cvt_f32_f16_e32 v10, v4
	v_cvt_f32_f16_sdwa v11, v4 dst_sel:DWORD dst_unused:UNUSED_PAD src0_sel:WORD_1
	v_cvt_f32_f16_e32 v4, v5
	v_cvt_f32_f16_sdwa v5, v5 dst_sel:DWORD dst_unused:UNUSED_PAD src0_sel:WORD_1
	v_mad_u64_u32 v[8:9], s[36:37], v1, s36, v[26:27]
	v_readlane_b32 s36, v222, 3
	v_pk_fma_f32 v[10:11], v[2:3], v[10:11], 0 op_sel_hi:[0,1,0]
	v_ashrrev_i32_e32 v9, 31, v8
	v_readlane_b32 s37, v222, 4
	s_waitcnt lgkmcnt(0)
	v_pk_fma_f32 v[4:5], v[6:7], v[4:5], v[10:11] op_sel_hi:[0,1,1]
	v_lshl_add_u64 v[8:9], v[8:9], 3, s[36:37]
	v_div_scale_f32 v1, s[36:37], v3, v3, v5
	v_rcp_f32_e32 v2, v1
	s_nop 0
	v_fma_f32 v6, -v1, v2, 1.0
	v_fmac_f32_e32 v2, v6, v2
	v_div_scale_f32 v6, vcc, v5, v3, v5
	v_mul_f32_e32 v7, v6, v2
	v_fma_f32 v10, -v1, v7, v6
	v_fmac_f32_e32 v7, v10, v2
	v_fma_f32 v1, -v1, v7, v6
	v_div_fmas_f32 v1, v1, v2, v7
	v_div_fixup_f32 v5, v1, v3, v5
	v_div_scale_f32 v1, s[36:37], v3, v3, v4
	v_rcp_f32_e32 v2, v1
	s_nop 0
	v_fma_f32 v6, -v1, v2, 1.0
	v_fmac_f32_e32 v2, v6, v2
	v_div_scale_f32 v6, vcc, v4, v3, v4
	v_mul_f32_e32 v7, v6, v2
	v_fma_f32 v10, -v1, v7, v6
	v_fmac_f32_e32 v7, v10, v2
	v_fma_f32 v1, -v1, v7, v6
	v_div_fmas_f32 v1, v1, v2, v7
	v_div_fixup_f32 v4, v1, v3, v4
	v_mov_b32_e32 v2, 0
	global_store_dwordx2 v[8:9], v[4:5], off
.LBB9_224:                              ;   in Loop: Header=BB9_14 Depth=1
	s_or_b64 exec, exec, s[30:31]
	s_movk_i32 s30, 0x47
	v_cmp_gt_i32_e32 vcc, s30, v2
	s_mov_b64 s[30:31], -1
	s_and_saveexec_b64 s[36:37], vcc
; %bb.225:                              ;   in Loop: Header=BB9_14 Depth=1
	v_cmp_eq_u32_e32 vcc, 0, v2
	s_orn2_b64 s[30:31], vcc, exec
; %bb.226:                              ;   in Loop: Header=BB9_14 Depth=1
	s_or_b64 exec, exec, s[36:37]
	s_and_b64 exec, exec, s[30:31]
	s_cbranch_execz .LBB9_234
; %bb.227:                              ;   in Loop: Header=BB9_14 Depth=1
	v_add_u32_e32 v1, s77, v129
	v_cmp_gt_i32_e32 vcc, s72, v1
	v_mov_b32_e32 v2, 0x47
	s_and_saveexec_b64 s[30:31], vcc
	s_cbranch_execz .LBB9_229
; %bb.228:                              ;   in Loop: Header=BB9_14 Depth=1
	v_add_u32_e32 v6, 0, v149
	v_add_u32_e32 v4, v154, v149
	ds_read2_b32 v[2:3], v6 offset0:40 offset1:41
	ds_read2st64_b32 v[4:5], v4 offset1:11
	ds_read_b32 v6, v6 offset:2976
	v_readlane_b32 s36, v223, 44
	s_waitcnt lgkmcnt(1)
	v_cvt_f32_f16_e32 v10, v4
	v_cvt_f32_f16_sdwa v11, v4 dst_sel:DWORD dst_unused:UNUSED_PAD src0_sel:WORD_1
	v_cvt_f32_f16_e32 v4, v5
	v_cvt_f32_f16_sdwa v5, v5 dst_sel:DWORD dst_unused:UNUSED_PAD src0_sel:WORD_1
	v_mad_u64_u32 v[8:9], s[36:37], v1, s36, v[26:27]
	v_readlane_b32 s36, v222, 3
	v_pk_fma_f32 v[10:11], v[2:3], v[10:11], 0 op_sel_hi:[0,1,0]
	v_ashrrev_i32_e32 v9, 31, v8
	v_readlane_b32 s37, v222, 4
	s_waitcnt lgkmcnt(0)
	v_pk_fma_f32 v[4:5], v[6:7], v[4:5], v[10:11] op_sel_hi:[0,1,1]
	v_lshl_add_u64 v[8:9], v[8:9], 3, s[36:37]
	v_div_scale_f32 v1, s[36:37], v3, v3, v5
	v_rcp_f32_e32 v2, v1
	s_nop 0
	v_fma_f32 v6, -v1, v2, 1.0
	v_fmac_f32_e32 v2, v6, v2
	v_div_scale_f32 v6, vcc, v5, v3, v5
	v_mul_f32_e32 v7, v6, v2
	v_fma_f32 v10, -v1, v7, v6
	v_fmac_f32_e32 v7, v10, v2
	v_fma_f32 v1, -v1, v7, v6
	v_div_fmas_f32 v1, v1, v2, v7
	v_div_fixup_f32 v5, v1, v3, v5
	v_div_scale_f32 v1, s[36:37], v3, v3, v4
	v_rcp_f32_e32 v2, v1
	s_nop 0
	v_fma_f32 v6, -v1, v2, 1.0
	v_fmac_f32_e32 v2, v6, v2
	v_div_scale_f32 v6, vcc, v4, v3, v4
	v_mul_f32_e32 v7, v6, v2
	v_fma_f32 v10, -v1, v7, v6
	v_fmac_f32_e32 v7, v10, v2
	v_fma_f32 v1, -v1, v7, v6
	v_div_fmas_f32 v1, v1, v2, v7
	v_div_fixup_f32 v4, v1, v3, v4
	v_mov_b32_e32 v2, 0
	global_store_dwordx2 v[8:9], v[4:5], off
.LBB9_229:                              ;   in Loop: Header=BB9_14 Depth=1
	s_or_b64 exec, exec, s[30:31]
	s_movk_i32 s30, 0x47
	v_cmp_gt_i32_e32 vcc, s30, v2
	s_mov_b64 s[30:31], -1
	s_and_saveexec_b64 s[36:37], vcc
; %bb.230:                              ;   in Loop: Header=BB9_14 Depth=1
	v_cmp_eq_u32_e32 vcc, 0, v2
	s_orn2_b64 s[30:31], vcc, exec
; %bb.231:                              ;   in Loop: Header=BB9_14 Depth=1
	s_or_b64 exec, exec, s[36:37]
	s_and_b64 exec, exec, s[30:31]
	s_cbranch_execz .LBB9_234
; %bb.232:                              ;   in Loop: Header=BB9_14 Depth=1
	v_add_u32_e32 v1, s77, v130
	v_cmp_gt_i32_e32 vcc, s72, v1
	s_and_b64 exec, exec, vcc
	s_cbranch_execz .LBB9_234
; %bb.233:                              ;   in Loop: Header=BB9_14 Depth=1
	v_add_u32_e32 v6, 0, v150
	v_add_u32_e32 v4, v154, v150
	ds_read2_b32 v[2:3], v6 offset0:40 offset1:41
	ds_read2st64_b32 v[4:5], v4 offset1:11
	ds_read_b32 v6, v6 offset:2976
	v_readlane_b32 s30, v223, 44
	s_waitcnt lgkmcnt(1)
	v_cvt_f32_f16_e32 v10, v4
	v_cvt_f32_f16_sdwa v11, v4 dst_sel:DWORD dst_unused:UNUSED_PAD src0_sel:WORD_1
	v_cvt_f32_f16_e32 v4, v5
	v_cvt_f32_f16_sdwa v5, v5 dst_sel:DWORD dst_unused:UNUSED_PAD src0_sel:WORD_1
	v_mad_u64_u32 v[8:9], s[30:31], v1, s30, v[26:27]
	v_readlane_b32 s30, v222, 3
	v_pk_fma_f32 v[10:11], v[2:3], v[10:11], 0 op_sel_hi:[0,1,0]
	v_ashrrev_i32_e32 v9, 31, v8
	v_readlane_b32 s31, v222, 4
	s_waitcnt lgkmcnt(0)
	v_pk_fma_f32 v[4:5], v[6:7], v[4:5], v[10:11] op_sel_hi:[0,1,1]
	v_lshl_add_u64 v[8:9], v[8:9], 3, s[30:31]
	v_div_scale_f32 v1, s[30:31], v3, v3, v5
	v_rcp_f32_e32 v2, v1
	s_nop 0
	v_fma_f32 v6, -v1, v2, 1.0
	v_fmac_f32_e32 v2, v6, v2
	v_div_scale_f32 v6, vcc, v5, v3, v5
	v_mul_f32_e32 v7, v6, v2
	v_fma_f32 v10, -v1, v7, v6
	v_fmac_f32_e32 v7, v10, v2
	v_fma_f32 v1, -v1, v7, v6
	v_div_fmas_f32 v1, v1, v2, v7
	v_div_fixup_f32 v5, v1, v3, v5
	v_div_scale_f32 v1, s[30:31], v3, v3, v4
	v_rcp_f32_e32 v2, v1
	s_nop 0
	v_fma_f32 v6, -v1, v2, 1.0
	v_fmac_f32_e32 v2, v6, v2
	v_div_scale_f32 v6, vcc, v4, v3, v4
	v_mul_f32_e32 v7, v6, v2
	v_fma_f32 v10, -v1, v7, v6
	v_fmac_f32_e32 v7, v10, v2
	v_fma_f32 v1, -v1, v7, v6
	v_div_fmas_f32 v1, v1, v2, v7
	v_div_fixup_f32 v4, v1, v3, v4
	global_store_dwordx2 v[8:9], v[4:5], off
.LBB9_234:                              ;   in Loop: Header=BB9_14 Depth=1
	s_or_b64 exec, exec, s[34:35]
	v_add_u32_e32 v2, s77, v123
	v_cmp_gt_i32_e32 vcc, s72, v2
	v_mov_b32_e32 v1, 0x47
	s_and_saveexec_b64 s[30:31], vcc
	s_cbranch_execz .LBB9_236
; %bb.235:                              ;   in Loop: Header=BB9_14 Depth=1
	v_add_u32_e32 v3, v142, v151
	v_add_u32_e32 v1, 0, v151
	;; [unrolled: 1-line block ×3, first 2 shown]
	ds_read2_b32 v[4:5], v1 offset0:40 offset1:41
	ds_read2st64_b32 v[6:7], v3 offset1:11
	ds_read_b32 v8, v1 offset:2976
	v_readlane_b32 s34, v223, 44
	s_waitcnt lgkmcnt(1)
	v_cvt_f32_f16_e32 v10, v6
	v_cvt_f32_f16_sdwa v11, v6 dst_sel:DWORD dst_unused:UNUSED_PAD src0_sel:WORD_1
	v_cvt_f32_f16_e32 v6, v7
	v_cvt_f32_f16_sdwa v7, v7 dst_sel:DWORD dst_unused:UNUSED_PAD src0_sel:WORD_1
	v_mul_lo_u32 v2, v2, s34
	v_ashrrev_i32_e32 v3, 31, v2
	v_readlane_b32 s34, v222, 3
	v_pk_fma_f32 v[10:11], v[4:5], v[10:11], 0 op_sel_hi:[0,1,0]
	v_lshl_add_u64 v[2:3], v[2:3], 0, v[28:29]
	v_readlane_b32 s35, v222, 4
	s_waitcnt lgkmcnt(0)
	v_pk_fma_f32 v[6:7], v[8:9], v[6:7], v[10:11] op_sel_hi:[0,1,1]
	v_lshl_add_u64 v[2:3], v[2:3], 3, s[34:35]
	v_div_scale_f32 v1, s[34:35], v5, v5, v7
	v_rcp_f32_e32 v4, v1
	s_nop 0
	v_fma_f32 v8, -v1, v4, 1.0
	v_fmac_f32_e32 v4, v8, v4
	v_div_scale_f32 v8, vcc, v7, v5, v7
	v_mul_f32_e32 v9, v8, v4
	v_fma_f32 v10, -v1, v9, v8
	v_fmac_f32_e32 v9, v10, v4
	v_fma_f32 v1, -v1, v9, v8
	v_div_fmas_f32 v1, v1, v4, v9
	v_div_fixup_f32 v7, v1, v5, v7
	v_div_scale_f32 v1, s[34:35], v5, v5, v6
	v_rcp_f32_e32 v4, v1
	s_nop 0
	v_fma_f32 v8, -v1, v4, 1.0
	v_fmac_f32_e32 v4, v8, v4
	v_div_scale_f32 v8, vcc, v6, v5, v6
	v_mul_f32_e32 v9, v8, v4
	v_fma_f32 v10, -v1, v9, v8
	v_fmac_f32_e32 v9, v10, v4
	v_fma_f32 v1, -v1, v9, v8
	v_div_fmas_f32 v1, v1, v4, v9
	v_div_fixup_f32 v6, v1, v5, v6
	v_mov_b32_e32 v1, 0
	global_store_dwordx2 v[2:3], v[6:7], off offset:256
.LBB9_236:                              ;   in Loop: Header=BB9_14 Depth=1
	s_or_b64 exec, exec, s[30:31]
	s_movk_i32 s30, 0x47
	v_cmp_gt_i32_e32 vcc, s30, v1
	s_mov_b64 s[30:31], -1
	s_and_saveexec_b64 s[34:35], vcc
; %bb.237:                              ;   in Loop: Header=BB9_14 Depth=1
	v_cmp_eq_u32_e32 vcc, 0, v1
	s_orn2_b64 s[30:31], vcc, exec
; %bb.238:                              ;   in Loop: Header=BB9_14 Depth=1
	s_or_b64 exec, exec, s[34:35]
	s_and_b64 exec, exec, s[30:31]
	s_cbranch_execz .LBB9_12
; %bb.239:                              ;   in Loop: Header=BB9_14 Depth=1
	v_add_u32_e32 v1, s77, v131
	v_cmp_gt_i32_e32 vcc, s72, v1
	s_and_b64 exec, exec, vcc
	s_cbranch_execz .LBB9_12
; %bb.240:                              ;   in Loop: Header=BB9_14 Depth=1
	v_readlane_b32 s30, v223, 44
	v_add_u32_e32 v3, v142, v152
	v_add_u32_e32 v3, 0x80, v3
	v_mul_lo_u32 v2, v1, s30
	v_add_u32_e32 v1, 0, v152
	ds_read2_b32 v[4:5], v1 offset0:40 offset1:41
	ds_read2st64_b32 v[6:7], v3 offset1:11
	ds_read_b32 v8, v1 offset:2976
	v_ashrrev_i32_e32 v3, 31, v2
	v_readlane_b32 s30, v222, 3
	v_lshl_add_u64 v[2:3], v[2:3], 0, v[28:29]
	s_waitcnt lgkmcnt(1)
	v_cvt_f32_f16_e32 v10, v6
	v_cvt_f32_f16_sdwa v11, v6 dst_sel:DWORD dst_unused:UNUSED_PAD src0_sel:WORD_1
	v_cvt_f32_f16_e32 v6, v7
	v_cvt_f32_f16_sdwa v7, v7 dst_sel:DWORD dst_unused:UNUSED_PAD src0_sel:WORD_1
	v_readlane_b32 s31, v222, 4
	v_pk_fma_f32 v[10:11], v[4:5], v[10:11], 0 op_sel_hi:[0,1,0]
	s_waitcnt lgkmcnt(0)
	v_pk_fma_f32 v[6:7], v[8:9], v[6:7], v[10:11] op_sel_hi:[0,1,1]
	v_lshl_add_u64 v[2:3], v[2:3], 3, s[30:31]
	v_div_scale_f32 v1, s[30:31], v5, v5, v7
	v_rcp_f32_e32 v4, v1
	s_nop 0
	v_fma_f32 v8, -v1, v4, 1.0
	v_fmac_f32_e32 v4, v8, v4
	v_div_scale_f32 v8, vcc, v7, v5, v7
	v_mul_f32_e32 v9, v8, v4
	v_fma_f32 v10, -v1, v9, v8
	v_fmac_f32_e32 v9, v10, v4
	v_fma_f32 v1, -v1, v9, v8
	v_div_fmas_f32 v1, v1, v4, v9
	v_div_fixup_f32 v7, v1, v5, v7
	v_div_scale_f32 v1, s[30:31], v5, v5, v6
	v_rcp_f32_e32 v4, v1
	s_nop 0
	v_fma_f32 v8, -v1, v4, 1.0
	v_fmac_f32_e32 v4, v8, v4
	v_div_scale_f32 v8, vcc, v6, v5, v6
	v_mul_f32_e32 v9, v8, v4
	v_fma_f32 v10, -v1, v9, v8
	v_fmac_f32_e32 v9, v10, v4
	v_fma_f32 v1, -v1, v9, v8
	v_div_fmas_f32 v1, v1, v4, v9
	v_div_fixup_f32 v6, v1, v5, v6
	global_store_dwordx2 v[2:3], v[6:7], off offset:256
	s_branch .LBB9_12
.LBB9_241:
	v_readlane_b32 s12, v223, 31
	v_readlane_b32 s52, v223, 41
	v_readlane_b32 s53, v223, 25
	v_readlane_b32 s54, v223, 60
	v_readlane_b32 s13, v223, 32
	v_readlane_b32 s14, v223, 33
	v_readlane_b32 s15, v223, 34
	v_readlane_b32 s16, v223, 42
	v_readlane_b32 s55, v223, 61
	v_readlane_b32 s17, v223, 43
	s_andn2_b64 vcc, exec, s[2:3]
	s_cbranch_vccnz .LBB9_10
.LBB9_242:
	v_readlane_b32 s7, v223, 7
	s_abs_i32 s0, s7
	v_cvt_f32_u32_e32 v1, s0
	s_sub_i32 s3, 0, s0
	s_abs_i32 s2, s98
	s_xor_b32 s1, s98, s7
	v_rcp_iflag_f32_e32 v1, v1
	s_ashr_i32 s1, s1, 31
	v_readlane_b32 s8, v223, 6
	v_readlane_b32 s9, v223, 3
	v_mul_f32_e32 v1, 0x4f7ffffe, v1
	v_cvt_u32_f32_e32 v1, v1
	s_nop 0
	v_readfirstlane_b32 s4, v1
	s_mul_i32 s3, s3, s4
	s_mul_hi_u32 s3, s4, s3
	s_add_i32 s4, s4, s3
	s_mul_hi_u32 s3, s2, s4
	s_mul_i32 s4, s3, s0
	s_sub_i32 s2, s2, s4
	s_add_i32 s5, s3, 1
	s_sub_i32 s4, s2, s0
	s_cmp_ge_u32 s2, s0
	s_cselect_b32 s3, s5, s3
	s_cselect_b32 s2, s4, s2
	s_add_i32 s4, s3, 1
	s_cmp_ge_u32 s2, s0
	s_cselect_b32 s0, s4, s3
	s_abs_i32 s2, s8
	v_cvt_f32_u32_e32 v1, s2
	s_xor_b32 s0, s0, s1
	s_sub_i32 s3, 0, s2
	s_sub_i32 s6, s0, s1
	v_rcp_iflag_f32_e32 v1, v1
	s_mul_i32 s0, s6, s7
	s_sub_i32 s0, s98, s0
	s_abs_i32 s4, s0
	v_mul_f32_e32 v1, 0x4f7ffffe, v1
	v_cvt_u32_f32_e32 v1, v1
	s_xor_b32 s1, s0, s8
	s_ashr_i32 s1, s1, 31
	v_readfirstlane_b32 s5, v1
	s_mul_i32 s3, s3, s5
	s_mul_hi_u32 s3, s5, s3
	s_add_i32 s5, s5, s3
	s_mul_hi_u32 s3, s4, s5
	s_mul_i32 s5, s3, s2
	s_sub_i32 s4, s4, s5
	s_add_i32 s7, s3, 1
	s_sub_i32 s5, s4, s2
	s_cmp_ge_u32 s4, s2
	s_cselect_b32 s3, s7, s3
	s_cselect_b32 s4, s5, s4
	s_add_i32 s5, s3, 1
	s_cmp_ge_u32 s4, s2
	s_cselect_b32 s2, s5, s3
	s_abs_i32 s3, s9
	v_cvt_f32_u32_e32 v1, s3
	s_xor_b32 s2, s2, s1
	s_sub_i32 s4, 0, s3
	s_sub_i32 s7, s2, s1
	v_rcp_iflag_f32_e32 v1, v1
	s_mul_i32 s1, s7, s8
	s_sub_i32 s1, s0, s1
	s_abs_i32 s2, s1
	v_mul_f32_e32 v1, 0x4f7ffffe, v1
	v_cvt_u32_f32_e32 v1, v1
	s_xor_b32 s0, s1, s9
	s_ashr_i32 s0, s0, 31
	v_readfirstlane_b32 s5, v1
	s_mul_i32 s4, s4, s5
	s_mul_hi_u32 s4, s5, s4
	s_add_i32 s5, s5, s4
	s_mul_hi_u32 s4, s2, s5
	s_mul_i32 s5, s4, s3
	s_sub_i32 s2, s2, s5
	s_add_i32 s8, s4, 1
	s_sub_i32 s5, s2, s3
	s_cmp_ge_u32 s2, s3
	s_cselect_b32 s4, s8, s4
	s_cselect_b32 s2, s5, s2
	s_add_i32 s5, s4, 1
	s_cmp_ge_u32 s2, s3
	s_cselect_b32 s2, s5, s4
	s_xor_b32 s2, s2, s0
	s_sub_i32 s0, s2, s0
	s_mul_i32 s2, s0, s9
	s_sub_i32 s1, s1, s2
	s_abs_i32 s10, s1
	s_ashr_i32 s8, s6, 31
	s_mul_hi_u32 s9, s10, s43
	s_cmp_eq_u64 s[62:63], 0
	s_mov_b64 s[2:3], 0
	s_cbranch_scc1 .LBB9_244
; %bb.243:
	s_abs_i32 s2, s16
	v_cvt_f32_u32_e32 v1, s2
	s_sub_i32 s4, 0, s2
	s_abs_i32 s3, s6
	v_readlane_b32 s16, v223, 15
	v_rcp_iflag_f32_e32 v1, v1
	v_readlane_b32 s17, v223, 16
	v_mul_f32_e32 v1, 0x4f7ffffe, v1
	v_cvt_u32_f32_e32 v1, v1
	s_nop 0
	v_readfirstlane_b32 s5, v1
	s_mul_i32 s4, s4, s5
	s_mul_hi_u32 s4, s5, s4
	s_add_i32 s5, s5, s4
	s_mul_hi_u32 s4, s3, s5
	s_mul_i32 s4, s4, s2
	s_sub_i32 s3, s3, s4
	s_sub_i32 s4, s3, s2
	s_cmp_ge_u32 s3, s2
	s_cselect_b32 s3, s4, s3
	s_sub_i32 s4, s3, s2
	s_cmp_ge_u32 s3, s2
	s_cselect_b32 s2, s4, s3
	s_xor_b32 s2, s2, s8
	s_sub_i32 s2, s2, s8
	s_ashr_i32 s3, s2, 31
	s_mul_hi_u32 s4, s16, s2
	s_mul_i32 s3, s16, s3
	s_mul_i32 s5, s17, s2
	s_add_i32 s3, s4, s3
	s_add_i32 s3, s3, s5
	s_mul_i32 s2, s16, s2
	s_add_u32 s2, s62, s2
	s_addc_u32 s3, s63, s3
.LBB9_244:
	s_ashr_i32 s12, s1, 31
	v_readlane_b32 s1, v223, 2
	s_mul_i32 s11, s7, s1
	s_add_i32 s11, s11, s0
	v_cmp_le_f32_e64 s[0:1], s13, 0
	s_and_b64 vcc, exec, s[0:1]
	v_mov_b32_e32 v18, 1.0
	s_cbranch_vccnz .LBB9_246
; %bb.245:
	v_readlane_b32 s0, v223, 12
	v_mov_b32_e32 v2, s15
	v_mov_b32_e32 v3, s14
	;; [unrolled: 1-line block ×3, first 2 shown]
	v_sub_co_u32_e32 v1, vcc, s11, v1
	s_add_i32 s0, s11, 1
	v_lshlrev_b32_e32 v1, 1, v1
	v_cndmask_b32_e32 v2, v2, v3, vcc
	v_or_b32_e32 v1, 1, v1
	v_mov_b32_e32 v3, s0
	v_cndmask_b32_e32 v1, v1, v3, vcc
	v_cvt_f32_i32_e32 v1, v1
	v_cmp_neq_f32_e32 vcc, 1.0, v2
	s_mov_b32 s0, 0x3f2aaaab
	s_movk_i32 s4, 0x204
	v_cndmask_b32_e32 v1, 1.0, v1, vcc
	v_cmp_neq_f32_e32 vcc, 0, v1
	s_mov_b32 s1, 0x42b17218
	s_mov_b32 s5, 0x3fb8aa3b
	v_cndmask_b32_e32 v18, 1.0, v2, vcc
	v_frexp_mant_f32_e64 v2, |v18|
	v_cmp_gt_f32_e32 vcc, s0, v2
	s_mov_b32 s0, 0x3f317218
	s_brev_b32 s13, -2
	v_cndmask_b32_e64 v3, 1.0, 2.0, vcc
	v_mul_f32_e32 v2, v2, v3
	v_add_f32_e32 v5, 1.0, v2
	v_rcp_f32_e32 v10, v5
	v_add_f32_e32 v3, -1.0, v5
	v_sub_f32_e32 v7, v2, v3
	v_add_f32_e32 v3, -1.0, v2
	v_mul_f32_e32 v11, v3, v10
	v_mul_f32_e32 v4, v5, v11
	v_fma_f32 v6, v11, v5, -v4
	v_fmac_f32_e32 v6, v11, v7
	v_add_f32_e32 v2, v4, v6
	v_sub_f32_e32 v5, v3, v2
	v_pk_add_f32 v[8:9], v[2:3], v[4:5] neg_lo:[0,1] neg_hi:[0,1]
	v_mov_b32_e32 v7, v2
	v_pk_add_f32 v[2:3], v[8:9], v[6:7] neg_lo:[0,1] neg_hi:[0,1]
	v_mov_b32_e32 v6, 0x3e91f4c4
	v_add_f32_e32 v2, v2, v3
	v_add_f32_e32 v2, v5, v2
	v_mul_f32_e32 v3, v10, v2
	v_add_f32_e32 v2, v11, v3
	v_sub_f32_e32 v4, v2, v11
	v_sub_f32_e32 v12, v3, v4
	v_mul_f32_e32 v3, v2, v2
	v_fma_f32 v5, v2, v2, -v3
	v_add_f32_e32 v4, v12, v12
	v_fmac_f32_e32 v5, v2, v4
	v_add_f32_e32 v4, v3, v5
	v_fmac_f32_e32 v6, 0x3e76c4e1, v4
	v_fmaak_f32 v6, v4, v6, 0x3ecccdef
	v_sub_f32_e32 v3, v4, v3
	v_sub_f32_e32 v13, v5, v3
	v_mul_f32_e32 v3, v4, v6
	v_fma_f32 v5, v4, v6, -v3
	v_fmac_f32_e32 v5, v13, v6
	v_add_f32_e32 v6, v3, v5
	v_add_f32_e32 v7, 0x3f2aaaaa, v6
	v_sub_f32_e32 v3, v6, v3
	v_sub_f32_e32 v3, v5, v3
	v_add_f32_e32 v5, 0xbf2aaaaa, v7
	v_add_f32_e32 v3, 0x31739010, v3
	v_sub_f32_e32 v5, v6, v5
	v_pk_mul_f32 v[8:9], v[2:3], v[4:5]
	v_pk_add_f32 v[10:11], v[2:3], v[4:5]
	v_fma_f32 v6, v4, v2, -v8
	v_fmac_f32_e32 v6, v4, v12
	v_mov_b32_e32 v9, v11
	v_fmac_f32_e32 v6, v13, v2
	v_pk_add_f32 v[4:5], v[8:9], v[6:7]
	v_ldexp_f32 v14, v12, 1
	v_sub_f32_e32 v3, v4, v8
	v_sub_f32_e32 v3, v6, v3
	;; [unrolled: 1-line block ×3, first 2 shown]
	v_add_f32_e32 v9, v11, v6
	v_pk_mul_f32 v[6:7], v[4:5], v[4:5] op_sel:[0,1] op_sel_hi:[1,0]
	v_cvt_f64_f32_e64 v[10:11], |v18|
	v_frexp_exp_i32_f64_e32 v7, v[10:11]
	v_subbrev_co_u32_e32 v7, vcc, 0, v7, vcc
	v_cvt_f32_i32_e32 v7, v7
	v_fma_f32 v8, v4, v5, -v6
	v_fmac_f32_e32 v8, v4, v9
	v_fmac_f32_e32 v8, v3, v5
	v_mul_f32_e32 v4, 0x3f317218, v7
	v_fma_f32 v3, v7, s0, -v4
	v_fmamk_f32 v10, v7, 0xb102e308, v3
	v_ldexp_f32 v11, v2, 1
	v_add_f32_e32 v5, v6, v8
	v_pk_add_f32 v[2:3], v[4:5], v[10:11]
	v_mov_b32_e32 v12, v5
	v_mov_b32_e32 v13, v3
	v_mov_b32_e32 v7, v11
	v_pk_add_f32 v[6:7], v[12:13], v[6:7] neg_lo:[0,1] neg_hi:[0,1]
	v_mov_b32_e32 v9, v5
	v_pk_add_f32 v[6:7], v[8:9], v[6:7] neg_lo:[0,1] neg_hi:[0,1]
	v_mov_b32_e32 v11, v2
	v_add_f32_e32 v5, v14, v6
	v_add_f32_e32 v5, v5, v7
	v_pk_add_f32 v[6:7], v[2:3], v[4:5] neg_lo:[0,1] neg_hi:[0,1]
	v_pk_add_f32 v[8:9], v[2:3], v[4:5]
	v_mov_b32_e32 v16, v3
	v_mov_b32_e32 v7, v9
	v_pk_add_f32 v[12:13], v[10:11], v[6:7] neg_lo:[0,1] neg_hi:[0,1]
	v_pk_add_f32 v[6:7], v[10:11], v[6:7]
	v_mov_b32_e32 v4, v5
	v_pk_add_f32 v[10:11], v[6:7], v[2:3] op_sel:[1,0] op_sel_hi:[0,1] neg_lo:[0,1] neg_hi:[0,1]
	v_pk_add_f32 v[14:15], v[8:9], v[10:11] op_sel_hi:[1,0] neg_lo:[0,1] neg_hi:[0,1]
	v_mov_b32_e32 v8, v9
	v_mov_b32_e32 v9, v7
	;; [unrolled: 1-line block ×3, first 2 shown]
	v_pk_add_f32 v[8:9], v[8:9], v[16:17] neg_lo:[0,1] neg_hi:[0,1]
	v_mov_b32_e32 v5, v2
	v_pk_add_f32 v[2:3], v[4:5], v[8:9] neg_lo:[0,1] neg_hi:[0,1]
	v_mov_b32_e32 v14, v12
	v_pk_add_f32 v[4:5], v[14:15], v[2:3]
	v_mov_b32_e32 v13, v7
	v_pk_add_f32 v[8:9], v[4:5], v[4:5] op_sel:[0,1] op_sel_hi:[1,0]
	s_mov_b32 s0, 0x7f800000
	v_pk_add_f32 v[6:7], v[6:7], v[8:9] op_sel:[1,0] op_sel_hi:[0,1]
	v_mov_b32_e32 v5, v6
	v_pk_add_f32 v[10:11], v[4:5], v[12:13] neg_lo:[0,1] neg_hi:[0,1]
	v_mov_b32_e32 v3, v8
	v_sub_f32_e32 v4, v4, v10
	v_pk_add_f32 v[2:3], v[2:3], v[10:11] neg_lo:[0,1] neg_hi:[0,1]
	v_sub_f32_e32 v4, v12, v4
	v_add_f32_e32 v2, v2, v4
	v_add_f32_e32 v2, v2, v3
	;; [unrolled: 1-line block ×3, first 2 shown]
	v_sub_f32_e32 v4, v3, v6
	v_sub_f32_e32 v2, v2, v4
	v_mul_f32_e32 v4, v1, v3
	v_fma_f32 v3, v1, v3, -v4
	v_fmac_f32_e32 v3, v1, v2
	v_add_f32_e32 v2, v4, v3
	v_cmp_class_f32_e64 vcc, v4, s4
	v_sub_f32_e32 v5, v2, v4
	v_sub_f32_e32 v3, v3, v5
	v_cndmask_b32_e32 v2, v2, v4, vcc
	v_mov_b32_e32 v4, 0x37000000
	v_cmp_eq_f32_e32 vcc, s1, v2
	v_cmp_class_f32_e64 s[14:15], v18, s4
	s_nop 0
	v_cndmask_b32_e32 v4, 0, v4, vcc
	v_sub_f32_e32 v5, v2, v4
	v_mul_f32_e32 v6, 0x3fb8aa3b, v5
	v_fma_f32 v7, v5, s5, -v6
	v_rndne_f32_e32 v8, v6
	v_fmamk_f32 v7, v5, 0x32a5705f, v7
	v_sub_f32_e32 v6, v6, v8
	v_add_f32_e32 v6, v6, v7
	v_exp_f32_e32 v6, v6
	v_cvt_i32_f32_e32 v7, v8
	v_cmp_neq_f32_e64 vcc, |v2|, s0
	s_mov_b32 s0, 0xc2ce8ed0
	s_nop 0
	v_cndmask_b32_e32 v2, 0, v3, vcc
	v_ldexp_f32 v3, v6, v7
	v_cmp_ngt_f32_e32 vcc, s0, v5
	v_add_f32_e32 v2, v4, v2
	v_mov_b32_e32 v4, 0x7f800000
	v_cndmask_b32_e32 v3, 0, v3, vcc
	v_cmp_nlt_f32_e32 vcc, s1, v5
	v_mov_b32_e32 v5, 0x7fc00000
	s_nop 0
	v_cndmask_b32_e32 v3, v4, v3, vcc
	v_fma_f32 v2, v3, v2, v3
	v_cmp_class_f32_e64 vcc, v3, s4
	v_cmp_gt_f32_e64 s[4:5], 0, v1
	s_nop 0
	v_cndmask_b32_e32 v2, v2, v3, vcc
	v_trunc_f32_e32 v3, v1
	v_cmp_eq_f32_e32 vcc, v3, v1
	v_mul_f32_e32 v3, 0.5, v1
	v_trunc_f32_e32 v6, v3
	v_cmp_neq_f32_e64 s[0:1], v6, v3
	s_and_b64 s[0:1], vcc, s[0:1]
	s_nop 0
	v_cndmask_b32_e64 v3, 1.0, v18, s[0:1]
	v_bfi_b32 v2, s13, v2, v3
	v_cndmask_b32_e32 v3, v5, v2, vcc
	v_cmp_gt_f32_e32 vcc, 0, v18
	s_nop 1
	v_cndmask_b32_e32 v2, v2, v3, vcc
	v_cmp_eq_f32_e32 vcc, 0, v18
	s_xor_b64 s[4:5], s[4:5], vcc
	v_cndmask_b32_e64 v1, v4, 0, s[4:5]
	v_cndmask_b32_e64 v3, 0, v18, s[0:1]
	v_bfi_b32 v1, s13, v1, v3
	s_or_b64 vcc, vcc, s[14:15]
	v_cndmask_b32_e32 v1, v2, v1, vcc
	v_cmp_o_f32_e32 vcc, v18, v18
	s_nop 1
	v_cndmask_b32_e32 v18, v5, v1, vcc
.LBB9_246:
	s_mul_i32 s1, s9, s33
	v_readlane_b32 s0, v223, 24
	s_sub_i32 s1, s10, s1
	s_xor_b32 s0, s12, s0
	s_add_i32 s4, s9, 1
	s_sub_i32 s5, s1, s33
	s_cmp_ge_u32 s1, s33
	s_cselect_b32 s4, s4, s9
	s_cselect_b32 s1, s5, s1
	s_add_i32 s5, s4, 1
	s_cmp_ge_u32 s1, s33
	s_cselect_b32 s1, s5, s4
	s_xor_b32 s1, s1, s0
	s_sub_i32 s4, s1, s0
	s_cmp_eq_u64 s[66:67], 0
	v_mov_b32_e32 v8, s79
	s_cbranch_scc1 .LBB9_248
; %bb.247:
	v_readlane_b32 s0, v223, 0
	s_mul_i32 s0, s6, s0
	s_add_i32 s0, s4, s0
	s_ashr_i32 s1, s0, 31
	s_lshl_b64 s[0:1], s[0:1], 2
	s_add_u32 s0, s66, s0
	s_addc_u32 s1, s67, s1
	v_mov_b32_e32 v1, 0
	global_load_dword v1, v1, s[0:1]
	s_waitcnt vmcnt(0)
	v_ashrrev_i32_e32 v2, 31, v1
	v_lshrrev_b32_e32 v2, 26, v2
	v_add_u32_e32 v1, v1, v2
	v_ashrrev_i32_e32 v1, 6, v1
	v_min_i32_e32 v8, s79, v1
.LBB9_248:
	v_readlane_b32 s12, v223, 8
	v_readlane_b32 s13, v223, 9
	s_mul_i32 s0, s6, s13
	s_ashr_i32 s1, s0, 31
	s_add_u32 s0, s56, s0
	s_mul_i32 s11, s11, s12
	s_addc_u32 s1, s57, s1
	s_ashr_i32 s5, s11, 31
	s_add_u32 s0, s0, s11
	s_addc_u32 s1, s1, s5
	s_lshl_b32 s41, s4, 5
	v_add_u32_e32 v2, s41, v31
	s_mov_b32 s9, 0x10001
	v_lshl_add_u32 v55, v26, 2, 0
	v_cmp_le_i32_e32 vcc, s72, v2
	s_and_saveexec_b64 s[4:5], vcc
	s_xor_b64 s[4:5], exec, s[4:5]
; %bb.249:
	s_movk_i32 s10, 0xb0
	v_mad_u32_u24 v1, v31, s10, v55
	v_mov_b32_e32 v2, 0
	ds_write_b32 v1, v2
                                        ; implicit-def: $vgpr2
; %bb.250:
	s_or_saveexec_b64 s[4:5], s[4:5]
	v_mul_lo_u32 v1, v35, s9
	s_xor_b64 exec, exec, s[4:5]
	s_cbranch_execz .LBB9_252
; %bb.251:
	v_readlane_b32 s9, v223, 17
	s_nop 1
	v_mad_u64_u32 v[2:3], s[10:11], v2, s9, v[26:27]
	v_ashrrev_i32_e32 v3, 31, v2
	v_lshl_add_u64 v[2:3], v[2:3], 3, s[0:1]
	global_load_dwordx2 v[2:3], v[2:3], off
	s_movk_i32 s9, 0xb0
	s_waitcnt vmcnt(0)
	v_cvt_pk_f16_f32 v2, v2, v3
	v_pk_mul_f16 v2, v2, v1
	v_mad_u32_u24 v3, v31, s9, v55
	ds_write_b32 v3, v2
.LBB9_252:
	s_or_b64 exec, exec, s[4:5]
	v_add_u32_e32 v2, 8, v31
	v_add_u32_e32 v3, s41, v2
	v_cmp_le_i32_e32 vcc, s72, v3
	s_and_saveexec_b64 s[4:5], vcc
	s_xor_b64 s[4:5], exec, s[4:5]
; %bb.253:
	s_movk_i32 s9, 0xb0
	v_mad_u32_u24 v2, v2, s9, v55
	v_mov_b32_e32 v3, 0
	ds_write_b32 v2, v3
                                        ; implicit-def: $vgpr3
                                        ; implicit-def: $vgpr2
; %bb.254:
	s_andn2_saveexec_b64 s[4:5], s[4:5]
	s_cbranch_execz .LBB9_256
; %bb.255:
	v_readlane_b32 s9, v223, 17
	s_nop 1
	v_mad_u64_u32 v[4:5], s[10:11], v3, s9, v[26:27]
	v_ashrrev_i32_e32 v5, 31, v4
	v_lshl_add_u64 v[4:5], v[4:5], 3, s[0:1]
	global_load_dwordx2 v[4:5], v[4:5], off
	s_movk_i32 s9, 0xb0
	v_mad_u32_u24 v2, v2, s9, v55
	s_waitcnt vmcnt(0)
	v_cvt_pk_f16_f32 v3, v4, v5
	v_pk_mul_f16 v3, v3, v1
	ds_write_b32 v2, v3
.LBB9_256:
	s_or_b64 exec, exec, s[4:5]
	v_add_u32_e32 v2, 16, v31
	v_add_u32_e32 v3, s41, v2
	v_cmp_le_i32_e32 vcc, s72, v3
	s_and_saveexec_b64 s[4:5], vcc
	s_xor_b64 s[4:5], exec, s[4:5]
; %bb.257:
	s_movk_i32 s9, 0xb0
	v_mad_u32_u24 v2, v2, s9, v55
	v_mov_b32_e32 v3, 0
	ds_write_b32 v2, v3
                                        ; implicit-def: $vgpr3
                                        ; implicit-def: $vgpr2
; %bb.258:
	s_andn2_saveexec_b64 s[4:5], s[4:5]
	s_cbranch_execz .LBB9_260
; %bb.259:
	v_readlane_b32 s9, v223, 17
	s_nop 1
	v_mad_u64_u32 v[4:5], s[10:11], v3, s9, v[26:27]
	v_ashrrev_i32_e32 v5, 31, v4
	v_lshl_add_u64 v[4:5], v[4:5], 3, s[0:1]
	global_load_dwordx2 v[4:5], v[4:5], off
	s_movk_i32 s9, 0xb0
	v_mad_u32_u24 v2, v2, s9, v55
	s_waitcnt vmcnt(0)
	v_cvt_pk_f16_f32 v3, v4, v5
	v_pk_mul_f16 v3, v3, v1
	ds_write_b32 v2, v3
.LBB9_260:
	s_or_b64 exec, exec, s[4:5]
	v_add_u32_e32 v2, 24, v31
	v_add_u32_e32 v3, s41, v2
	v_cmp_le_i32_e32 vcc, s72, v3
	s_and_saveexec_b64 s[4:5], vcc
	s_xor_b64 s[4:5], exec, s[4:5]
; %bb.261:
	s_movk_i32 s9, 0xb0
	v_mad_u32_u24 v2, v2, s9, v55
	v_mov_b32_e32 v3, 0
	ds_write_b32 v2, v3
                                        ; implicit-def: $vgpr3
                                        ; implicit-def: $vgpr2
; %bb.262:
	s_or_saveexec_b64 s[4:5], s[4:5]
	v_and_b32_e32 v62, 0x3ff, v0
	s_xor_b64 exec, exec, s[4:5]
	s_cbranch_execz .LBB9_264
; %bb.263:
	v_readlane_b32 s9, v223, 17
	s_nop 1
	v_mad_u64_u32 v[4:5], s[10:11], v3, s9, v[26:27]
	v_ashrrev_i32_e32 v5, 31, v4
	v_lshl_add_u64 v[4:5], v[4:5], 3, s[0:1]
	global_load_dwordx2 v[4:5], v[4:5], off
	s_movk_i32 s9, 0xb0
	v_mad_u32_u24 v2, v2, s9, v55
	s_waitcnt vmcnt(0)
	v_cvt_pk_f16_f32 v0, v4, v5
	v_pk_mul_f16 v0, v0, v1
	ds_write_b32 v2, v0
.LBB9_264:
	s_or_b64 exec, exec, s[4:5]
	v_lshrrev_b32_e32 v63, 3, v62
	v_add_u32_e32 v77, v108, v63
	v_add_u32_e32 v0, s41, v77
	v_cmp_le_i32_e32 vcc, s72, v0
	s_and_saveexec_b64 s[4:5], vcc
	s_xor_b64 s[4:5], exec, s[4:5]
	s_cbranch_execz .LBB9_266
; %bb.265:
	v_and_b32_e32 v1, 7, v62
	v_mul_u32_u24_e32 v0, 0xb0, v77
	v_lshlrev_b32_e32 v1, 2, v1
	v_add3_u32 v0, 0, v0, v1
	v_mov_b32_e32 v1, 0
	ds_write_b32 v0, v1 offset:128
                                        ; implicit-def: $vgpr0
                                        ; implicit-def: $vgpr1
.LBB9_266:
	s_andn2_saveexec_b64 s[4:5], s[4:5]
	s_cbranch_execz .LBB9_268
; %bb.267:
	v_readlane_b32 s9, v223, 17
	v_and_b32_e32 v4, 7, v62
	v_mov_b32_e32 v5, 0
	v_mul_lo_u32 v2, v0, s9
	v_ashrrev_i32_e32 v3, 31, v2
	v_lshl_add_u64 v[2:3], v[2:3], 0, v[4:5]
	v_lshl_add_u64 v[2:3], v[2:3], 3, s[0:1]
	global_load_dwordx2 v[2:3], v[2:3], off offset:256
	v_mul_u32_u24_e32 v0, 0xb0, v77
	v_lshlrev_b32_e32 v4, 2, v4
	v_add3_u32 v0, 0, v0, v4
	s_waitcnt vmcnt(0)
	v_cvt_pk_f16_f32 v2, v2, v3
	v_pk_mul_f16 v1, v2, v1
	ds_write_b32 v0, v1 offset:128
.LBB9_268:
	s_or_b64 exec, exec, s[4:5]
	v_readlane_b32 s4, v223, 13
	v_readlane_b32 s5, v223, 14
	s_mul_i32 s0, s4, s8
	s_mul_hi_u32 s1, s4, s6
	s_add_i32 s0, s1, s0
	s_mul_i32 s1, s5, s6
	v_readlane_b32 s12, v223, 20
	s_add_i32 s0, s0, s1
	s_mul_i32 s1, s4, s6
	v_readlane_b32 s15, v223, 23
	s_add_u32 s1, s60, s1
	s_mul_i32 s4, s7, s15
	s_addc_u32 s0, s61, s0
	s_ashr_i32 s5, s4, 31
	s_add_u32 s33, s1, s4
	s_addc_u32 s40, s0, s5
	s_mul_i32 s0, s12, s8
	v_and_b32_e32 v9, 0x1ff0, v108
	s_movk_i32 s8, 0xb0
	v_and_b32_e32 v65, 15, v62
	v_and_b32_e32 v1, 0x7e, v63
	v_mad_u32_u24 v0, v9, s8, 0
	v_mul_u32_u24_e32 v84, 0xb0, v65
	v_lshlrev_b32_e32 v64, 2, v1
	v_readlane_b32 s13, v223, 21
	s_mul_hi_u32 s1, s12, s6
	v_add3_u32 v10, v0, v84, v64
	s_add_i32 s0, s1, s0
	s_mul_i32 s1, s13, s6
	v_readlane_b32 s4, v223, 18
	s_waitcnt lgkmcnt(0)
	s_barrier
	ds_read2_b64 v[4:7], v10 offset1:4
	ds_read2_b64 v[0:3], v10 offset0:8 offset1:12
	ds_read_b64 v[22:23], v10 offset:128
	s_add_i32 s0, s0, s1
	s_mul_i32 s1, s12, s6
	v_readlane_b32 s5, v223, 19
	s_add_u32 s1, s58, s1
	s_mul_i32 s7, s7, s5
	s_addc_u32 s0, s59, s0
	s_ashr_i32 s4, s7, 31
	v_add_u32_e32 v87, -1, v8
	s_add_u32 s43, s1, s7
	v_cmp_ge_i32_e32 vcc, s42, v87
	v_mul_lo_u32 v28, s88, v77
	v_mul_lo_u32 v20, s74, v77
	s_addc_u32 s44, s0, s4
	s_mov_b32 s45, 0
	s_and_b64 vcc, exec, vcc
	v_or_b32_e32 v82, v9, v65
	v_lshlrev_b32_e32 v30, 1, v62
	v_and_b32_e32 v70, 8, v108
	v_lshrrev_b32_e32 v85, 1, v62
	v_lshlrev_b32_e32 v76, 2, v62
	v_ashrrev_i32_e32 v29, 31, v28
	v_add_u32_e32 v75, 32, v77
	v_lshl_add_u32 v24, s88, 5, v28
	v_lshrrev_b32_e32 v83, 2, v62
	v_lshlrev_b32_e32 v72, 1, v63
	v_ashrrev_i32_e32 v21, 31, v20
	v_lshlrev_b32_e32 v71, 1, v65
	v_readlane_b32 s14, v223, 22
	s_waitcnt lgkmcnt(0)
	s_barrier
	s_cbranch_vccnz .LBB9_285
; %bb.269:
	v_mov_b32_e32 v33, 0
	v_mov_b32_e32 v31, v33
	v_mul_u32_u24_e32 v8, 0x90, v27
	v_lshl_add_u64 v[34:35], s[2:3], 0, v[30:31]
	v_add3_u32 v31, 0, v8, v30
	v_add_u32_e32 v8, s41, v27
	v_mul_hi_u32 v9, s86, v8
	v_add_u32_e32 v9, v8, v9
	v_lshrrev_b32_e32 v9, s87, v9
	v_mul_lo_u32 v9, v9, s72
	v_sub_u32_e32 v9, v8, v9
	v_mad_i64_i32 v[36:37], s[4:5], v9, s54, 0
	v_add_u32_e32 v9, 4, v8
	v_mul_hi_u32 v10, s86, v9
	v_add_u32_e32 v10, v9, v10
	v_lshrrev_b32_e32 v10, s87, v10
	v_mul_lo_u32 v10, v10, s72
	v_sub_u32_e32 v9, v9, v10
	v_mad_i64_i32 v[38:39], s[4:5], v9, s54, 0
	;; [unrolled: 7-line block ×6, first 2 shown]
	v_add_u32_e32 v9, 24, v8
	v_mul_hi_u32 v10, s86, v9
	v_add_u32_e32 v10, v9, v10
	v_lshrrev_b32_e32 v10, s87, v10
	v_mul_lo_u32 v10, v10, s72
	v_sub_u32_e32 v9, v9, v10
	v_mbcnt_hi_u32_b32 v10, -1, v109
	v_and_b32_e32 v11, 64, v10
	v_add_u32_e32 v11, 64, v11
	v_xor_b32_e32 v12, 32, v10
	v_cmp_lt_i32_e32 vcc, v12, v11
	v_add_u32_e32 v8, 28, v8
	v_mad_i64_i32 v[48:49], s[4:5], v9, s54, 0
	v_cndmask_b32_e32 v12, v10, v12, vcc
	v_lshlrev_b32_e32 v95, 2, v12
	v_xor_b32_e32 v12, 16, v10
	v_mul_hi_u32 v9, s86, v8
	v_cmp_lt_i32_e32 vcc, v12, v11
	v_add_u32_e32 v9, v8, v9
	v_lshrrev_b32_e32 v9, s87, v9
	v_cndmask_b32_e32 v10, v10, v12, vcc
	v_lshlrev_b32_e32 v96, 2, v10
	v_and_b32_e32 v10, 28, v76
	v_mul_lo_u32 v9, v9, s72
	v_lshl_add_u32 v12, v27, 5, v85
	v_mul_u32_u24_e32 v13, 0xb0, v77
	v_lshlrev_b32_e32 v14, 2, v10
	v_and_b32_e32 v54, 4, v76
	v_sub_u32_e32 v8, v8, v9
	v_add3_u32 v97, 0, v13, v14
	v_mad_u32_u24 v14, v12, s8, 0
	v_lshlrev_b32_e32 v15, 2, v54
	s_movk_i32 s8, 0x80
	v_mad_i64_i32 v[50:51], s[4:5], v8, s54, 0
	v_and_b32_e32 v8, 16, v107
	v_add3_u32 v99, v14, v15, s8
	v_and_b32_e32 v14, 0xfc, v83
	s_movk_i32 s9, 0x90
	v_mul_u32_u24_e32 v9, 0xb0, v8
	v_add_u32_e32 v15, v14, v8
	v_add_u16_e32 v8, v14, v8
	v_mad_u32_u24 v16, v82, s9, 0
	v_lshrrev_b16_e32 v8, 1, v8
	v_lshl_add_u32 v14, v8, 2, v16
	v_lshl_add_u32 v8, v15, 1, v16
	s_movk_i32 s4, 0x160
	v_cmp_gt_u32_e64 s[26:27], 64, v12
	v_mul_lo_u32 v52, s88, v12
	v_add_u32_e32 v100, 64, v8
	v_add_u32_e32 v101, 0x44, v8
	v_cmp_gt_u32_e64 s[8:9], 64, v15
	v_cmp_gt_u32_e64 s[10:11], 63, v15
	;; [unrolled: 1-line block ×8, first 2 shown]
	v_mul_lo_u32 v56, s74, v12
	v_or_b32_e32 v8, 3, v72
	v_or_b32_e32 v12, 2, v72
	v_and_b32_e32 v15, 0xfc, v72
	s_mov_b64 s[28:29], src_private_base
	s_cmp_lg_u64 s[2:3], 0
	v_mad_u32_u24 v11, v70, s4, 0
	v_add3_u32 v13, 0, v84, v64
	v_mul_u32_u24_e32 v8, 0xb0, v8
	v_mul_u32_u24_e32 v12, 0xb0, v12
	;; [unrolled: 1-line block ×3, first 2 shown]
	v_mul_lo_u32 v58, s74, v75
	s_cselect_b64 s[30:31], -1, 0
	v_cmp_lt_u32_e64 s[0:1], 63, v62
	v_add_u32_e32 v88, 0x240, v31
	v_add_u32_e32 v89, 0x480, v31
	;; [unrolled: 1-line block ×7, first 2 shown]
	v_cmp_gt_u32_e64 s[4:5], 64, v77
	v_add_u32_e32 v98, 0x1600, v97
	v_cmp_gt_u32_e64 s[6:7], 32, v77
	v_ashrrev_i32_e32 v25, 31, v24
	v_ashrrev_i32_e32 v53, 31, v52
	;; [unrolled: 1-line block ×4, first 2 shown]
	v_add3_u32 v102, v11, v15, v71
	v_add3_u32 v103, v11, v12, v71
	;; [unrolled: 1-line block ×3, first 2 shown]
	v_mov_b32_e32 v60, v18
	v_mov_b32_e32 v61, v18
	s_lshl_b32 s34, s42, 6
	v_mov_b32_e32 v8, 0xfeffffff
	v_lshlrev_b32_e32 v32, 2, v10
	v_add_u32_e32 v105, v13, v9
	v_add_u32_e32 v110, 0x2c00, v14
	s_mov_b32 s28, 0x3fb8aa3b
	s_mov_b32 s46, 0xc2ce8ed0
	;; [unrolled: 1-line block ×5, first 2 shown]
	v_mov_b32_e32 v114, v33
	v_mov_b32_e32 v115, v33
	;; [unrolled: 1-line block ×17, first 2 shown]
.LBB9_270:                              ; =>This Inner Loop Header: Depth=1
	v_cndmask_b32_e64 v9, 0, 1, s[30:31]
	v_cmp_ne_u32_e64 s[24:25], 1, v9
	s_andn2_b64 vcc, exec, s[30:31]
	s_ashr_i32 s35, s34, 31
	s_cbranch_vccnz .LBB9_276
; %bb.271:                              ;   in Loop: Header=BB9_270 Depth=1
	s_and_saveexec_b64 s[36:37], s[0:1]
	s_xor_b64 s[36:37], exec, s[36:37]
	s_cbranch_execz .LBB9_273
; %bb.272:                              ;   in Loop: Header=BB9_270 Depth=1
	ds_write_b16 v31, v33 offset:11264
	ds_write_b16 v88, v33 offset:11264
	;; [unrolled: 1-line block ×4, first 2 shown]
.LBB9_273:                              ;   in Loop: Header=BB9_270 Depth=1
	s_or_saveexec_b64 s[36:37], s[36:37]
	v_mov_b32_e32 v9, 0
	v_mov_b32_e32 v10, 0
	;; [unrolled: 1-line block ×4, first 2 shown]
	s_xor_b64 exec, exec, s[36:37]
	s_cbranch_execz .LBB9_275
; %bb.274:                              ;   in Loop: Header=BB9_270 Depth=1
	v_lshl_add_u64 v[10:11], s[34:35], 1, v[34:35]
	v_lshl_add_u64 v[12:13], v[36:37], 1, v[10:11]
	;; [unrolled: 1-line block ×9, first 2 shown]
	global_load_ushort v13, v[12:13], off
	s_nop 0
	global_load_ushort v14, v[14:15], off
	s_nop 0
	;; [unrolled: 2-line block ×3, first 2 shown]
	global_load_ushort v16, v[118:119], off
	global_load_ushort v9, v[120:121], off
	;; [unrolled: 1-line block ×5, first 2 shown]
	s_waitcnt vmcnt(7)
	ds_write_b16 v31, v13 offset:11264
	s_waitcnt vmcnt(6)
	ds_write_b16 v88, v14 offset:11264
	;; [unrolled: 2-line block ×4, first 2 shown]
.LBB9_275:                              ;   in Loop: Header=BB9_270 Depth=1
	s_or_b64 exec, exec, s[36:37]
	s_waitcnt vmcnt(3)
	ds_write_b16 v91, v9 offset:11264
	s_waitcnt vmcnt(2)
	ds_write_b16 v92, v10 offset:11264
	;; [unrolled: 2-line block ×4, first 2 shown]
.LBB9_276:                              ;   in Loop: Header=BB9_270 Depth=1
	s_mul_hi_i32 s37, s34, s88
	s_mul_i32 s36, s34, s88
	s_lshl_b64 s[36:37], s[36:37], 2
	s_add_u32 s36, s43, s36
	s_addc_u32 s37, s44, s37
	scratch_store_dwordx4 off, v[114:117], off
	s_and_saveexec_b64 s[38:39], s[26:27]
	s_cbranch_execz .LBB9_278
; %bb.277:                              ;   in Loop: Header=BB9_270 Depth=1
	v_lshl_add_u64 v[10:11], v[52:53], 2, s[36:37]
	v_lshlrev_b32_e32 v12, 2, v54
	v_mov_b32_e32 v13, v33
	v_lshl_add_u64 v[10:11], v[10:11], 0, v[12:13]
	global_load_dwordx4 v[10:13], v[10:11], off offset:128
	s_waitcnt vmcnt(0)
	ds_write_b128 v99, v[10:13]
.LBB9_278:                              ;   in Loop: Header=BB9_270 Depth=1
	s_or_b64 exec, exec, s[38:39]
	v_lshl_add_u64 v[10:11], v[28:29], 2, s[36:37]
	v_lshl_add_u64 v[10:11], v[10:11], 0, v[32:33]
	v_mov_b32_e32 v9, s29
	v_cndmask_b32_e64 v11, v9, v11, s[4:5]
	v_cndmask_b32_e64 v10, v111, v10, s[4:5]
	flat_load_dwordx4 v[10:13], v[10:11]
	v_lshl_add_u64 v[14:15], v[24:25], 2, s[36:37]
	v_lshl_add_u64 v[14:15], v[14:15], 0, v[32:33]
	v_cndmask_b32_e64 v15, v9, v15, s[6:7]
	v_cndmask_b32_e64 v14, v111, v14, s[6:7]
	v_add_u32_e32 v9, 0x1000, v105
	s_and_b64 vcc, exec, s[24:25]
	s_waitcnt vmcnt(0) lgkmcnt(0)
	ds_write_b128 v97, v[10:13]
	flat_load_dwordx4 v[10:13], v[14:15]
	s_waitcnt vmcnt(0) lgkmcnt(0)
	ds_write_b128 v98, v[10:13]
	s_waitcnt lgkmcnt(0)
	s_barrier
	ds_read2_b64 v[10:13], v105 offset1:4
	ds_read2_b64 v[118:121], v9 offset0:192 offset1:196
	s_waitcnt lgkmcnt(1)
	v_mfma_f32_16x16x16_f16 v[14:17], v[10:11], v[4:5], 0
	s_waitcnt lgkmcnt(0)
	v_mfma_f32_16x16x16_f16 v[122:125], v[118:119], v[4:5], 0
	v_mfma_f32_16x16x16_f16 v[10:13], v[12:13], v[6:7], v[14:17]
	;; [unrolled: 1-line block ×3, first 2 shown]
	ds_read2_b64 v[118:121], v105 offset0:8 offset1:12
	s_nop 4
	ds_read2_b64 v[122:125], v9 offset0:200 offset1:204
	s_waitcnt lgkmcnt(1)
	v_mfma_f32_16x16x16_f16 v[10:13], v[118:119], v[0:1], v[10:13]
	s_waitcnt lgkmcnt(0)
	v_mfma_f32_16x16x16_f16 v[14:17], v[122:123], v[0:1], v[14:17]
	ds_read_b64 v[122:123], v105 offset:128
	v_mfma_f32_16x16x16_f16 v[10:13], v[120:121], v[2:3], v[10:13]
	v_mfma_f32_16x16x16_f16 v[118:121], v[124:125], v[2:3], v[14:17]
	ds_read_b64 v[124:125], v105 offset:5760
	s_waitcnt lgkmcnt(0)
	s_barrier
	v_mfma_f32_16x16x16_f16 v[14:17], v[122:123], v[22:23], v[10:13]
	v_mfma_f32_16x16x16_f16 v[10:13], v[124:125], v[22:23], v[118:121]
	s_cbranch_vccnz .LBB9_280
; %bb.279:                              ;   in Loop: Header=BB9_270 Depth=1
	s_nop 1
	ds_read2_b32 v[118:119], v110 offset1:1
	ds_read_b32 v9, v100 offset:11264
	ds_read_b32 v86, v101 offset:11264
	v_mov_b32_e32 v19, v18
	s_waitcnt lgkmcnt(2)
	v_cvt_f32_f16_e32 v120, v118
	v_cvt_f32_f16_sdwa v121, v118 dst_sel:DWORD dst_unused:UNUSED_PAD src0_sel:WORD_1
	v_cvt_f32_f16_e32 v118, v119
	v_cvt_f32_f16_sdwa v119, v119 dst_sel:DWORD dst_unused:UNUSED_PAD src0_sel:WORD_1
	s_waitcnt lgkmcnt(1)
	v_cvt_f32_f16_sdwa v123, v9 dst_sel:DWORD dst_unused:UNUSED_PAD src0_sel:WORD_1
	s_waitcnt lgkmcnt(0)
	v_cvt_f32_f16_sdwa v125, v86 dst_sel:DWORD dst_unused:UNUSED_PAD src0_sel:WORD_1
	v_cvt_f32_f16_e32 v124, v86
	v_cvt_f32_f16_e32 v122, v9
	v_pk_fma_f32 v[16:17], v[18:19], v[118:119], v[16:17]
	v_pk_fma_f32 v[14:15], v[60:61], v[120:121], v[14:15]
	;; [unrolled: 1-line block ×4, first 2 shown]
.LBB9_280:                              ;   in Loop: Header=BB9_270 Depth=1
	s_nop 5
	v_add_f32_e32 v9, 0x40051340, v14
	v_max_f32_e32 v19, v8, v8
	v_max_f32_e32 v9, v19, v9
	v_cndmask_b32_e64 v9, v8, v9, s[8:9]
	v_add_f32_e32 v19, 0x40051340, v15
	v_max_f32_e32 v86, v9, v9
	v_max_f32_e32 v19, v86, v19
	v_cndmask_b32_e64 v9, v9, v19, s[10:11]
	;; [unrolled: 4-line block ×8, first 2 shown]
	ds_bpermute_b32 v19, v95, v9
	v_max_f32_e32 v9, v9, v9
	s_mul_hi_i32 s25, s34, s74
	s_mul_i32 s24, s34, s74
	s_lshl_b64 s[24:25], s[24:25], 2
	s_waitcnt lgkmcnt(0)
	v_max_f32_e32 v19, v19, v19
	v_max_f32_e32 v9, v9, v19
	ds_bpermute_b32 v19, v96, v9
	s_add_u32 s24, s33, s24
	s_addc_u32 s25, s40, s25
	scratch_store_dwordx4 off, v[114:117], off
	s_and_saveexec_b64 s[36:37], s[26:27]
	s_cbranch_execz .LBB9_282
; %bb.281:                              ;   in Loop: Header=BB9_270 Depth=1
	v_lshl_add_u64 v[118:119], v[56:57], 2, s[24:25]
	v_lshlrev_b32_e32 v120, 2, v54
	v_mov_b32_e32 v121, v33
	v_lshl_add_u64 v[118:119], v[118:119], 0, v[120:121]
	global_load_dwordx4 v[118:121], v[118:119], off offset:128
	s_waitcnt vmcnt(0)
	ds_write_b128 v99, v[118:121]
.LBB9_282:                              ;   in Loop: Header=BB9_270 Depth=1
	s_or_b64 exec, exec, s[36:37]
	v_lshl_add_u64 v[118:119], v[20:21], 2, s[24:25]
	v_lshl_add_u64 v[118:119], v[118:119], 0, v[32:33]
	v_mov_b32_e32 v127, s29
	v_cndmask_b32_e64 v119, v127, v119, s[4:5]
	v_cndmask_b32_e64 v118, v111, v118, s[4:5]
	flat_load_dwordx4 v[118:121], v[118:119]
	s_waitcnt lgkmcnt(0)
	v_max_f32_e32 v86, v19, v19
	v_max_f32_e32 v130, v9, v9
	;; [unrolled: 1-line block ×3, first 2 shown]
	v_lshl_add_u64 v[128:129], v[58:59], 2, s[24:25]
	v_sub_f32_e32 v15, v15, v86
	v_sub_f32_e32 v16, v16, v86
	v_lshl_add_u64 v[128:129], v[128:129], 0, v[32:33]
	v_sub_f32_e32 v132, v12, v86
	v_sub_f32_e32 v133, v13, v86
	v_mul_f32_e32 v12, 0x3fb8aa3b, v15
	v_mul_f32_e32 v13, 0x3fb8aa3b, v16
	v_sub_f32_e32 v130, v10, v86
	v_sub_f32_e32 v131, v11, v86
	v_cndmask_b32_e64 v11, v127, v129, s[6:7]
	v_cndmask_b32_e64 v10, v111, v128, s[6:7]
	v_rndne_f32_e32 v141, v12
	v_rndne_f32_e32 v143, v13
	v_fma_f32 v140, v15, s28, -v12
	v_fma_f32 v142, v16, s28, -v13
	v_sub_f32_e32 v156, v12, v141
	v_sub_f32_e32 v157, v13, v143
	;; [unrolled: 1-line block ×4, first 2 shown]
	v_mul_f32_e32 v8, 0x3fb8aa3b, v14
	v_fma_f32 v138, v14, s28, -v8
	v_rndne_f32_e32 v139, v8
	v_sub_f32_e32 v17, v17, v86
	v_mul_f32_e32 v137, 0x3fb8aa3b, v134
	v_fmac_f32_e32 v138, 0x32a5705f, v14
	v_sub_f32_e32 v8, v8, v139
	v_mul_f32_e32 v127, 0x3fb8aa3b, v17
	v_fma_f32 v154, v134, s28, -v137
	v_rndne_f32_e32 v155, v137
	v_fmac_f32_e32 v140, 0x32a5705f, v15
	v_add_f32_e32 v8, v8, v138
	v_mul_f32_e32 v128, 0x3fb8aa3b, v130
	v_fma_f32 v144, v17, s28, -v127
	v_rndne_f32_e32 v145, v127
	v_cvt_i32_f32_e32 v139, v139
	v_fmac_f32_e32 v142, 0x32a5705f, v16
	v_fmac_f32_e32 v154, 0x32a5705f, v134
	v_exp_f32_e32 v8, v8
	v_mul_f32_e32 v129, 0x3fb8aa3b, v131
	v_fma_f32 v146, v130, s28, -v128
	v_rndne_f32_e32 v147, v128
	v_cvt_i32_f32_e32 v141, v141
	v_fmac_f32_e32 v144, 0x32a5705f, v17
	v_sub_f32_e32 v127, v127, v145
	v_mul_f32_e32 v135, 0x3fb8aa3b, v132
	v_fma_f32 v148, v131, s28, -v129
	v_rndne_f32_e32 v149, v129
	v_cvt_i32_f32_e32 v143, v143
	v_fmac_f32_e32 v146, 0x32a5705f, v130
	v_sub_f32_e32 v128, v128, v147
	v_add_f32_e32 v127, v127, v144
	v_mul_f32_e32 v136, 0x3fb8aa3b, v133
	v_fma_f32 v150, v132, s28, -v135
	v_rndne_f32_e32 v151, v135
	v_cvt_i32_f32_e32 v145, v145
	v_fmac_f32_e32 v148, 0x32a5705f, v131
	v_sub_f32_e32 v129, v129, v149
	v_add_f32_e32 v128, v128, v146
	v_exp_f32_e32 v127, v127
	v_fma_f32 v152, v133, s28, -v136
	v_rndne_f32_e32 v153, v136
	v_cvt_i32_f32_e32 v147, v147
	v_fmac_f32_e32 v150, 0x32a5705f, v132
	v_sub_f32_e32 v135, v135, v151
	v_add_f32_e32 v129, v129, v148
	v_exp_f32_e32 v128, v128
	v_ldexp_f32 v8, v8, v139
	v_cmp_ngt_f32_e32 vcc, s46, v14
	v_cvt_i32_f32_e32 v149, v149
	v_fmac_f32_e32 v152, 0x32a5705f, v133
	v_sub_f32_e32 v136, v136, v153
	v_add_f32_e32 v135, v135, v150
	v_exp_f32_e32 v129, v129
	v_cndmask_b32_e32 v8, 0, v8, vcc
	v_cmp_ngt_f32_e32 vcc, s46, v15
	s_waitcnt vmcnt(0)
	ds_write_b128 v97, v[118:121]
	flat_load_dwordx4 v[10:13], v[10:11]
	v_sub_f32_e32 v118, v137, v155
	v_add_f32_e32 v120, v156, v140
	v_add_f32_e32 v121, v157, v142
	;; [unrolled: 1-line block ×3, first 2 shown]
	v_exp_f32_e32 v120, v120
	v_cvt_i32_f32_e32 v119, v155
	v_exp_f32_e32 v121, v121
	v_exp_f32_e32 v118, v118
	v_ldexp_f32 v120, v120, v141
	v_cvt_i32_f32_e32 v151, v151
	v_add_f32_e32 v136, v136, v152
	v_exp_f32_e32 v135, v135
	v_ldexp_f32 v121, v121, v143
	v_ldexp_f32 v118, v118, v119
	v_cndmask_b32_e32 v119, 0, v120, vcc
	v_cmp_ngt_f32_e32 vcc, s46, v16
	v_cvt_i32_f32_e32 v153, v153
	v_exp_f32_e32 v136, v136
	v_ldexp_f32 v127, v127, v145
	v_cndmask_b32_e32 v120, 0, v121, vcc
	v_cmp_ngt_f32_e32 vcc, s46, v17
	v_ldexp_f32 v128, v128, v147
	v_ldexp_f32 v129, v129, v149
	v_cndmask_b32_e32 v121, 0, v127, vcc
	v_cmp_ngt_f32_e32 vcc, s46, v130
	v_ldexp_f32 v135, v135, v151
	v_ldexp_f32 v136, v136, v153
	v_cndmask_b32_e32 v127, 0, v128, vcc
	v_cmp_ngt_f32_e32 vcc, s46, v131
	v_mov_b32_e32 v122, s45
	v_mov_b32_e32 v124, s45
	v_cndmask_b32_e32 v128, 0, v129, vcc
	v_cmp_ngt_f32_e32 vcc, s46, v132
	v_mov_b32_e32 v125, s45
	v_mov_b32_e32 v123, s45
	;; [unrolled: 4-line block ×3, first 2 shown]
	v_cndmask_b32_e32 v135, 0, v136, vcc
	v_cmp_ngt_f32_e32 vcc, s46, v134
	v_mov_b32_e32 v9, s45
	s_add_i32 s42, s42, 1
	v_cndmask_b32_e32 v118, 0, v118, vcc
	v_cmp_nlt_f32_e32 vcc, s47, v14
	s_add_i32 s34, s34, 64
	s_waitcnt vmcnt(0) lgkmcnt(0)
	ds_write_b128 v98, v[10:13]
	v_cndmask_b32_e32 v8, v112, v8, vcc
	v_cmp_nlt_f32_e32 vcc, s47, v15
	s_waitcnt lgkmcnt(0)
	s_barrier
	v_cndmask_b32_e32 v119, v112, v119, vcc
	v_cmp_nlt_f32_e32 vcc, s47, v16
	v_cndmask_b32_e64 v15, v123, v119, s[10:11]
	s_nop 0
	v_cndmask_b32_e32 v120, v112, v120, vcc
	v_cmp_nlt_f32_e32 vcc, s47, v17
	v_cndmask_b32_e64 v14, v122, v120, s[12:13]
	v_cndmask_b32_e64 v8, 0, v8, s[8:9]
	v_cndmask_b32_e32 v121, v112, v121, vcc
	v_cmp_nlt_f32_e32 vcc, s47, v130
	v_cndmask_b32_e64 v19, v19, v121, s[14:15]
	s_nop 0
	v_cndmask_b32_e32 v130, v112, v127, vcc
	v_cmp_nlt_f32_e32 vcc, s47, v131
	v_cvt_pk_f16_f32 v127, v14, v19
	s_nop 0
	v_cndmask_b32_e32 v131, v112, v128, vcc
	v_cmp_nlt_f32_e32 vcc, s47, v132
	v_cndmask_b32_e64 v17, v125, v131, s[18:19]
	s_nop 0
	v_cndmask_b32_e32 v132, v112, v129, vcc
	v_cmp_nlt_f32_e32 vcc, s47, v133
	s_nop 1
	v_cndmask_b32_e32 v133, v112, v135, vcc
	v_cmp_nlt_f32_e32 vcc, s47, v134
	v_cndmask_b32_e64 v9, v9, v133, s[22:23]
	s_nop 0
	v_cndmask_b32_e32 v16, v112, v118, vcc
	v_cmp_le_f32_e32 vcc, s48, v134
	v_cndmask_b32_e64 v118, v126, v132, s[20:21]
	v_cvt_pk_f16_f32 v126, v8, v15
	v_cndmask_b32_e32 v134, 0, v16, vcc
	v_cvt_f16_f32_e32 v122, v134
	v_cndmask_b32_e64 v16, v124, v130, s[16:17]
	v_cvt_pk_f16_f32 v129, v118, v9
	v_cvt_pk_f16_f32 v128, v16, v17
	v_mul_u32_u24_e32 v122, 0x10001, v122
	v_pk_mul_f16 v81, v81, v122
	v_pk_mul_f16 v124, v78, v122
	v_cvt_f32_f16_e32 v10, v81
	v_cvt_f32_f16_sdwa v11, v81 dst_sel:DWORD dst_unused:UNUSED_PAD src0_sel:WORD_1
	ds_read_u16 v13, v104
	ds_read_u16 v78, v103
	ds_read_u16 v81, v103 offset:32
	ds_read_u16 v125, v103 offset:64
	;; [unrolled: 1-line block ×6, first 2 shown]
	v_pk_mul_f16 v123, v79, v122
	s_waitcnt lgkmcnt(6)
	v_perm_b32 v79, v13, v78, s49
	ds_read_u16 v13, v102 offset:176
	ds_read_u16 v78, v102
	ds_read_u16 v139, v102 offset:32
	ds_read_u16 v140, v102 offset:208
	ds_read_u16 v141, v102 offset:64
	ds_read_u16 v142, v102 offset:240
	ds_read_u16 v143, v102 offset:96
	ds_read_u16 v144, v102 offset:128
	v_pk_mul_f16 v80, v80, v122
	s_waitcnt lgkmcnt(6)
	v_perm_b32 v78, v13, v78, s49
	v_cvt_f32_f16_e32 v12, v80
	v_cvt_f32_f16_sdwa v13, v80 dst_sel:DWORD dst_unused:UNUSED_PAD src0_sel:WORD_1
	ds_read_u16 v14, v103 offset:5632
	ds_read_u16 v19, v103 offset:5664
	;; [unrolled: 1-line block ×13, first 2 shown]
	v_mfma_f32_16x16x16_f16 v[10:13], v[78:79], v[126:127], v[10:13]
	s_waitcnt lgkmcnt(7)
	v_perm_b32 v15, v15, v14, s49
	ds_read_u16 v14, v102 offset:5632
	ds_read_u16 v78, v102 offset:5808
	;; [unrolled: 1-line block ×8, first 2 shown]
	s_waitcnt lgkmcnt(6)
	v_perm_b32 v14, v78, v14, s49
	v_cvt_f16_f32_e32 v10, v10
	v_cvt_f16_f32_e32 v11, v11
	v_cvt_f16_f32_e32 v12, v12
	v_cvt_f16_f32_e32 v13, v13
	v_cvt_f32_f16_e32 v10, v10
	v_cvt_f32_f16_e32 v11, v11
	;; [unrolled: 1-line block ×4, first 2 shown]
	v_perm_b32 v79, v137, v81, s49
	v_perm_b32 v78, v140, v139, s49
	v_mfma_f32_16x16x16_f16 v[10:13], v[14:15], v[128:129], v[10:13]
	v_cvt_f32_f16_e32 v14, v123
	v_cvt_f32_f16_sdwa v15, v123 dst_sel:DWORD dst_unused:UNUSED_PAD src0_sel:WORD_1
	v_cvt_f32_f16_e32 v16, v124
	v_cvt_f32_f16_sdwa v17, v124 dst_sel:DWORD dst_unused:UNUSED_PAD src0_sel:WORD_1
	ds_read_u16 v9, v102 offset:5840
	ds_read_u16 v123, v102 offset:5872
	;; [unrolled: 1-line block ×3, first 2 shown]
	v_mfma_f32_16x16x16_f16 v[14:17], v[78:79], v[126:127], v[14:17]
	v_perm_b32 v79, v80, v19, s49
	s_waitcnt lgkmcnt(2)
	v_perm_b32 v78, v9, v154, s49
	v_add_f32_e32 v9, v119, v8
	s_nop 3
	v_cvt_f16_f32_e32 v14, v14
	v_cvt_f16_f32_e32 v15, v15
	;; [unrolled: 1-line block ×4, first 2 shown]
	v_cvt_f32_f16_e32 v14, v14
	v_cvt_f32_f16_e32 v15, v15
	;; [unrolled: 1-line block ×4, first 2 shown]
	v_pk_mul_f16 v19, v74, v122
	v_pk_mul_f16 v73, v73, v122
	v_perm_b32 v119, v148, v125, s49
	v_perm_b32 v118, v142, v141, s49
	v_mfma_f32_16x16x16_f16 v[14:17], v[78:79], v[128:129], v[14:17]
	v_cvt_f32_f16_e32 v78, v19
	v_cvt_f32_f16_sdwa v79, v19 dst_sel:DWORD dst_unused:UNUSED_PAD src0_sel:WORD_1
	v_cvt_f32_f16_e32 v80, v73
	v_cvt_f32_f16_sdwa v81, v73 dst_sel:DWORD dst_unused:UNUSED_PAD src0_sel:WORD_1
	v_cndmask_b32_e64 v8, v8, v9, s[10:11]
	v_add_f32_e32 v9, v8, v120
	v_mfma_f32_16x16x16_f16 v[78:81], v[118:119], v[126:127], v[78:81]
	v_cndmask_b32_e64 v19, v8, v9, s[12:13]
	v_pk_mul_f16 v69, v69, v122
	v_pk_mul_f16 v68, v68, v122
	v_pk_mul_f16 v67, v67, v122
	s_nop 3
	v_cvt_f16_f32_e32 v8, v78
	v_cvt_f16_f32_e32 v9, v79
	v_cvt_f16_f32_e32 v73, v80
	v_cvt_f16_f32_e32 v74, v81
	v_cvt_f32_f16_e32 v78, v8
	v_cvt_f32_f16_e32 v79, v9
	v_perm_b32 v9, v149, v145, s49
	s_waitcnt lgkmcnt(1)
	v_perm_b32 v8, v123, v155, s49
	v_cvt_f32_f16_e32 v80, v73
	v_cvt_f32_f16_e32 v81, v74
	v_add_f32_e32 v73, v19, v121
	v_cndmask_b32_e64 v19, v19, v73, s[14:15]
	v_mfma_f32_16x16x16_f16 v[118:121], v[8:9], v[128:129], v[78:81]
	v_perm_b32 v9, v150, v135, s49
	v_perm_b32 v8, v156, v143, s49
	s_nop 0
	v_cvt_f32_f16_e32 v78, v69
	v_cvt_f32_f16_sdwa v79, v69 dst_sel:DWORD dst_unused:UNUSED_PAD src0_sel:WORD_1
	v_cvt_f32_f16_e32 v80, v68
	v_cvt_f32_f16_sdwa v81, v68 dst_sel:DWORD dst_unused:UNUSED_PAD src0_sel:WORD_1
	v_add_f32_e32 v68, v130, v19
	v_cndmask_b32_e64 v19, v19, v68, s[16:17]
	v_mfma_f32_16x16x16_f16 v[78:81], v[8:9], v[126:127], v[78:81]
	v_add_f32_e32 v73, v131, v19
	v_cndmask_b32_e64 v19, v19, v73, s[18:19]
	v_add_f32_e32 v73, v132, v19
	v_cndmask_b32_e64 v19, v19, v73, s[20:21]
	s_nop 3
	v_cvt_f16_f32_e32 v8, v78
	v_cvt_f16_f32_e32 v9, v79
	;; [unrolled: 1-line block ×4, first 2 shown]
	v_cvt_f32_f16_e32 v78, v8
	v_cvt_f32_f16_e32 v79, v9
	v_perm_b32 v9, v151, v146, s49
	s_waitcnt lgkmcnt(0)
	v_perm_b32 v8, v124, v157, s49
	v_cvt_f32_f16_e32 v80, v68
	v_cvt_f32_f16_e32 v81, v69
	v_pk_mul_f16 v69, v66, v122
	v_cvt_f32_f16_e32 v66, v67
	v_mfma_f32_16x16x16_f16 v[122:125], v[8:9], v[128:129], v[78:81]
	v_perm_b32 v9, v153, v147, s49
	v_perm_b32 v8, v159, v144, s49
	v_cvt_f32_f16_sdwa v67, v67 dst_sel:DWORD dst_unused:UNUSED_PAD src0_sel:WORD_1
	v_cvt_f32_f16_e32 v68, v69
	v_cvt_f32_f16_sdwa v69, v69 dst_sel:DWORD dst_unused:UNUSED_PAD src0_sel:WORD_1
	v_add_f32_e32 v73, v133, v19
	v_cndmask_b32_e64 v19, v19, v73, s[22:23]
	v_mfma_f32_16x16x16_f16 v[66:69], v[8:9], v[126:127], v[66:69]
	v_cmp_lt_i32_e32 vcc, s42, v87
	v_fmac_f32_e32 v19, v113, v134
	v_cvt_pk_f16_f32 v79, v14, v15
	v_cvt_pk_f16_f32 v78, v16, v17
	s_nop 3
	v_cvt_f16_f32_e32 v8, v66
	v_cvt_f16_f32_e32 v9, v67
	;; [unrolled: 1-line block ×4, first 2 shown]
	v_cvt_f32_f16_e32 v66, v8
	v_cvt_f32_f16_e32 v67, v9
	v_perm_b32 v9, v152, v138, s49
	v_perm_b32 v8, v136, v158, s49
	v_cvt_f32_f16_e32 v68, v68
	v_cvt_f32_f16_e32 v69, v69
	v_cvt_pk_f16_f32 v81, v10, v11
	v_cvt_pk_f16_f32 v80, v12, v13
	v_mfma_f32_16x16x16_f16 v[126:129], v[8:9], v[128:129], v[66:69]
	v_cvt_pk_f16_f32 v74, v118, v119
	v_cvt_pk_f16_f32 v73, v120, v121
	s_nop 0
	v_cvt_pk_f16_f32 v69, v122, v123
	v_cvt_pk_f16_f32 v68, v124, v125
	s_nop 2
	v_cvt_pk_f16_f32 v67, v126, v127
	v_cvt_pk_f16_f32 v66, v128, v129
	s_barrier
	s_cbranch_vccz .LBB9_286
; %bb.283:                              ;   in Loop: Header=BB9_270 Depth=1
	v_mov_b32_e32 v113, v19
	v_mov_b32_e32 v8, v86
	s_branch .LBB9_270
.LBB9_284:
                                        ; implicit-def: $sgpr4_sgpr5
                                        ; kill: killed $sgpr4_sgpr5
	s_load_dwordx2 s[86:87], s[0:1], 0x5c
	s_branch .LBB9_7
.LBB9_285:
	v_mov_b32_e32 v86, 0xfeffffff
	v_mov_b32_e32 v19, 0
	;; [unrolled: 1-line block ×12, first 2 shown]
.LBB9_286:
	s_lshl_b32 s24, s42, 6
	v_readlane_b32 s0, v223, 4
	s_sub_i32 s28, s0, s24
	v_readlane_b32 s1, v223, 5
	s_cmp_lg_u64 s[2:3], 0
	s_cselect_b64 s[0:1], -1, 0
	s_ashr_i32 s25, s24, 31
	s_cmp_eq_u64 s[2:3], 0
	s_cbranch_scc1 .LBB9_304
; %bb.287:
	s_lshl_b64 s[4:5], s[24:25], 1
	s_add_u32 s2, s2, s4
	s_addc_u32 s3, s3, s5
	v_mov_b32_e32 v31, 0
	v_cmp_gt_i32_e32 vcc, s28, v62
	v_lshl_add_u64 v[8:9], s[2:3], 0, v[30:31]
	v_mov_b32_e32 v11, 0
	s_and_saveexec_b64 s[2:3], vcc
	s_cbranch_execz .LBB9_289
; %bb.288:
	v_add_u32_e32 v10, s41, v27
	v_mul_hi_u32 v11, s86, v10
	v_add_u32_e32 v11, v10, v11
	v_lshrrev_b32_e32 v11, s87, v11
	v_mul_lo_u32 v11, v11, s72
	v_sub_u32_e32 v10, v10, v11
	v_mad_i64_i32 v[10:11], s[4:5], v10, s54, 0
	v_lshl_add_u64 v[10:11], v[10:11], 1, v[8:9]
	global_load_ushort v11, v[10:11], off
.LBB9_289:
	s_or_b64 exec, exec, s[2:3]
	s_movk_i32 s2, 0x90
	v_mad_u32_u24 v10, v27, s2, 0
	v_lshl_add_u32 v12, v62, 1, v10
	s_waitcnt vmcnt(0)
	ds_write_b16 v12, v11 offset:11264
	s_and_saveexec_b64 s[2:3], vcc
	s_cbranch_execz .LBB9_291
; %bb.290:
	v_add3_u32 v11, v27, s41, 4
	v_mul_hi_u32 v12, s86, v11
	v_add_u32_e32 v12, v11, v12
	v_lshrrev_b32_e32 v12, s87, v12
	v_mul_lo_u32 v12, v12, s72
	v_sub_u32_e32 v11, v11, v12
	v_mad_i64_i32 v[12:13], s[4:5], v11, s54, 0
	v_lshl_add_u64 v[12:13], v[12:13], 1, v[8:9]
	global_load_ushort v31, v[12:13], off
.LBB9_291:
	s_or_b64 exec, exec, s[2:3]
	v_add_u32_e32 v11, 0x240, v10
	v_lshl_add_u32 v10, v62, 1, v11
	s_waitcnt vmcnt(0)
	ds_write_b16 v10, v31 offset:11264
	v_mov_b32_e32 v10, 0
	v_mov_b32_e32 v12, 0
	s_and_saveexec_b64 s[2:3], vcc
	s_cbranch_execz .LBB9_293
; %bb.292:
	v_add3_u32 v12, v27, s41, 8
	v_mul_hi_u32 v13, s86, v12
	v_add_u32_e32 v13, v12, v13
	v_lshrrev_b32_e32 v13, s87, v13
	v_mul_lo_u32 v13, v13, s72
	v_sub_u32_e32 v12, v12, v13
	v_mad_i64_i32 v[12:13], s[4:5], v12, s54, 0
	v_lshl_add_u64 v[12:13], v[12:13], 1, v[8:9]
	global_load_ushort v12, v[12:13], off
.LBB9_293:
	s_or_b64 exec, exec, s[2:3]
	v_add_u32_e32 v11, 0x240, v11
	v_lshl_add_u32 v13, v62, 1, v11
	s_waitcnt vmcnt(0)
	ds_write_b16 v13, v12 offset:11264
	s_and_saveexec_b64 s[2:3], vcc
	s_cbranch_execz .LBB9_295
; %bb.294:
	v_add3_u32 v10, v27, s41, 12
	v_mul_hi_u32 v12, s86, v10
	v_add_u32_e32 v12, v10, v12
	v_lshrrev_b32_e32 v12, s87, v12
	v_mul_lo_u32 v12, v12, s72
	v_sub_u32_e32 v10, v10, v12
	v_mad_i64_i32 v[12:13], s[4:5], v10, s54, 0
	v_lshl_add_u64 v[12:13], v[12:13], 1, v[8:9]
	global_load_ushort v10, v[12:13], off
.LBB9_295:
	s_or_b64 exec, exec, s[2:3]
	v_add_u32_e32 v11, 0x240, v11
	v_lshl_add_u32 v12, v62, 1, v11
	s_waitcnt vmcnt(0)
	ds_write_b16 v12, v10 offset:11264
	v_mov_b32_e32 v10, 0
	v_mov_b32_e32 v12, 0
	s_and_saveexec_b64 s[2:3], vcc
	s_cbranch_execz .LBB9_297
; %bb.296:
	v_add3_u32 v12, v27, s41, 16
	v_mul_hi_u32 v13, s86, v12
	v_add_u32_e32 v13, v12, v13
	v_lshrrev_b32_e32 v13, s87, v13
	v_mul_lo_u32 v13, v13, s72
	v_sub_u32_e32 v12, v12, v13
	v_mad_i64_i32 v[12:13], s[4:5], v12, s54, 0
	v_lshl_add_u64 v[12:13], v[12:13], 1, v[8:9]
	global_load_ushort v12, v[12:13], off
.LBB9_297:
	s_or_b64 exec, exec, s[2:3]
	v_add_u32_e32 v11, 0x240, v11
	v_lshl_add_u32 v13, v62, 1, v11
	s_waitcnt vmcnt(0)
	ds_write_b16 v13, v12 offset:11264
	s_and_saveexec_b64 s[2:3], vcc
	s_cbranch_execz .LBB9_299
; %bb.298:
	v_add3_u32 v10, v27, s41, 20
	v_mul_hi_u32 v12, s86, v10
	v_add_u32_e32 v12, v10, v12
	v_lshrrev_b32_e32 v12, s87, v12
	v_mul_lo_u32 v12, v12, s72
	v_sub_u32_e32 v10, v10, v12
	v_mad_i64_i32 v[12:13], s[4:5], v10, s54, 0
	v_lshl_add_u64 v[12:13], v[12:13], 1, v[8:9]
	global_load_ushort v10, v[12:13], off
.LBB9_299:
	s_or_b64 exec, exec, s[2:3]
	v_add_u32_e32 v11, 0x240, v11
	v_lshl_add_u32 v12, v62, 1, v11
	s_waitcnt vmcnt(0)
	ds_write_b16 v12, v10 offset:11264
	v_mov_b32_e32 v10, 0
	v_mov_b32_e32 v12, 0
	s_and_saveexec_b64 s[2:3], vcc
	s_cbranch_execz .LBB9_301
; %bb.300:
	v_add3_u32 v12, v27, s41, 24
	v_mul_hi_u32 v13, s86, v12
	v_add_u32_e32 v13, v12, v13
	v_lshrrev_b32_e32 v13, s87, v13
	v_mul_lo_u32 v13, v13, s72
	v_sub_u32_e32 v12, v12, v13
	v_mad_i64_i32 v[12:13], s[4:5], v12, s54, 0
	v_lshl_add_u64 v[12:13], v[12:13], 1, v[8:9]
	global_load_ushort v12, v[12:13], off
.LBB9_301:
	s_or_b64 exec, exec, s[2:3]
	v_add_u32_e32 v11, 0x240, v11
	v_lshl_add_u32 v11, v62, 1, v11
	s_waitcnt vmcnt(0)
	ds_write_b16 v11, v12 offset:11264
	s_and_saveexec_b64 s[2:3], vcc
	s_cbranch_execz .LBB9_303
; %bb.302:
	v_add3_u32 v10, v27, s41, 28
	v_mul_hi_u32 v12, s86, v10
	v_add_u32_e32 v12, v10, v12
	v_lshrrev_b32_e32 v12, s87, v12
	v_mul_lo_u32 v12, v12, s72
	v_sub_u32_e32 v10, v10, v12
	v_mad_i64_i32 v[12:13], s[4:5], v10, s54, 0
	v_lshl_add_u64 v[8:9], v[12:13], 1, v[8:9]
	global_load_ushort v10, v[8:9], off
.LBB9_303:
	s_or_b64 exec, exec, s[2:3]
	s_waitcnt vmcnt(0)
	ds_write_b16 v11, v10 offset:11840
.LBB9_304:
	s_mul_hi_i32 s3, s24, s88
	s_mul_i32 s2, s24, s88
	s_lshl_b64 s[2:3], s[2:3], 2
	s_add_u32 s2, s43, s2
	v_lshl_add_u32 v30, v27, 5, v85
	v_mov_b32_e32 v8, 0
	s_mov_b64 s[4:5], src_private_base
	s_addc_u32 s3, s44, s3
	v_cmp_gt_u32_e64 s[18:19], 64, v30
	v_mov_b32_e32 v9, v8
	v_mov_b32_e32 v10, v8
	;; [unrolled: 1-line block ×3, first 2 shown]
	scratch_store_dwordx4 off, v[8:11], off
	s_and_saveexec_b64 s[6:7], s[18:19]
	s_cbranch_execz .LBB9_306
; %bb.305:
	v_mul_lo_u32 v10, s88, v30
	v_ashrrev_i32_e32 v11, 31, v10
	v_and_b32_e32 v9, 4, v76
	v_lshl_add_u64 v[10:11], v[10:11], 2, s[2:3]
	v_lshlrev_b32_e32 v14, 2, v9
	v_mov_b32_e32 v15, v8
	v_lshl_add_u64 v[10:11], v[10:11], 0, v[14:15]
	s_mov_b64 s[8:9], 0x80
	v_lshl_add_u64 v[10:11], v[10:11], 0, s[8:9]
	v_mov_b32_e32 v9, s5
	v_cmp_gt_i32_e32 vcc, s28, v30
	s_nop 1
	v_cndmask_b32_e32 v11, v9, v11, vcc
	v_mov_b32_e32 v9, 0
	v_cndmask_b32_e32 v10, v9, v10, vcc
	flat_load_dwordx4 v[10:13], v[10:11]
	v_mul_u32_u24_e32 v9, 0xb0, v30
	v_add3_u32 v9, 0, v9, v14
	s_waitcnt vmcnt(0) lgkmcnt(0)
	ds_write_b128 v9, v[10:13] offset:128
.LBB9_306:
	s_or_b64 exec, exec, s[6:7]
	v_and_b32_e32 v9, 28, v76
	v_lshlrev_b32_e32 v16, 2, v9
	v_lshl_add_u64 v[10:11], v[28:29], 2, s[2:3]
	v_mov_b32_e32 v17, v8
	v_lshl_add_u64 v[8:9], v[10:11], 0, v[16:17]
	v_mov_b32_e32 v14, s5
	v_cmp_gt_i32_e64 s[14:15], s28, v77
	v_mov_b32_e32 v15, 0
	v_ashrrev_i32_e32 v25, 31, v24
	v_cndmask_b32_e64 v9, v14, v9, s[14:15]
	v_cndmask_b32_e64 v8, v15, v8, s[14:15]
	flat_load_dwordx4 v[8:11], v[8:9]
	v_mul_u32_u24_e32 v28, 0xb0, v77
	v_lshl_add_u64 v[12:13], v[24:25], 2, s[2:3]
	v_add3_u32 v24, 0, v28, v16
	v_lshl_add_u64 v[12:13], v[12:13], 0, v[16:17]
	v_cmp_gt_i32_e64 s[12:13], s28, v75
	v_and_b32_e32 v17, 16, v107
	s_and_b64 vcc, exec, s[0:1]
	v_cndmask_b32_e64 v13, v14, v13, s[12:13]
	v_cndmask_b32_e64 v12, v15, v12, s[12:13]
	s_waitcnt vmcnt(0) lgkmcnt(0)
	ds_write_b128 v24, v[8:11]
	flat_load_dwordx4 v[8:11], v[12:13]
	v_add_u32_e32 v12, 0, v84
	v_mul_u32_u24_e32 v13, 0xb0, v17
	v_add3_u32 v25, v12, v64, v13
	v_add_u32_e32 v28, 0x1000, v25
	s_waitcnt vmcnt(0) lgkmcnt(0)
	ds_write_b128 v24, v[8:11] offset:5632
	s_waitcnt lgkmcnt(0)
	s_barrier
	ds_read2_b64 v[8:11], v25 offset1:4
	ds_read2_b64 v[32:35], v28 offset0:192 offset1:196
	s_waitcnt lgkmcnt(1)
	v_mfma_f32_16x16x16_f16 v[12:15], v[8:9], v[4:5], 0
	s_waitcnt lgkmcnt(0)
	v_mfma_f32_16x16x16_f16 v[36:39], v[32:33], v[4:5], 0
	v_mfma_f32_16x16x16_f16 v[8:11], v[10:11], v[6:7], v[12:15]
	s_nop 4
	ds_read2_b64 v[12:15], v25 offset0:8 offset1:12
	v_mfma_f32_16x16x16_f16 v[4:7], v[34:35], v[6:7], v[36:39]
	ds_read2_b64 v[32:35], v28 offset0:200 offset1:204
	s_waitcnt lgkmcnt(1)
	v_mfma_f32_16x16x16_f16 v[8:11], v[12:13], v[0:1], v[8:11]
	s_waitcnt lgkmcnt(0)
	v_mfma_f32_16x16x16_f16 v[4:7], v[32:33], v[0:1], v[4:7]
	v_mfma_f32_16x16x16_f16 v[8:11], v[14:15], v[2:3], v[8:11]
	ds_read_b64 v[12:13], v25 offset:128
	ds_read_b64 v[14:15], v25 offset:5760
	s_waitcnt lgkmcnt(0)
	s_barrier
	v_mfma_f32_16x16x16_f16 v[0:3], v[34:35], v[2:3], v[4:7]
	v_mfma_f32_16x16x16_f16 v[8:11], v[12:13], v[22:23], v[8:11]
	s_nop 1
	v_and_b32_e32 v4, 0xfc, v83
	v_add_u32_e32 v17, v4, v17
	v_add_u32_e32 v25, 32, v17
	v_mfma_f32_16x16x16_f16 v[12:15], v[14:15], v[22:23], v[0:3]
	v_add_u32_e32 v28, 34, v17
	s_cbranch_vccz .LBB9_324
; %bb.307:
	s_movk_i32 s0, 0x90
	v_mad_u32_u24 v2, v82, s0, 0
	v_lshlrev_b32_e32 v0, 1, v17
	s_movk_i32 s0, 0x2c00
	v_add_u32_e32 v23, 32, v17
	v_add3_u32 v0, v2, v0, s0
	v_lshl_add_u32 v3, v23, 1, v2
	v_add_u32_e32 v22, 34, v17
	ds_read2_b32 v[0:1], v0 offset1:1
	v_lshl_add_u32 v2, v22, 1, v2
	ds_read_b32 v4, v3 offset:11264
	ds_read_b32 v5, v2 offset:11264
	s_waitcnt lgkmcnt(2)
	v_cvt_f32_f16_e32 v2, v0
	v_cvt_f32_f16_sdwa v3, v0 dst_sel:DWORD dst_unused:UNUSED_PAD src0_sel:WORD_1
	v_cvt_f32_f16_e32 v0, v1
	v_cvt_f32_f16_sdwa v1, v1 dst_sel:DWORD dst_unused:UNUSED_PAD src0_sel:WORD_1
	s_waitcnt lgkmcnt(1)
	v_cvt_f32_f16_e32 v32, v4
	s_waitcnt lgkmcnt(0)
	v_cvt_f32_f16_e32 v34, v5
	v_cvt_f32_f16_sdwa v35, v5 dst_sel:DWORD dst_unused:UNUSED_PAD src0_sel:WORD_1
	v_cvt_f32_f16_sdwa v33, v4 dst_sel:DWORD dst_unused:UNUSED_PAD src0_sel:WORD_1
	v_pk_fma_f32 v[6:7], v[18:19], v[0:1], v[10:11] op_sel_hi:[0,1,1]
	v_pk_fma_f32 v[4:5], v[18:19], v[2:3], v[8:9] op_sel_hi:[0,1,1]
	;; [unrolled: 1-line block ×4, first 2 shown]
	s_cbranch_execnz .LBB9_309
.LBB9_308:
	s_nop 4
	v_mov_b64_e32 v[0:1], v[12:13]
	v_mov_b64_e32 v[4:5], v[8:9]
	v_mov_b32_e32 v22, v28
	v_mov_b32_e32 v23, v25
	v_mov_b64_e32 v[2:3], v[14:15]
	v_mov_b64_e32 v[6:7], v[10:11]
.LBB9_309:
	v_add_f32_e32 v8, 0x40051340, v4
	v_max_f32_e32 v9, v86, v86
	v_max_f32_e32 v8, v9, v8
	v_cmp_gt_u32_e64 s[16:17], s28, v17
	v_or_b32_e32 v9, 1, v17
	v_add_f32_e32 v10, 0x40051340, v5
	v_cndmask_b32_e64 v8, v86, v8, s[16:17]
	v_max_f32_e32 v11, v8, v8
	v_max_f32_e32 v10, v11, v10
	v_cmp_gt_u32_e64 s[10:11], s28, v9
	v_or_b32_e32 v9, 2, v17
	v_cmp_gt_u32_e64 s[8:9], s28, v9
	v_cndmask_b32_e64 v8, v8, v10, s[10:11]
	v_add_f32_e32 v10, 0x40051340, v6
	v_max_f32_e32 v11, v8, v8
	v_max_f32_e32 v10, v11, v10
	v_cndmask_b32_e64 v8, v8, v10, s[8:9]
	v_or_b32_e32 v9, 3, v17
	v_add_f32_e32 v10, 0x40051340, v7
	v_max_f32_e32 v11, v8, v8
	v_max_f32_e32 v10, v11, v10
	v_cmp_gt_u32_e64 s[6:7], s28, v9
	v_add_f32_e32 v9, 0x40051340, v0
	v_cmp_gt_u32_e64 s[4:5], s28, v23
	v_cndmask_b32_e64 v8, v8, v10, s[6:7]
	v_max_f32_e32 v10, v8, v8
	v_max_f32_e32 v9, v10, v9
	v_cndmask_b32_e64 v8, v8, v9, s[4:5]
	v_add_u32_e32 v9, 33, v17
	v_add_f32_e32 v10, 0x40051340, v1
	v_max_f32_e32 v11, v8, v8
	v_max_f32_e32 v10, v11, v10
	v_cmp_gt_u32_e64 s[20:21], s28, v9
	v_add_f32_e32 v9, 0x40051340, v2
	v_cmp_gt_u32_e64 s[0:1], s28, v22
	v_cndmask_b32_e64 v8, v8, v10, s[20:21]
	v_max_f32_e32 v10, v8, v8
	v_max_f32_e32 v9, v10, v9
	v_cndmask_b32_e64 v8, v8, v9, s[0:1]
	v_add_u32_e32 v9, 35, v17
	v_add_f32_e32 v10, 0x40051340, v3
	v_max_f32_e32 v11, v8, v8
	v_max_f32_e32 v10, v11, v10
	v_cmp_gt_u32_e32 vcc, s28, v9
	v_mbcnt_hi_u32_b32 v9, -1, v109
	v_xor_b32_e32 v11, 32, v9
	v_cndmask_b32_e32 v8, v8, v10, vcc
	v_and_b32_e32 v10, 64, v9
	v_add_u32_e32 v10, 64, v10
	v_cmp_lt_i32_e64 s[22:23], v11, v10
	s_mul_hi_i32 s3, s24, s74
	s_mul_i32 s2, s24, s74
	v_cndmask_b32_e64 v11, v9, v11, s[22:23]
	v_lshlrev_b32_e32 v18, 2, v11
	ds_bpermute_b32 v11, v18, v8
	v_max_f32_e32 v8, v8, v8
	s_lshl_b64 s[2:3], s[2:3], 2
	s_add_u32 s2, s33, s2
	s_mov_b64 s[26:27], src_private_base
	s_waitcnt lgkmcnt(0)
	v_max_f32_e32 v11, v11, v11
	v_max_f32_e32 v13, v8, v11
	v_xor_b32_e32 v8, 16, v9
	v_cmp_lt_i32_e64 s[22:23], v8, v10
	v_add_u32_e32 v12, 0x1600, v24
	s_addc_u32 s3, s40, s3
	v_cndmask_b32_e64 v8, v9, v8, s[22:23]
	v_lshlrev_b32_e32 v23, 2, v8
	ds_bpermute_b32 v14, v23, v13
	v_mov_b32_e32 v8, 0
	s_mov_b32 s24, 0
	v_mov_b32_e32 v9, v8
	v_mov_b32_e32 v10, v8
	;; [unrolled: 1-line block ×3, first 2 shown]
	scratch_store_dwordx4 off, v[8:11], off
	s_and_saveexec_b64 s[22:23], s[18:19]
	s_cbranch_execz .LBB9_311
; %bb.310:
	v_mul_lo_u32 v28, s74, v30
	v_and_b32_e32 v9, 4, v76
	v_ashrrev_i32_e32 v29, 31, v28
	v_lshlrev_b32_e32 v10, 2, v9
	v_lshl_add_u64 v[28:29], v[28:29], 2, s[2:3]
	v_mov_b32_e32 v11, v8
	v_lshl_add_u64 v[28:29], v[28:29], 0, v[10:11]
	s_mov_b64 s[18:19], 0x80
	v_lshl_add_u64 v[28:29], v[28:29], 0, s[18:19]
	v_mov_b32_e32 v9, s27
	v_cmp_gt_i32_e64 s[18:19], s28, v30
	s_nop 1
	v_cndmask_b32_e64 v29, v9, v29, s[18:19]
	v_mov_b32_e32 v9, 0
	v_cndmask_b32_e64 v28, v9, v28, s[18:19]
	flat_load_dwordx4 v[32:35], v[28:29]
	v_mul_u32_u24_e32 v9, 0xb0, v30
	v_add3_u32 v9, 0, v9, v10
	s_waitcnt vmcnt(0) lgkmcnt(0)
	ds_write_b128 v9, v[32:35] offset:128
.LBB9_311:
	s_or_b64 exec, exec, s[22:23]
	s_waitcnt lgkmcnt(0)
	v_max_f32_e32 v9, v14, v14
	v_max_f32_e32 v10, v13, v13
	;; [unrolled: 1-line block ×3, first 2 shown]
	v_lshl_add_u64 v[10:11], v[20:21], 2, s[2:3]
	v_mov_b32_e32 v17, v8
	v_lshl_add_u64 v[8:9], v[10:11], 0, v[16:17]
	v_mov_b32_e32 v15, s27
	v_mov_b32_e32 v20, 0
	v_cndmask_b32_e64 v9, v15, v9, s[14:15]
	v_cndmask_b32_e64 v8, v20, v8, s[14:15]
	flat_load_dwordx4 v[8:11], v[8:9]
	v_sub_f32_e32 v4, v4, v22
	s_mov_b32 s18, 0x3fb8aa3b
	v_mul_f32_e32 v13, 0x3fb8aa3b, v4
	v_fma_f32 v14, v4, s18, -v13
	v_rndne_f32_e32 v21, v13
	v_fmac_f32_e32 v14, 0x32a5705f, v4
	v_sub_f32_e32 v13, v13, v21
	v_sub_f32_e32 v5, v5, v22
	v_add_f32_e32 v13, v13, v14
	v_cvt_i32_f32_e32 v14, v21
	v_mul_f32_e32 v21, 0x3fb8aa3b, v5
	v_fma_f32 v25, v5, s18, -v21
	v_rndne_f32_e32 v28, v21
	v_exp_f32_e32 v13, v13
	v_fmac_f32_e32 v25, 0x32a5705f, v5
	v_sub_f32_e32 v21, v21, v28
	v_add_f32_e32 v21, v21, v25
	v_exp_f32_e32 v21, v21
	v_cvt_i32_f32_e32 v25, v28
	s_mov_b32 s19, 0xc2ce8ed0
	v_ldexp_f32 v13, v13, v14
	v_cmp_ngt_f32_e64 s[14:15], s19, v4
	s_mov_b32 s22, 0x42b17218
	v_mov_b32_e32 v14, 0x7f800000
	v_cndmask_b32_e64 v13, 0, v13, s[14:15]
	v_cmp_nlt_f32_e64 s[14:15], s22, v4
	v_sub_f32_e32 v6, v6, v22
	v_sub_f32_e32 v7, v7, v22
	v_cndmask_b32_e64 v4, v14, v13, s[14:15]
	v_ldexp_f32 v13, v21, v25
	v_mul_f32_e32 v21, 0x3fb8aa3b, v6
	v_fma_f32 v25, v6, s18, -v21
	v_rndne_f32_e32 v28, v21
	v_fmac_f32_e32 v25, 0x32a5705f, v6
	v_sub_f32_e32 v21, v21, v28
	v_add_f32_e32 v21, v21, v25
	v_exp_f32_e32 v21, v21
	v_cvt_i32_f32_e32 v25, v28
	v_cmp_ngt_f32_e64 s[14:15], s19, v5
	v_sub_f32_e32 v2, v2, v22
	v_sub_f32_e32 v3, v3, v22
	v_cndmask_b32_e64 v13, 0, v13, s[14:15]
	v_cmp_nlt_f32_e64 s[14:15], s22, v5
	v_mov_b32_e32 v5, s24
	v_cndmask_b32_e64 v4, 0, v4, s[16:17]
	v_cndmask_b32_e64 v28, v14, v13, s[14:15]
	v_ldexp_f32 v13, v21, v25
	v_mul_f32_e32 v21, 0x3fb8aa3b, v7
	v_fma_f32 v25, v7, s18, -v21
	v_rndne_f32_e32 v29, v21
	v_fmac_f32_e32 v25, 0x32a5705f, v7
	v_sub_f32_e32 v21, v21, v29
	v_add_f32_e32 v21, v21, v25
	v_exp_f32_e32 v21, v21
	v_cvt_i32_f32_e32 v25, v29
	v_cmp_ngt_f32_e64 s[14:15], s19, v6
	v_cndmask_b32_e64 v5, v5, v28, s[10:11]
	s_waitcnt vmcnt(0) lgkmcnt(0)
	ds_write_b128 v24, v[8:11]
	v_cndmask_b32_e64 v13, 0, v13, s[14:15]
	v_cmp_nlt_f32_e64 s[14:15], s22, v6
	v_mov_b32_e32 v6, s24
	s_nop 0
	v_cndmask_b32_e64 v29, v14, v13, s[14:15]
	v_ldexp_f32 v13, v21, v25
	v_sub_f32_e32 v21, v0, v22
	v_mul_f32_e32 v0, 0x3fb8aa3b, v21
	v_fma_f32 v25, v21, s18, -v0
	v_rndne_f32_e32 v30, v0
	v_fmac_f32_e32 v25, 0x32a5705f, v21
	v_sub_f32_e32 v0, v0, v30
	v_add_f32_e32 v0, v0, v25
	v_exp_f32_e32 v0, v0
	v_cvt_i32_f32_e32 v25, v30
	v_cmp_ngt_f32_e64 s[14:15], s19, v7
	v_cndmask_b32_e64 v6, v6, v29, s[8:9]
	v_ldexp_f32 v0, v0, v25
	v_cndmask_b32_e64 v13, 0, v13, s[14:15]
	v_cmp_nlt_f32_e64 s[14:15], s22, v7
	s_nop 1
	v_cndmask_b32_e64 v30, v14, v13, s[14:15]
	v_cmp_ngt_f32_e64 s[14:15], s19, v21
	v_sub_f32_e32 v13, v1, v22
	v_mul_f32_e32 v25, 0x3fb8aa3b, v13
	v_cndmask_b32_e64 v7, 0, v0, s[14:15]
	v_mul_lo_u32 v0, s74, v75
	v_ashrrev_i32_e32 v1, 31, v0
	v_lshl_add_u64 v[0:1], v[0:1], 2, s[2:3]
	v_lshl_add_u64 v[0:1], v[0:1], 0, v[16:17]
	v_cndmask_b32_e64 v1, v15, v1, s[12:13]
	v_cndmask_b32_e64 v0, v20, v0, s[12:13]
	flat_load_dwordx4 v[8:11], v[0:1]
	v_fma_f32 v0, v13, s18, -v25
	v_rndne_f32_e32 v1, v25
	v_fmac_f32_e32 v0, 0x32a5705f, v13
	v_sub_f32_e32 v15, v25, v1
	v_add_f32_e32 v0, v15, v0
	v_exp_f32_e32 v15, v0
	v_cvt_i32_f32_e32 v1, v1
	v_cmp_nlt_f32_e64 s[12:13], s22, v21
	s_mov_b32 s2, 0xc1a00000
	v_and_b32_e32 v20, 0xfc, v72
	v_cndmask_b32_e64 v24, v14, v7, s[12:13]
	v_mul_f32_e32 v7, 0x3fb8aa3b, v2
	v_ldexp_f32 v1, v15, v1
	v_fma_f32 v15, v2, s18, -v7
	v_rndne_f32_e32 v16, v7
	v_fmac_f32_e32 v15, 0x32a5705f, v2
	v_sub_f32_e32 v7, v7, v16
	v_add_f32_e32 v7, v7, v15
	v_exp_f32_e32 v7, v7
	v_cvt_i32_f32_e32 v15, v16
	v_cmp_ngt_f32_e64 s[12:13], s19, v13
	v_mul_u32_u24_e32 v20, 0xb0, v20
	v_mov_b32_e32 v0, s24
	v_cndmask_b32_e64 v1, 0, v1, s[12:13]
	v_cmp_nlt_f32_e64 s[12:13], s22, v13
	v_ldexp_f32 v7, v7, v15
	v_sub_f32_e32 v15, v86, v22
	v_cndmask_b32_e64 v31, v14, v1, s[12:13]
	v_cmp_ngt_f32_e64 s[12:13], s19, v2
	v_mov_b32_e32 v1, s24
	v_cndmask_b32_e64 v0, v0, v24, s[4:5]
	v_cndmask_b32_e64 v7, 0, v7, s[12:13]
	v_cmp_nlt_f32_e64 s[12:13], s22, v2
	v_mul_f32_e32 v2, 0x3fb8aa3b, v3
	v_rndne_f32_e32 v13, v2
	v_cndmask_b32_e64 v32, v14, v7, s[12:13]
	v_fma_f32 v7, v3, s18, -v2
	v_fmac_f32_e32 v7, 0x32a5705f, v3
	v_sub_f32_e32 v2, v2, v13
	v_add_f32_e32 v2, v2, v7
	v_exp_f32_e32 v7, v2
	v_mul_f32_e32 v2, 0x3fb8aa3b, v15
	v_fma_f32 v16, v15, s18, -v2
	v_rndne_f32_e32 v17, v2
	v_fmac_f32_e32 v16, 0x32a5705f, v15
	v_sub_f32_e32 v2, v2, v17
	v_add_f32_e32 v2, v2, v16
	v_cvt_i32_f32_e32 v13, v13
	v_exp_f32_e32 v16, v2
	v_cvt_i32_f32_e32 v17, v17
	v_cmp_ngt_f32_e64 s[12:13], s19, v15
	v_ldexp_f32 v7, v7, v13
	v_mov_b32_e32 v2, s24
	v_ldexp_f32 v13, v16, v17
	v_cndmask_b32_e64 v13, 0, v13, s[12:13]
	v_cmp_nlt_f32_e64 s[12:13], s22, v15
	v_or_b32_e32 v16, 3, v72
	v_mul_u32_u24_e32 v16, 0xb0, v16
	v_cndmask_b32_e64 v13, v14, v13, s[12:13]
	v_cmp_le_f32_e64 s[12:13], s2, v15
	s_movk_i32 s2, 0x160
	v_or_b32_e32 v17, 2, v72
	v_cndmask_b32_e64 v33, 0, v13, s[12:13]
	v_cvt_f16_f32_e32 v13, v33
	v_mul_u32_u24_e32 v17, 0xb0, v17
	v_cmp_ngt_f32_e64 s[12:13], s19, v3
	v_cndmask_b32_e64 v1, v1, v31, s[20:21]
	v_mul_u32_u24_e32 v35, 0x10001, v13
	v_pk_mul_f16 v13, v81, v35
	v_cndmask_b32_e64 v7, 0, v7, s[12:13]
	v_cmp_nlt_f32_e64 s[12:13], s22, v3
	v_mov_b32_e32 v3, s24
	v_cndmask_b32_e64 v2, v2, v32, s[0:1]
	v_cndmask_b32_e64 v34, v14, v7, s[12:13]
	v_pk_mul_f16 v14, v80, v35
	v_mov_b32_e32 v7, s24
	v_cndmask_b32_e64 v7, v7, v30, s[6:7]
	v_cndmask_b32_e32 v3, v3, v34, vcc
	v_pk_mul_f16 v15, v79, v35
	s_waitcnt vmcnt(0) lgkmcnt(0)
	ds_write_b128 v12, v[8:11]
	v_mad_u32_u24 v8, v70, s2, 0
	v_add3_u32 v36, v8, v16, v71
	s_waitcnt lgkmcnt(0)
	s_barrier
	v_add3_u32 v20, v8, v20, v71
	v_add3_u32 v21, v8, v17, v71
	s_mov_b32 s2, 0x5040100
	ds_read_u16 v11, v36
	ds_read_u16 v12, v21
	ds_read_u16 v37, v21 offset:32
	ds_read_u16 v38, v20 offset:5840
	;; [unrolled: 1-line block ×9, first 2 shown]
	v_cvt_f32_f16_e32 v8, v13
	v_cvt_f32_f16_sdwa v9, v13 dst_sel:DWORD dst_unused:UNUSED_PAD src0_sel:WORD_1
	s_waitcnt lgkmcnt(9)
	v_perm_b32 v13, v11, v12, s2
	ds_read_u16 v11, v20 offset:176
	ds_read_u16 v12, v20
	ds_read_u16 v46, v20 offset:32
	ds_read_u16 v47, v20 offset:208
	;; [unrolled: 1-line block ×6, first 2 shown]
	s_waitcnt lgkmcnt(6)
	v_perm_b32 v12, v11, v12, s2
	v_cvt_f32_f16_e32 v10, v14
	v_cvt_f32_f16_sdwa v11, v14 dst_sel:DWORD dst_unused:UNUSED_PAD src0_sel:WORD_1
	v_cvt_pk_f16_f32 v17, v6, v7
	v_cvt_pk_f16_f32 v16, v4, v5
	v_pk_mul_f16 v25, v78, v35
	s_nop 0
	v_mfma_f32_16x16x16_f16 v[6:9], v[12:13], v[16:17], v[8:11]
	s_nop 7
	v_cvt_f16_f32_e32 v5, v6
	v_cvt_f16_f32_e32 v7, v7
	;; [unrolled: 1-line block ×4, first 2 shown]
	v_cvt_f32_f16_e32 v6, v5
	ds_read_u16 v5, v21 offset:5632
	ds_read_u16 v12, v21 offset:5664
	ds_read_u16 v14, v21 offset:5696
	ds_read_u16 v52, v21 offset:5728
	ds_read_u16 v53, v21 offset:128
	ds_read_u16 v10, v36 offset:5632
	ds_read_u16 v13, v36 offset:5664
	ds_read_u16 v54, v36 offset:64
	ds_read_u16 v56, v36 offset:5696
	ds_read_u16 v57, v36 offset:96
	ds_read_u16 v58, v36 offset:5728
	ds_read_u16 v59, v36 offset:5760
	ds_read_u16 v36, v36 offset:128
	s_waitcnt lgkmcnt(7)
	v_perm_b32 v11, v10, v5, s2
	ds_read_u16 v5, v20 offset:5632
	ds_read_u16 v10, v20 offset:5808
	;; [unrolled: 1-line block ×8, first 2 shown]
	s_waitcnt lgkmcnt(6)
	v_perm_b32 v10, v10, v5, s2
	v_cvt_f32_f16_e32 v7, v7
	v_cvt_f32_f16_e32 v8, v8
	;; [unrolled: 1-line block ×3, first 2 shown]
	v_cvt_pk_f16_f32 v21, v2, v3
	v_cvt_pk_f16_f32 v20, v0, v1
	v_add_f32_e32 v5, v28, v4
	s_waitcnt lgkmcnt(0)
	v_mfma_f32_16x16x16_f16 v[0:3], v[10:11], v[20:21], v[6:9]
	v_perm_b32 v11, v44, v37, s2
	v_perm_b32 v10, v47, v46, s2
	s_barrier
	v_cvt_f32_f16_e32 v6, v15
	v_cvt_f32_f16_sdwa v7, v15 dst_sel:DWORD dst_unused:UNUSED_PAD src0_sel:WORD_1
	v_cvt_f32_f16_e32 v8, v25
	v_cvt_f32_f16_sdwa v9, v25 dst_sel:DWORD dst_unused:UNUSED_PAD src0_sel:WORD_1
	v_cndmask_b32_e64 v15, v4, v5, s[10:11]
	v_add_f32_e32 v25, v15, v29
	v_mfma_f32_16x16x16_f16 v[4:7], v[10:11], v[16:17], v[6:9]
	v_pk_mul_f16 v10, v74, v35
	v_pk_mul_f16 v11, v73, v35
	s_nop 0
	v_perm_b32 v9, v13, v12, s2
	v_perm_b32 v8, v38, v60, s2
	s_nop 2
	v_cvt_f16_f32_e32 v4, v4
	v_cvt_f16_f32_e32 v5, v5
	;; [unrolled: 1-line block ×4, first 2 shown]
	v_cvt_f32_f16_e32 v4, v4
	v_cvt_f32_f16_e32 v5, v5
	;; [unrolled: 1-line block ×4, first 2 shown]
	v_perm_b32 v13, v54, v39, s2
	v_perm_b32 v12, v49, v48, s2
	v_mfma_f32_16x16x16_f16 v[4:7], v[8:9], v[20:21], v[4:7]
	v_cvt_f32_f16_e32 v8, v10
	v_cvt_f32_f16_sdwa v9, v10 dst_sel:DWORD dst_unused:UNUSED_PAD src0_sel:WORD_1
	v_cvt_f32_f16_e32 v10, v11
	v_cvt_f32_f16_sdwa v11, v11 dst_sel:DWORD dst_unused:UNUSED_PAD src0_sel:WORD_1
	v_cndmask_b32_e64 v15, v15, v25, s[8:9]
	v_add_f32_e32 v25, v15, v30
	v_mfma_f32_16x16x16_f16 v[8:11], v[12:13], v[16:17], v[8:11]
	v_perm_b32 v13, v56, v14, s2
	v_perm_b32 v12, v40, v61, s2
	v_cndmask_b32_e64 v15, v15, v25, s[6:7]
	v_add_f32_e32 v24, v24, v15
	s_nop 3
	v_cvt_f16_f32_e32 v8, v8
	v_cvt_f16_f32_e32 v9, v9
	;; [unrolled: 1-line block ×4, first 2 shown]
	v_cvt_f32_f16_e32 v8, v8
	v_cvt_f32_f16_e32 v9, v9
	;; [unrolled: 1-line block ×4, first 2 shown]
	v_cndmask_b32_e64 v28, v15, v24, s[4:5]
	v_pk_mul_f16 v14, v69, v35
	v_pk_mul_f16 v15, v68, v35
	v_perm_b32 v25, v57, v41, s2
	v_perm_b32 v24, v70, v50, s2
	v_mfma_f32_16x16x16_f16 v[8:11], v[12:13], v[20:21], v[8:11]
	v_cvt_f32_f16_e32 v12, v14
	v_cvt_f32_f16_sdwa v13, v14 dst_sel:DWORD dst_unused:UNUSED_PAD src0_sel:WORD_1
	v_cvt_f32_f16_e32 v14, v15
	v_cvt_f32_f16_sdwa v15, v15 dst_sel:DWORD dst_unused:UNUSED_PAD src0_sel:WORD_1
	v_add_f32_e32 v29, v31, v28
	v_cndmask_b32_e64 v28, v28, v29, s[20:21]
	v_mfma_f32_16x16x16_f16 v[12:15], v[24:25], v[16:17], v[12:15]
	v_perm_b32 v25, v58, v52, s2
	v_perm_b32 v24, v42, v71, s2
	v_add_f32_e32 v29, v32, v28
	v_cndmask_b32_e64 v32, v28, v29, s[0:1]
	s_nop 3
	v_cvt_f16_f32_e32 v12, v12
	v_cvt_f16_f32_e32 v13, v13
	;; [unrolled: 1-line block ×4, first 2 shown]
	v_cvt_f32_f16_e32 v12, v12
	v_cvt_f32_f16_e32 v13, v13
	v_cvt_f32_f16_e32 v14, v14
	v_cvt_f32_f16_e32 v15, v15
	v_pk_mul_f16 v29, v67, v35
	v_pk_mul_f16 v31, v66, v35
	v_mfma_f32_16x16x16_f16 v[12:15], v[24:25], v[20:21], v[12:15]
	v_perm_b32 v25, v36, v53, s2
	v_perm_b32 v24, v75, v51, s2
	v_cvt_f32_f16_e32 v28, v29
	v_cvt_f32_f16_sdwa v29, v29 dst_sel:DWORD dst_unused:UNUSED_PAD src0_sel:WORD_1
	v_cvt_f32_f16_e32 v30, v31
	v_cvt_f32_f16_sdwa v31, v31 dst_sel:DWORD dst_unused:UNUSED_PAD src0_sel:WORD_1
	v_add_f32_e32 v34, v34, v32
	v_cndmask_b32_e32 v32, v32, v34, vcc
	v_mfma_f32_16x16x16_f16 v[28:31], v[24:25], v[16:17], v[28:31]
	v_fmac_f32_e32 v32, v19, v33
	s_movk_i32 s4, 0xb0
	v_cmp_gt_u32_e64 s[0:1], 16, v62
	s_nop 4
	v_cvt_f16_f32_e32 v16, v28
	v_cvt_f16_f32_e32 v17, v29
	;; [unrolled: 1-line block ×4, first 2 shown]
	v_cvt_f32_f16_e32 v28, v16
	v_cvt_f32_f16_e32 v29, v17
	;; [unrolled: 1-line block ×3, first 2 shown]
	v_perm_b32 v17, v59, v45, s2
	v_perm_b32 v16, v43, v72, s2
	ds_bpermute_b32 v24, v18, v32
	v_cvt_f32_f16_e32 v30, v19
	s_nop 1
	v_mfma_f32_16x16x16_f16 v[16:19], v[16:17], v[20:21], v[28:31]
	s_waitcnt lgkmcnt(0)
	v_add_f32_e32 v20, v32, v24
	ds_bpermute_b32 v21, v23, v20
	s_and_saveexec_b64 s[2:3], s[0:1]
	s_cbranch_execz .LBB9_313
; %bb.312:
	s_waitcnt lgkmcnt(0)
	v_add_f32_e32 v20, v20, v21
	v_or_b32_e32 v21, v107, v62
	v_mad_u32_u24 v21, v21, s4, 0
	ds_write2_b32 v21, v22, v20 offset0:40 offset1:41
.LBB9_313:
	s_or_b64 exec, exec, s[2:3]
	v_and_b32_e32 v20, 1, v27
	v_cmp_eq_u32_e32 vcc, 0, v20
	v_cmp_eq_u32_e64 s[4:5], 1, v20
	s_waitcnt lgkmcnt(0)
	s_barrier
	s_and_saveexec_b64 s[2:3], s[4:5]
	s_xor_b64 s[2:3], exec, s[2:3]
	s_cbranch_execz .LBB9_315
; %bb.314:
	s_barrier
                                        ; implicit-def: $vgpr108
                                        ; implicit-def: $vgpr23
.LBB9_315:
	s_andn2_saveexec_b64 s[2:3], s[2:3]
	s_cbranch_execz .LBB9_321
; %bb.316:
	v_or_b32_e32 v21, v107, v26
	s_movk_i32 s4, 0xb0
	v_mad_u32_u24 v20, v21, s4, 0
	ds_read_b64 v[24:25], v20 offset:160
	s_mov_b32 s4, 0x3fb8aa3b
	s_mov_b32 s6, 0x42b17218
	s_waitcnt lgkmcnt(0)
	s_barrier
	ds_bpermute_b32 v20, v23, v24
	v_max_f32_e32 v22, v24, v24
	s_waitcnt lgkmcnt(0)
	v_max_f32_e32 v20, v20, v20
	v_max_f32_e32 v20, v22, v20
	v_sub_f32_e32 v22, v24, v20
	v_mul_f32_e32 v24, 0x3fb8aa3b, v22
	v_fma_f32 v28, v22, s4, -v24
	v_rndne_f32_e32 v29, v24
	v_fmamk_f32 v28, v22, 0x32a5705f, v28
	v_sub_f32_e32 v24, v24, v29
	v_add_f32_e32 v24, v24, v28
	v_cvt_i32_f32_e32 v29, v29
	v_exp_f32_e32 v24, v24
	s_mov_b32 s4, 0xc2ce8ed0
	v_cmp_ngt_f32_e64 s[4:5], s4, v22
	v_mov_b32_e32 v28, 0x7f800000
	v_ldexp_f32 v24, v24, v29
	v_cndmask_b32_e64 v24, 0, v24, s[4:5]
	v_cmp_nlt_f32_e64 s[4:5], s6, v22
	s_nop 1
	v_cndmask_b32_e64 v22, v28, v24, s[4:5]
	v_mul_f32_e32 v24, v25, v22
	ds_bpermute_b32 v23, v23, v24
	v_cmp_gt_u32_e64 s[4:5], 32, v62
	s_waitcnt lgkmcnt(0)
	v_fmac_f32_e32 v23, v25, v22
	s_and_saveexec_b64 s[6:7], s[4:5]
; %bb.317:
	v_mul_u32_u24_e32 v21, 0xb0, v21
	v_add_u32_e32 v21, 0, v21
	ds_write_b64 v21, v[22:23] offset:160
; %bb.318:
	s_or_b64 exec, exec, s[6:7]
	s_and_saveexec_b64 s[4:5], s[0:1]
	s_cbranch_execz .LBB9_320
; %bb.319:
	s_add_i32 s0, s53, s52
	s_lshl_b32 s0, s0, 5
	s_mov_b32 s1, 0
	s_lshl_b64 s[0:1], s[0:1], 3
	s_add_u32 s0, s70, s0
	v_or_b32_e32 v21, v108, v62
	s_addc_u32 s1, s71, s1
	v_lshlrev_b32_e32 v22, 3, v21
	v_mov_b32_e32 v21, v23
	global_store_dwordx2 v22, v[20:21], s[0:1]
.LBB9_320:
	s_or_b64 exec, exec, s[4:5]
.LBB9_321:
	s_or_b64 exec, exec, s[2:3]
	v_cvt_pk_f16_f32 v2, v2, v3
	v_cvt_pk_f16_f32 v3, v4, v5
	;; [unrolled: 1-line block ×3, first 2 shown]
	v_or_b32_e32 v10, v107, v65
	v_mul_u32_u24_e32 v10, 0xb0, v10
	v_cvt_pk_f16_f32 v0, v0, v1
	s_movk_i32 s4, 0xb0
	s_mov_b32 s3, 0
	v_add3_u32 v10, 0, v10, v64
	v_cvt_pk_f16_f32 v1, v6, v7
	v_cvt_pk_f16_f32 v5, v8, v9
	v_cvt_pk_f16_f32 v6, v14, v15
	v_cvt_pk_f16_f32 v7, v12, v13
	v_cvt_pk_f16_f32 v8, v18, v19
	v_cvt_pk_f16_f32 v9, v16, v17
	ds_write2_b32 v10, v0, v2 offset1:1
	ds_write2_b32 v10, v3, v1 offset0:8 offset1:9
	ds_write2_b32 v10, v5, v4 offset0:16 offset1:17
	;; [unrolled: 1-line block ×4, first 2 shown]
	s_waitcnt lgkmcnt(0)
	s_barrier
	s_and_saveexec_b64 s[0:1], vcc
	s_cbranch_execz .LBB9_323
; %bb.322:
	s_mul_i32 s2, s52, 0x500
	s_lshl_b64 s[6:7], s[2:3], 3
	s_add_u32 s5, s70, s6
	s_addc_u32 s6, s71, s7
	s_lshl_b32 s2, s53, 6
	s_lshl_b64 s[2:3], s[2:3], 3
	v_add_u32_e32 v8, v106, v27
	s_add_u32 s2, s5, s2
	v_lshlrev_b32_e32 v9, 1, v8
	v_and_b32_e32 v10, 15, v8
	s_movk_i32 s5, 0xfe0
	v_and_or_b32 v2, v9, s5, v10
	v_mad_u32_u24 v0, v2, s4, v55
	ds_read2st64_b32 v[0:1], v0 offset1:11
	v_mad_u32_u24 v2, v2, s4, 0
	v_add_u32_e32 v2, 0xa0, v2
	ds_read2st64_b32 v[2:3], v2 offset1:11
	s_movk_i32 s5, 0x1fe0
	s_waitcnt lgkmcnt(1)
	v_cvt_f32_f16_e32 v4, v0
	v_cvt_f32_f16_sdwa v5, v0 dst_sel:DWORD dst_unused:UNUSED_PAD src0_sel:WORD_1
	v_cvt_f32_f16_e32 v0, v1
	v_cvt_f32_f16_sdwa v1, v1 dst_sel:DWORD dst_unused:UNUSED_PAD src0_sel:WORD_1
	v_mul_u32_u24_e32 v6, 40, v8
	s_waitcnt lgkmcnt(0)
	v_pk_fma_f32 v[4:5], v[2:3], v[4:5], 0 op_sel_hi:[0,1,0]
	v_mov_b32_e32 v2, v3
	v_pk_fma_f32 v[0:1], v[2:3], v[0:1], v[4:5] op_sel_hi:[0,1,1]
	v_add_u32_e32 v2, 4, v8
	v_lshlrev_b32_e32 v3, 1, v2
	v_and_b32_e32 v2, 15, v2
	v_and_or_b32 v4, v3, s5, v2
	v_mad_u32_u24 v2, v4, s4, v55
	ds_read2st64_b32 v[2:3], v2 offset1:11
	v_mad_u32_u24 v4, v4, s4, 0
	v_add_u32_e32 v4, 0xa0, v4
	ds_read2st64_b32 v[4:5], v4 offset1:11
	v_add_lshl_u32 v11, v6, v26, 3
	s_waitcnt lgkmcnt(1)
	v_cvt_f32_f16_e32 v6, v2
	v_cvt_f32_f16_sdwa v7, v2 dst_sel:DWORD dst_unused:UNUSED_PAD src0_sel:WORD_1
	v_cvt_f32_f16_e32 v2, v3
	v_cvt_f32_f16_sdwa v3, v3 dst_sel:DWORD dst_unused:UNUSED_PAD src0_sel:WORD_1
	s_addc_u32 s3, s6, s3
	global_store_dwordx2 v11, v[0:1], s[2:3]
	s_waitcnt lgkmcnt(0)
	v_pk_fma_f32 v[0:1], v[4:5], v[6:7], 0 op_sel_hi:[0,1,0]
	v_mov_b32_e32 v4, v5
	v_pk_fma_f32 v[0:1], v[4:5], v[2:3], v[0:1] op_sel_hi:[0,1,1]
	v_add_u32_e32 v2, 8, v8
	v_lshlrev_b32_e32 v3, 1, v2
	v_and_b32_e32 v2, 15, v2
	v_and_or_b32 v4, v3, s5, v2
	v_mad_u32_u24 v2, v4, s4, v55
	ds_read2st64_b32 v[2:3], v2 offset1:11
	global_store_dwordx2 v11, v[0:1], s[2:3] offset:1280
	v_mad_u32_u24 v0, v4, s4, 0
	v_add_u32_e32 v0, 0xa0, v0
	ds_read2st64_b32 v[0:1], v0 offset1:11
	s_waitcnt lgkmcnt(1)
	v_cvt_f32_f16_e32 v4, v2
	v_cvt_f32_f16_sdwa v5, v2 dst_sel:DWORD dst_unused:UNUSED_PAD src0_sel:WORD_1
	v_cvt_f32_f16_e32 v2, v3
	v_cvt_f32_f16_sdwa v3, v3 dst_sel:DWORD dst_unused:UNUSED_PAD src0_sel:WORD_1
	v_add_u32_e32 v6, 0xa00, v11
	s_waitcnt lgkmcnt(0)
	v_pk_fma_f32 v[4:5], v[0:1], v[4:5], 0 op_sel_hi:[0,1,0]
	v_mov_b32_e32 v0, v1
	v_pk_fma_f32 v[0:1], v[0:1], v[2:3], v[4:5] op_sel_hi:[0,1,1]
	v_add_u32_e32 v2, 12, v8
	v_lshlrev_b32_e32 v3, 1, v2
	v_and_b32_e32 v2, 15, v2
	v_and_or_b32 v4, v3, s5, v2
	v_mad_u32_u24 v2, v4, s4, v55
	ds_read2st64_b32 v[2:3], v2 offset1:11
	global_store_dwordx2 v6, v[0:1], s[2:3]
	v_mad_u32_u24 v0, v4, s4, 0
	v_add_u32_e32 v0, 0xa0, v0
	ds_read2st64_b32 v[0:1], v0 offset1:11
	s_waitcnt lgkmcnt(1)
	v_cvt_f32_f16_e32 v4, v2
	v_cvt_f32_f16_sdwa v5, v2 dst_sel:DWORD dst_unused:UNUSED_PAD src0_sel:WORD_1
	v_cvt_f32_f16_e32 v2, v3
	v_cvt_f32_f16_sdwa v3, v3 dst_sel:DWORD dst_unused:UNUSED_PAD src0_sel:WORD_1
	v_add_u32_e32 v6, 0xf00, v11
	s_waitcnt lgkmcnt(0)
	v_pk_fma_f32 v[4:5], v[0:1], v[4:5], 0 op_sel_hi:[0,1,0]
	v_mov_b32_e32 v0, v1
	v_pk_fma_f32 v[0:1], v[0:1], v[2:3], v[4:5] op_sel_hi:[0,1,1]
	v_add_u32_e32 v2, 32, v9
	v_and_or_b32 v4, v2, s5, v10
	v_mad_u32_u24 v2, v4, s4, v55
	ds_read2st64_b32 v[2:3], v2 offset1:11
	global_store_dwordx2 v6, v[0:1], s[2:3]
	v_mad_u32_u24 v0, v4, s4, 0
	v_add_u32_e32 v0, 0xa0, v0
	ds_read2st64_b32 v[0:1], v0 offset1:11
	s_waitcnt lgkmcnt(1)
	v_cvt_f32_f16_e32 v4, v2
	v_cvt_f32_f16_sdwa v5, v2 dst_sel:DWORD dst_unused:UNUSED_PAD src0_sel:WORD_1
	v_cvt_f32_f16_e32 v2, v3
	v_cvt_f32_f16_sdwa v3, v3 dst_sel:DWORD dst_unused:UNUSED_PAD src0_sel:WORD_1
	v_add_u32_e32 v6, 0x1400, v11
	s_waitcnt lgkmcnt(0)
	v_pk_fma_f32 v[4:5], v[0:1], v[4:5], 0 op_sel_hi:[0,1,0]
	v_mov_b32_e32 v0, v1
	v_pk_fma_f32 v[0:1], v[0:1], v[2:3], v[4:5] op_sel_hi:[0,1,1]
	v_add_u32_e32 v2, 20, v8
	v_lshlrev_b32_e32 v3, 1, v2
	v_and_b32_e32 v2, 15, v2
	v_and_or_b32 v4, v3, s5, v2
	v_mad_u32_u24 v2, v4, s4, v55
	ds_read2st64_b32 v[2:3], v2 offset1:11
	global_store_dwordx2 v6, v[0:1], s[2:3]
	v_mad_u32_u24 v0, v4, s4, 0
	v_add_u32_e32 v0, 0xa0, v0
	ds_read2st64_b32 v[0:1], v0 offset1:11
	s_waitcnt lgkmcnt(1)
	v_cvt_f32_f16_e32 v4, v2
	v_cvt_f32_f16_sdwa v5, v2 dst_sel:DWORD dst_unused:UNUSED_PAD src0_sel:WORD_1
	v_cvt_f32_f16_e32 v2, v3
	v_cvt_f32_f16_sdwa v3, v3 dst_sel:DWORD dst_unused:UNUSED_PAD src0_sel:WORD_1
	v_add_u32_e32 v6, 0x1900, v11
	s_waitcnt lgkmcnt(0)
	v_pk_fma_f32 v[4:5], v[0:1], v[4:5], 0 op_sel_hi:[0,1,0]
	v_mov_b32_e32 v0, v1
	v_pk_fma_f32 v[0:1], v[0:1], v[2:3], v[4:5] op_sel_hi:[0,1,1]
	v_add_u32_e32 v2, 24, v8
	v_lshlrev_b32_e32 v3, 1, v2
	v_and_b32_e32 v2, 15, v2
	;; [unrolled: 20-line block ×3, first 2 shown]
	v_and_or_b32 v4, v3, s5, v2
	v_mad_u32_u24 v2, v4, s4, v55
	ds_read2st64_b32 v[2:3], v2 offset1:11
	global_store_dwordx2 v6, v[0:1], s[2:3]
	v_mad_u32_u24 v0, v4, s4, 0
	v_add_u32_e32 v0, 0xa0, v0
	ds_read2st64_b32 v[0:1], v0 offset1:11
	s_waitcnt lgkmcnt(1)
	v_cvt_f32_f16_e32 v4, v2
	v_cvt_f32_f16_sdwa v5, v2 dst_sel:DWORD dst_unused:UNUSED_PAD src0_sel:WORD_1
	v_cvt_f32_f16_e32 v2, v3
	v_cvt_f32_f16_sdwa v3, v3 dst_sel:DWORD dst_unused:UNUSED_PAD src0_sel:WORD_1
	v_add_u32_e32 v6, 0x2300, v11
	s_waitcnt lgkmcnt(0)
	v_pk_fma_f32 v[4:5], v[0:1], v[4:5], 0 op_sel_hi:[0,1,0]
	v_mov_b32_e32 v0, v1
	v_pk_fma_f32 v[0:1], v[0:1], v[2:3], v[4:5] op_sel_hi:[0,1,1]
	v_lshl_add_u32 v2, v27, 2, v63
	global_store_dwordx2 v6, v[0:1], s[2:3]
	v_and_b32_e32 v6, 7, v62
	v_and_b32_e32 v8, 15, v2
	v_lshlrev_b32_e32 v9, 1, v2
	s_movk_i32 s5, 0x3fe0
	v_lshl_add_u32 v7, v6, 2, 0
	v_and_or_b32 v3, v9, s5, v8
	v_mad_u32_u24 v0, v3, s4, v7
	v_add_u32_e32 v0, 0x80, v0
	ds_read2st64_b32 v[0:1], v0 offset1:11
	v_mad_u32_u24 v3, v3, s4, 0
	v_mul_u32_u24_e32 v10, 40, v2
	v_add_u32_e32 v2, 0xa0, v3
	ds_read2st64_b32 v[2:3], v2 offset1:11
	s_waitcnt lgkmcnt(1)
	v_cvt_f32_f16_e32 v4, v0
	v_cvt_f32_f16_sdwa v5, v0 dst_sel:DWORD dst_unused:UNUSED_PAD src0_sel:WORD_1
	v_cvt_f32_f16_e32 v0, v1
	v_cvt_f32_f16_sdwa v1, v1 dst_sel:DWORD dst_unused:UNUSED_PAD src0_sel:WORD_1
	s_movk_i32 s5, 0x7fe0
	s_waitcnt lgkmcnt(0)
	v_pk_fma_f32 v[4:5], v[2:3], v[4:5], 0 op_sel_hi:[0,1,0]
	v_mov_b32_e32 v2, v3
	v_pk_fma_f32 v[0:1], v[2:3], v[0:1], v[4:5] op_sel_hi:[0,1,1]
	v_add_u32_e32 v2, 32, v9
	v_and_or_b32 v4, v2, s5, v8
	v_mad_u32_u24 v2, v4, s4, v7
	v_add_u32_e32 v2, 0x80, v2
	v_or_b32_e32 v6, v10, v6
	ds_read2st64_b32 v[2:3], v2 offset1:11
	v_lshlrev_b32_e32 v6, 3, v6
	global_store_dwordx2 v6, v[0:1], s[2:3] offset:256
	v_mad_u32_u24 v0, v4, s4, 0
	v_add_u32_e32 v0, 0xa0, v0
	ds_read2st64_b32 v[0:1], v0 offset1:11
	s_waitcnt lgkmcnt(1)
	v_cvt_f32_f16_e32 v4, v2
	v_cvt_f32_f16_sdwa v5, v2 dst_sel:DWORD dst_unused:UNUSED_PAD src0_sel:WORD_1
	v_cvt_f32_f16_e32 v2, v3
	v_cvt_f32_f16_sdwa v3, v3 dst_sel:DWORD dst_unused:UNUSED_PAD src0_sel:WORD_1
	v_add_u32_e32 v6, 0x1400, v6
	s_waitcnt lgkmcnt(0)
	v_pk_fma_f32 v[4:5], v[0:1], v[4:5], 0 op_sel_hi:[0,1,0]
	v_mov_b32_e32 v0, v1
	v_pk_fma_f32 v[0:1], v[0:1], v[2:3], v[4:5] op_sel_hi:[0,1,1]
	global_store_dwordx2 v6, v[0:1], s[2:3] offset:256
.LBB9_323:
	s_or_b64 exec, exec, s[0:1]
	s_barrier
	s_endpgm
.LBB9_324:
                                        ; implicit-def: $vgpr4_vgpr5_vgpr6_vgpr7
                                        ; implicit-def: $vgpr0_vgpr1_vgpr2_vgpr3
                                        ; implicit-def: $vgpr23
                                        ; implicit-def: $vgpr22
	s_branch .LBB9_308
	.section	.rodata,"a",@progbits
	.p2align	6, 0x0
	.amdhsa_kernel _ZL18flash_attn_ext_f16ILi80ELi80ELi32ELi1ELb0ELb0EEvPKcS1_S1_S1_S1_PKiPfP15HIP_vector_typeIfLj2EEffffjfiS5_IjLj3EEiiiiiiiiiiiliiliiiiil
		.amdhsa_group_segment_fixed_size 0
		.amdhsa_private_segment_fixed_size 32
		.amdhsa_kernarg_size 464
		.amdhsa_user_sgpr_count 2
		.amdhsa_user_sgpr_dispatch_ptr 0
		.amdhsa_user_sgpr_queue_ptr 0
		.amdhsa_user_sgpr_kernarg_segment_ptr 1
		.amdhsa_user_sgpr_dispatch_id 0
		.amdhsa_user_sgpr_kernarg_preload_length 0
		.amdhsa_user_sgpr_kernarg_preload_offset 0
		.amdhsa_user_sgpr_private_segment_size 0
		.amdhsa_uses_dynamic_stack 0
		.amdhsa_enable_private_segment 1
		.amdhsa_system_sgpr_workgroup_id_x 1
		.amdhsa_system_sgpr_workgroup_id_y 0
		.amdhsa_system_sgpr_workgroup_id_z 0
		.amdhsa_system_sgpr_workgroup_info 0
		.amdhsa_system_vgpr_workitem_id 1
		.amdhsa_next_free_vgpr 224
		.amdhsa_next_free_sgpr 100
		.amdhsa_accum_offset 224
		.amdhsa_reserve_vcc 1
		.amdhsa_float_round_mode_32 0
		.amdhsa_float_round_mode_16_64 0
		.amdhsa_float_denorm_mode_32 3
		.amdhsa_float_denorm_mode_16_64 3
		.amdhsa_dx10_clamp 1
		.amdhsa_ieee_mode 1
		.amdhsa_fp16_overflow 0
		.amdhsa_tg_split 0
		.amdhsa_exception_fp_ieee_invalid_op 0
		.amdhsa_exception_fp_denorm_src 0
		.amdhsa_exception_fp_ieee_div_zero 0
		.amdhsa_exception_fp_ieee_overflow 0
		.amdhsa_exception_fp_ieee_underflow 0
		.amdhsa_exception_fp_ieee_inexact 0
		.amdhsa_exception_int_div_zero 0
	.end_amdhsa_kernel
	.section	.text._ZL18flash_attn_ext_f16ILi80ELi80ELi32ELi1ELb0ELb0EEvPKcS1_S1_S1_S1_PKiPfP15HIP_vector_typeIfLj2EEffffjfiS5_IjLj3EEiiiiiiiiiiiliiliiiiil,"axG",@progbits,_ZL18flash_attn_ext_f16ILi80ELi80ELi32ELi1ELb0ELb0EEvPKcS1_S1_S1_S1_PKiPfP15HIP_vector_typeIfLj2EEffffjfiS5_IjLj3EEiiiiiiiiiiiliiliiiiil,comdat
.Lfunc_end9:
	.size	_ZL18flash_attn_ext_f16ILi80ELi80ELi32ELi1ELb0ELb0EEvPKcS1_S1_S1_S1_PKiPfP15HIP_vector_typeIfLj2EEffffjfiS5_IjLj3EEiiiiiiiiiiiliiliiiiil, .Lfunc_end9-_ZL18flash_attn_ext_f16ILi80ELi80ELi32ELi1ELb0ELb0EEvPKcS1_S1_S1_S1_PKiPfP15HIP_vector_typeIfLj2EEffffjfiS5_IjLj3EEiiiiiiiiiiiliiliiiiil
                                        ; -- End function
	.set _ZL18flash_attn_ext_f16ILi80ELi80ELi32ELi1ELb0ELb0EEvPKcS1_S1_S1_S1_PKiPfP15HIP_vector_typeIfLj2EEffffjfiS5_IjLj3EEiiiiiiiiiiiliiliiiiil.num_vgpr, 224
	.set _ZL18flash_attn_ext_f16ILi80ELi80ELi32ELi1ELb0ELb0EEvPKcS1_S1_S1_S1_PKiPfP15HIP_vector_typeIfLj2EEffffjfiS5_IjLj3EEiiiiiiiiiiiliiliiiiil.num_agpr, 0
	.set _ZL18flash_attn_ext_f16ILi80ELi80ELi32ELi1ELb0ELb0EEvPKcS1_S1_S1_S1_PKiPfP15HIP_vector_typeIfLj2EEffffjfiS5_IjLj3EEiiiiiiiiiiiliiliiiiil.numbered_sgpr, 100
	.set _ZL18flash_attn_ext_f16ILi80ELi80ELi32ELi1ELb0ELb0EEvPKcS1_S1_S1_S1_PKiPfP15HIP_vector_typeIfLj2EEffffjfiS5_IjLj3EEiiiiiiiiiiiliiliiiiil.num_named_barrier, 0
	.set _ZL18flash_attn_ext_f16ILi80ELi80ELi32ELi1ELb0ELb0EEvPKcS1_S1_S1_S1_PKiPfP15HIP_vector_typeIfLj2EEffffjfiS5_IjLj3EEiiiiiiiiiiiliiliiiiil.private_seg_size, 32
	.set _ZL18flash_attn_ext_f16ILi80ELi80ELi32ELi1ELb0ELb0EEvPKcS1_S1_S1_S1_PKiPfP15HIP_vector_typeIfLj2EEffffjfiS5_IjLj3EEiiiiiiiiiiiliiliiiiil.uses_vcc, 1
	.set _ZL18flash_attn_ext_f16ILi80ELi80ELi32ELi1ELb0ELb0EEvPKcS1_S1_S1_S1_PKiPfP15HIP_vector_typeIfLj2EEffffjfiS5_IjLj3EEiiiiiiiiiiiliiliiiiil.uses_flat_scratch, 0
	.set _ZL18flash_attn_ext_f16ILi80ELi80ELi32ELi1ELb0ELb0EEvPKcS1_S1_S1_S1_PKiPfP15HIP_vector_typeIfLj2EEffffjfiS5_IjLj3EEiiiiiiiiiiiliiliiiiil.has_dyn_sized_stack, 0
	.set _ZL18flash_attn_ext_f16ILi80ELi80ELi32ELi1ELb0ELb0EEvPKcS1_S1_S1_S1_PKiPfP15HIP_vector_typeIfLj2EEffffjfiS5_IjLj3EEiiiiiiiiiiiliiliiiiil.has_recursion, 0
	.set _ZL18flash_attn_ext_f16ILi80ELi80ELi32ELi1ELb0ELb0EEvPKcS1_S1_S1_S1_PKiPfP15HIP_vector_typeIfLj2EEffffjfiS5_IjLj3EEiiiiiiiiiiiliiliiiiil.has_indirect_call, 0
	.section	.AMDGPU.csdata,"",@progbits
; Kernel info:
; codeLenInByte = 44324
; TotalNumSgprs: 106
; NumVgprs: 224
; NumAgprs: 0
; TotalNumVgprs: 224
; ScratchSize: 32
; MemoryBound: 0
; FloatMode: 240
; IeeeMode: 1
; LDSByteSize: 0 bytes/workgroup (compile time only)
; SGPRBlocks: 13
; VGPRBlocks: 27
; NumSGPRsForWavesPerEU: 106
; NumVGPRsForWavesPerEU: 224
; AccumOffset: 224
; Occupancy: 2
; WaveLimiterHint : 1
; COMPUTE_PGM_RSRC2:SCRATCH_EN: 1
; COMPUTE_PGM_RSRC2:USER_SGPR: 2
; COMPUTE_PGM_RSRC2:TRAP_HANDLER: 0
; COMPUTE_PGM_RSRC2:TGID_X_EN: 1
; COMPUTE_PGM_RSRC2:TGID_Y_EN: 0
; COMPUTE_PGM_RSRC2:TGID_Z_EN: 0
; COMPUTE_PGM_RSRC2:TIDIG_COMP_CNT: 1
; COMPUTE_PGM_RSRC3_GFX90A:ACCUM_OFFSET: 55
; COMPUTE_PGM_RSRC3_GFX90A:TG_SPLIT: 0
	.section	.text._ZL18flash_attn_ext_f16ILi80ELi80ELi32ELi1ELb1ELb0EEvPKcS1_S1_S1_S1_PKiPfP15HIP_vector_typeIfLj2EEffffjfiS5_IjLj3EEiiiiiiiiiiiliiliiiiil,"axG",@progbits,_ZL18flash_attn_ext_f16ILi80ELi80ELi32ELi1ELb1ELb0EEvPKcS1_S1_S1_S1_PKiPfP15HIP_vector_typeIfLj2EEffffjfiS5_IjLj3EEiiiiiiiiiiiliiliiiiil,comdat
	.globl	_ZL18flash_attn_ext_f16ILi80ELi80ELi32ELi1ELb1ELb0EEvPKcS1_S1_S1_S1_PKiPfP15HIP_vector_typeIfLj2EEffffjfiS5_IjLj3EEiiiiiiiiiiiliiliiiiil ; -- Begin function _ZL18flash_attn_ext_f16ILi80ELi80ELi32ELi1ELb1ELb0EEvPKcS1_S1_S1_S1_PKiPfP15HIP_vector_typeIfLj2EEffffjfiS5_IjLj3EEiiiiiiiiiiiliiliiiiil
	.p2align	8
	.type	_ZL18flash_attn_ext_f16ILi80ELi80ELi32ELi1ELb1ELb0EEvPKcS1_S1_S1_S1_PKiPfP15HIP_vector_typeIfLj2EEffffjfiS5_IjLj3EEiiiiiiiiiiiliiliiiiil,@function
_ZL18flash_attn_ext_f16ILi80ELi80ELi32ELi1ELb1ELb0EEvPKcS1_S1_S1_S1_PKiPfP15HIP_vector_typeIfLj2EEffffjfiS5_IjLj3EEiiiiiiiiiiiliiliiiiil: ; @_ZL18flash_attn_ext_f16ILi80ELi80ELi32ELi1ELb1ELb0EEvPKcS1_S1_S1_S1_PKiPfP15HIP_vector_typeIfLj2EEffffjfiS5_IjLj3EEiiiiiiiiiiiliiliiiiil
; %bb.0:
	s_add_u32 s8, s0, 0xd0
	s_addc_u32 s9, s1, 0
	s_getpc_b64 s[0:1]
	s_add_u32 s0, s0, _ZL14no_device_codePKciS0_iS0_@rel32@lo+4
	s_addc_u32 s1, s1, _ZL14no_device_codePKciS0_iS0_@rel32@hi+12
	s_mov_b32 s32, 0
	s_swappc_b64 s[30:31], s[0:1]
	.section	.rodata,"a",@progbits
	.p2align	6, 0x0
	.amdhsa_kernel _ZL18flash_attn_ext_f16ILi80ELi80ELi32ELi1ELb1ELb0EEvPKcS1_S1_S1_S1_PKiPfP15HIP_vector_typeIfLj2EEffffjfiS5_IjLj3EEiiiiiiiiiiiliiliiiiil
		.amdhsa_group_segment_fixed_size 0
		.amdhsa_private_segment_fixed_size 16
		.amdhsa_kernarg_size 464
		.amdhsa_user_sgpr_count 2
		.amdhsa_user_sgpr_dispatch_ptr 0
		.amdhsa_user_sgpr_queue_ptr 0
		.amdhsa_user_sgpr_kernarg_segment_ptr 1
		.amdhsa_user_sgpr_dispatch_id 0
		.amdhsa_user_sgpr_kernarg_preload_length 0
		.amdhsa_user_sgpr_kernarg_preload_offset 0
		.amdhsa_user_sgpr_private_segment_size 0
		.amdhsa_uses_dynamic_stack 0
		.amdhsa_enable_private_segment 1
		.amdhsa_system_sgpr_workgroup_id_x 1
		.amdhsa_system_sgpr_workgroup_id_y 0
		.amdhsa_system_sgpr_workgroup_id_z 0
		.amdhsa_system_sgpr_workgroup_info 0
		.amdhsa_system_vgpr_workitem_id 0
		.amdhsa_next_free_vgpr 50
		.amdhsa_next_free_sgpr 34
		.amdhsa_accum_offset 52
		.amdhsa_reserve_vcc 1
		.amdhsa_float_round_mode_32 0
		.amdhsa_float_round_mode_16_64 0
		.amdhsa_float_denorm_mode_32 3
		.amdhsa_float_denorm_mode_16_64 3
		.amdhsa_dx10_clamp 1
		.amdhsa_ieee_mode 1
		.amdhsa_fp16_overflow 0
		.amdhsa_tg_split 0
		.amdhsa_exception_fp_ieee_invalid_op 0
		.amdhsa_exception_fp_denorm_src 0
		.amdhsa_exception_fp_ieee_div_zero 0
		.amdhsa_exception_fp_ieee_overflow 0
		.amdhsa_exception_fp_ieee_underflow 0
		.amdhsa_exception_fp_ieee_inexact 0
		.amdhsa_exception_int_div_zero 0
	.end_amdhsa_kernel
	.section	.text._ZL18flash_attn_ext_f16ILi80ELi80ELi32ELi1ELb1ELb0EEvPKcS1_S1_S1_S1_PKiPfP15HIP_vector_typeIfLj2EEffffjfiS5_IjLj3EEiiiiiiiiiiiliiliiiiil,"axG",@progbits,_ZL18flash_attn_ext_f16ILi80ELi80ELi32ELi1ELb1ELb0EEvPKcS1_S1_S1_S1_PKiPfP15HIP_vector_typeIfLj2EEffffjfiS5_IjLj3EEiiiiiiiiiiiliiliiiiil,comdat
.Lfunc_end10:
	.size	_ZL18flash_attn_ext_f16ILi80ELi80ELi32ELi1ELb1ELb0EEvPKcS1_S1_S1_S1_PKiPfP15HIP_vector_typeIfLj2EEffffjfiS5_IjLj3EEiiiiiiiiiiiliiliiiiil, .Lfunc_end10-_ZL18flash_attn_ext_f16ILi80ELi80ELi32ELi1ELb1ELb0EEvPKcS1_S1_S1_S1_PKiPfP15HIP_vector_typeIfLj2EEffffjfiS5_IjLj3EEiiiiiiiiiiiliiliiiiil
                                        ; -- End function
	.set _ZL18flash_attn_ext_f16ILi80ELi80ELi32ELi1ELb1ELb0EEvPKcS1_S1_S1_S1_PKiPfP15HIP_vector_typeIfLj2EEffffjfiS5_IjLj3EEiiiiiiiiiiiliiliiiiil.num_vgpr, max(0, .L_ZL14no_device_codePKciS0_iS0_.num_vgpr)
	.set _ZL18flash_attn_ext_f16ILi80ELi80ELi32ELi1ELb1ELb0EEvPKcS1_S1_S1_S1_PKiPfP15HIP_vector_typeIfLj2EEffffjfiS5_IjLj3EEiiiiiiiiiiiliiliiiiil.num_agpr, max(0, .L_ZL14no_device_codePKciS0_iS0_.num_agpr)
	.set _ZL18flash_attn_ext_f16ILi80ELi80ELi32ELi1ELb1ELb0EEvPKcS1_S1_S1_S1_PKiPfP15HIP_vector_typeIfLj2EEffffjfiS5_IjLj3EEiiiiiiiiiiiliiliiiiil.numbered_sgpr, max(33, .L_ZL14no_device_codePKciS0_iS0_.numbered_sgpr)
	.set _ZL18flash_attn_ext_f16ILi80ELi80ELi32ELi1ELb1ELb0EEvPKcS1_S1_S1_S1_PKiPfP15HIP_vector_typeIfLj2EEffffjfiS5_IjLj3EEiiiiiiiiiiiliiliiiiil.num_named_barrier, max(0, .L_ZL14no_device_codePKciS0_iS0_.num_named_barrier)
	.set _ZL18flash_attn_ext_f16ILi80ELi80ELi32ELi1ELb1ELb0EEvPKcS1_S1_S1_S1_PKiPfP15HIP_vector_typeIfLj2EEffffjfiS5_IjLj3EEiiiiiiiiiiiliiliiiiil.private_seg_size, 0+max(.L_ZL14no_device_codePKciS0_iS0_.private_seg_size)
	.set _ZL18flash_attn_ext_f16ILi80ELi80ELi32ELi1ELb1ELb0EEvPKcS1_S1_S1_S1_PKiPfP15HIP_vector_typeIfLj2EEffffjfiS5_IjLj3EEiiiiiiiiiiiliiliiiiil.uses_vcc, or(1, .L_ZL14no_device_codePKciS0_iS0_.uses_vcc)
	.set _ZL18flash_attn_ext_f16ILi80ELi80ELi32ELi1ELb1ELb0EEvPKcS1_S1_S1_S1_PKiPfP15HIP_vector_typeIfLj2EEffffjfiS5_IjLj3EEiiiiiiiiiiiliiliiiiil.uses_flat_scratch, or(0, .L_ZL14no_device_codePKciS0_iS0_.uses_flat_scratch)
	.set _ZL18flash_attn_ext_f16ILi80ELi80ELi32ELi1ELb1ELb0EEvPKcS1_S1_S1_S1_PKiPfP15HIP_vector_typeIfLj2EEffffjfiS5_IjLj3EEiiiiiiiiiiiliiliiiiil.has_dyn_sized_stack, or(0, .L_ZL14no_device_codePKciS0_iS0_.has_dyn_sized_stack)
	.set _ZL18flash_attn_ext_f16ILi80ELi80ELi32ELi1ELb1ELb0EEvPKcS1_S1_S1_S1_PKiPfP15HIP_vector_typeIfLj2EEffffjfiS5_IjLj3EEiiiiiiiiiiiliiliiiiil.has_recursion, or(0, .L_ZL14no_device_codePKciS0_iS0_.has_recursion)
	.set _ZL18flash_attn_ext_f16ILi80ELi80ELi32ELi1ELb1ELb0EEvPKcS1_S1_S1_S1_PKiPfP15HIP_vector_typeIfLj2EEffffjfiS5_IjLj3EEiiiiiiiiiiiliiliiiiil.has_indirect_call, or(0, .L_ZL14no_device_codePKciS0_iS0_.has_indirect_call)
	.section	.AMDGPU.csdata,"",@progbits
; Kernel info:
; codeLenInByte = 40
; TotalNumSgprs: 40
; NumVgprs: 50
; NumAgprs: 0
; TotalNumVgprs: 50
; ScratchSize: 16
; MemoryBound: 0
; FloatMode: 240
; IeeeMode: 1
; LDSByteSize: 0 bytes/workgroup (compile time only)
; SGPRBlocks: 4
; VGPRBlocks: 6
; NumSGPRsForWavesPerEU: 40
; NumVGPRsForWavesPerEU: 50
; AccumOffset: 52
; Occupancy: 8
; WaveLimiterHint : 1
; COMPUTE_PGM_RSRC2:SCRATCH_EN: 1
; COMPUTE_PGM_RSRC2:USER_SGPR: 2
; COMPUTE_PGM_RSRC2:TRAP_HANDLER: 0
; COMPUTE_PGM_RSRC2:TGID_X_EN: 1
; COMPUTE_PGM_RSRC2:TGID_Y_EN: 0
; COMPUTE_PGM_RSRC2:TGID_Z_EN: 0
; COMPUTE_PGM_RSRC2:TIDIG_COMP_CNT: 0
; COMPUTE_PGM_RSRC3_GFX90A:ACCUM_OFFSET: 12
; COMPUTE_PGM_RSRC3_GFX90A:TG_SPLIT: 0
	.section	.text._ZL33flash_attn_stream_k_fixup_uniformILi80ELi32ELi1EEvPfPK15HIP_vector_typeIfLj2EEiiiiiiS1_IjLj3EES5_S5_,"axG",@progbits,_ZL33flash_attn_stream_k_fixup_uniformILi80ELi32ELi1EEvPfPK15HIP_vector_typeIfLj2EEiiiiiiS1_IjLj3EES5_S5_,comdat
	.globl	_ZL33flash_attn_stream_k_fixup_uniformILi80ELi32ELi1EEvPfPK15HIP_vector_typeIfLj2EEiiiiiiS1_IjLj3EES5_S5_ ; -- Begin function _ZL33flash_attn_stream_k_fixup_uniformILi80ELi32ELi1EEvPfPK15HIP_vector_typeIfLj2EEiiiiiiS1_IjLj3EES5_S5_
	.p2align	8
	.type	_ZL33flash_attn_stream_k_fixup_uniformILi80ELi32ELi1EEvPfPK15HIP_vector_typeIfLj2EEiiiiiiS1_IjLj3EES5_S5_,@function
_ZL33flash_attn_stream_k_fixup_uniformILi80ELi32ELi1EEvPfPK15HIP_vector_typeIfLj2EEiiiiiiS1_IjLj3EES5_S5_: ; @_ZL33flash_attn_stream_k_fixup_uniformILi80ELi32ELi1EEvPfPK15HIP_vector_typeIfLj2EEiiiiiiS1_IjLj3EES5_S5_
; %bb.0:
	s_load_dwordx8 s[8:15], s[0:1], 0x1c
	s_load_dwordx2 s[6:7], s[0:1], 0x10
	s_load_dwordx4 s[16:19], s[0:1], 0x3c
	s_waitcnt lgkmcnt(0)
	s_mul_hi_u32 s5, s11, s2
	s_add_i32 s5, s2, s5
	s_lshr_b32 s5, s5, s12
	s_mul_i32 s11, s5, s13
	s_sub_i32 s12, s2, s11
	s_mul_hi_u32 s11, s12, s14
	s_add_i32 s11, s12, s11
	s_lshr_b32 s11, s11, s15
	s_mul_i32 s13, s11, s16
	s_sub_i32 s12, s12, s13
	;; [unrolled: 5-line block ×3, first 2 shown]
	s_lshl_b32 s12, s17, 5
	s_add_i32 s12, s12, s3
	s_cmp_lt_i32 s12, s6
	s_cselect_b64 s[12:13], -1, 0
	s_add_i32 s16, s16, s4
	s_cmp_lt_i32 s16, s9
	s_cselect_b64 s[14:15], -1, 0
	s_and_b64 s[12:13], s[12:13], s[14:15]
	s_andn2_b64 vcc, exec, s[12:13]
	s_cbranch_vccnz .LBB11_6
; %bb.1:
	s_load_dwordx4 s[12:15], s[0:1], 0x0
	s_mul_i32 s0, s5, s6
	s_mul_i32 s11, s11, s9
	s_add_i32 s0, s0, s3
	s_mul_i32 s0, s0, s7
	s_add_i32 s5, s16, s11
	;; [unrolled: 2-line block ×3, first 2 shown]
	s_mulk_i32 s1, 0xa00
	s_mulk_i32 s0, 0x50
	s_add_i32 s0, s0, s1
	v_add_u32_e32 v4, s0, v0
	s_waitcnt lgkmcnt(0)
	v_mov_b32_e32 v2, s12
	v_mov_b32_e32 v3, s13
	v_ashrrev_i32_e32 v5, 31, v4
	v_lshl_add_u64 v[2:3], v[4:5], 2, v[2:3]
	global_load_dword v5, v[2:3], off
	s_mul_i32 s6, s10, s2
	s_add_i32 s7, s6, s10
	s_add_i32 s3, s3, s4
	s_lshl_b32 s0, s7, 5
	s_add_i32 s0, s3, s0
	s_sub_i32 s0, s0, 32
	s_ashr_i32 s1, s0, 31
	s_lshl_b64 s[0:1], s[0:1], 3
	s_add_u32 s0, s14, s0
	s_addc_u32 s1, s15, s1
	s_load_dword s9, s[0:1], 0x4
	s_add_i32 s4, s7, -2
	s_cmp_lt_i32 s4, s6
	s_cbranch_scc1 .LBB11_4
; %bb.2:
	s_lshl_b32 s4, s8, 7
	s_ashr_i32 s5, s4, 31
	s_lshl_b64 s[4:5], s[4:5], 2
	s_add_u32 s4, s14, s4
	s_addc_u32 s5, s15, s5
	s_load_dword s0, s[0:1], 0x0
	s_add_i32 s2, s2, 1
	s_mul_i32 s10, s10, s2
	s_mul_i32 s1, s3, 0x50
	s_lshl_b32 s2, s10, 5
	s_mulk_i32 s10, 0xa00
	s_add_i32 s2, s3, s2
	s_lshl_b32 s3, s8, 5
	s_add_i32 s1, s1, s10
	s_add_i32 s2, s2, s3
	v_add_u32_e32 v0, s1, v0
	s_add_i32 s7, s7, -1
	s_sub_i32 s2, s2, 64
	v_add_u32_e32 v0, 0xffffec00, v0
	s_waitcnt lgkmcnt(0)
	v_mov_b32_e32 v7, s0
	v_mov_b32_e32 v4, s9
	s_mov_b32 s8, 0x3fb8aa3b
	s_mov_b32 s9, 0xc2ce8ed0
	s_mov_b32 s10, 0x42b17218
	v_mov_b32_e32 v6, 0x7f800000
	s_mov_b32 s11, 0xc1a00000
.LBB11_3:                               ; =>This Inner Loop Header: Depth=1
	v_ashrrev_i32_e32 v1, 31, v0
	v_lshl_add_u64 v[8:9], v[0:1], 2, s[4:5]
	global_load_dword v9, v[8:9], off
	s_ashr_i32 s3, s2, 31
	s_lshl_b64 s[0:1], s[2:3], 3
	s_add_u32 s0, s14, s0
	s_addc_u32 s1, s15, s1
	s_load_dwordx2 s[0:1], s[0:1], 0x0
	v_max_f32_e32 v1, v7, v7
	s_add_i32 s7, s7, -1
	s_sub_i32 s2, s2, 32
	v_add_u32_e32 v0, 0xfffff600, v0
	s_waitcnt lgkmcnt(0)
	v_max_f32_e64 v10, s0, s0
	v_max_f32_e32 v1, v1, v10
	v_sub_f32_e32 v11, s0, v1
	v_sub_f32_e32 v10, v7, v1
	v_mul_f32_e32 v12, 0x3fb8aa3b, v11
	v_mov_b32_e32 v7, v1
	v_mul_f32_e32 v1, 0x3fb8aa3b, v10
	v_fma_f32 v15, v11, s8, -v12
	v_rndne_f32_e32 v16, v12
	v_fma_f32 v13, v10, s8, -v1
	v_rndne_f32_e32 v14, v1
	v_fmac_f32_e32 v15, 0x32a5705f, v11
	v_sub_f32_e32 v12, v12, v16
	v_fmac_f32_e32 v13, 0x32a5705f, v10
	v_sub_f32_e32 v1, v1, v14
	v_add_f32_e32 v12, v12, v15
	v_cvt_i32_f32_e32 v16, v16
	v_add_f32_e32 v1, v1, v13
	v_exp_f32_e32 v12, v12
	v_cvt_i32_f32_e32 v14, v14
	v_exp_f32_e32 v1, v1
	v_cmp_ngt_f32_e32 vcc, s9, v11
	v_ldexp_f32 v12, v12, v16
	v_mov_b32_e32 v8, s1
	v_ldexp_f32 v1, v1, v14
	v_cmp_ngt_f32_e64 s[0:1], s9, v10
	v_cndmask_b32_e32 v12, 0, v12, vcc
	v_cmp_nlt_f32_e32 vcc, s10, v11
	v_cndmask_b32_e64 v1, 0, v1, s[0:1]
	v_cmp_nlt_f32_e64 s[0:1], s10, v10
	v_cndmask_b32_e32 v12, v6, v12, vcc
	v_cmp_le_f32_e32 vcc, s11, v11
	v_cndmask_b32_e64 v1, v6, v1, s[0:1]
	v_cmp_le_f32_e64 s[0:1], s11, v10
	v_cndmask_b32_e32 v12, 0, v12, vcc
	s_cmp_le_i32 s7, s6
	v_cndmask_b32_e64 v10, 0, v1, s[0:1]
	s_waitcnt vmcnt(0)
	v_pk_mul_f32 v[8:9], v[8:9], v[12:13] op_sel_hi:[1,0]
	s_nop 0
	v_pk_fma_f32 v[4:5], v[4:5], v[10:11], v[8:9] op_sel_hi:[1,0,1]
	s_cbranch_scc0 .LBB11_3
	s_branch .LBB11_5
.LBB11_4:
	s_waitcnt lgkmcnt(0)
	v_mov_b32_e32 v4, s9
.LBB11_5:
	s_waitcnt vmcnt(0)
	v_div_scale_f32 v0, s[0:1], v4, v4, v5
	v_rcp_f32_e32 v1, v0
	v_div_scale_f32 v6, vcc, v5, v4, v5
	v_fma_f32 v7, -v0, v1, 1.0
	v_fmac_f32_e32 v1, v7, v1
	v_mul_f32_e32 v7, v6, v1
	v_fma_f32 v8, -v0, v7, v6
	v_fmac_f32_e32 v7, v8, v1
	v_fma_f32 v0, -v0, v7, v6
	v_div_fmas_f32 v0, v0, v1, v7
	v_div_fixup_f32 v0, v0, v4, v5
	global_store_dword v[2:3], v0, off
.LBB11_6:
	s_endpgm
	.section	.rodata,"a",@progbits
	.p2align	6, 0x0
	.amdhsa_kernel _ZL33flash_attn_stream_k_fixup_uniformILi80ELi32ELi1EEvPfPK15HIP_vector_typeIfLj2EEiiiiiiS1_IjLj3EES5_S5_
		.amdhsa_group_segment_fixed_size 0
		.amdhsa_private_segment_fixed_size 0
		.amdhsa_kernarg_size 76
		.amdhsa_user_sgpr_count 2
		.amdhsa_user_sgpr_dispatch_ptr 0
		.amdhsa_user_sgpr_queue_ptr 0
		.amdhsa_user_sgpr_kernarg_segment_ptr 1
		.amdhsa_user_sgpr_dispatch_id 0
		.amdhsa_user_sgpr_kernarg_preload_length 0
		.amdhsa_user_sgpr_kernarg_preload_offset 0
		.amdhsa_user_sgpr_private_segment_size 0
		.amdhsa_uses_dynamic_stack 0
		.amdhsa_enable_private_segment 0
		.amdhsa_system_sgpr_workgroup_id_x 1
		.amdhsa_system_sgpr_workgroup_id_y 1
		.amdhsa_system_sgpr_workgroup_id_z 1
		.amdhsa_system_sgpr_workgroup_info 0
		.amdhsa_system_vgpr_workitem_id 0
		.amdhsa_next_free_vgpr 17
		.amdhsa_next_free_sgpr 20
		.amdhsa_accum_offset 20
		.amdhsa_reserve_vcc 1
		.amdhsa_float_round_mode_32 0
		.amdhsa_float_round_mode_16_64 0
		.amdhsa_float_denorm_mode_32 3
		.amdhsa_float_denorm_mode_16_64 3
		.amdhsa_dx10_clamp 1
		.amdhsa_ieee_mode 1
		.amdhsa_fp16_overflow 0
		.amdhsa_tg_split 0
		.amdhsa_exception_fp_ieee_invalid_op 0
		.amdhsa_exception_fp_denorm_src 0
		.amdhsa_exception_fp_ieee_div_zero 0
		.amdhsa_exception_fp_ieee_overflow 0
		.amdhsa_exception_fp_ieee_underflow 0
		.amdhsa_exception_fp_ieee_inexact 0
		.amdhsa_exception_int_div_zero 0
	.end_amdhsa_kernel
	.section	.text._ZL33flash_attn_stream_k_fixup_uniformILi80ELi32ELi1EEvPfPK15HIP_vector_typeIfLj2EEiiiiiiS1_IjLj3EES5_S5_,"axG",@progbits,_ZL33flash_attn_stream_k_fixup_uniformILi80ELi32ELi1EEvPfPK15HIP_vector_typeIfLj2EEiiiiiiS1_IjLj3EES5_S5_,comdat
.Lfunc_end11:
	.size	_ZL33flash_attn_stream_k_fixup_uniformILi80ELi32ELi1EEvPfPK15HIP_vector_typeIfLj2EEiiiiiiS1_IjLj3EES5_S5_, .Lfunc_end11-_ZL33flash_attn_stream_k_fixup_uniformILi80ELi32ELi1EEvPfPK15HIP_vector_typeIfLj2EEiiiiiiS1_IjLj3EES5_S5_
                                        ; -- End function
	.set _ZL33flash_attn_stream_k_fixup_uniformILi80ELi32ELi1EEvPfPK15HIP_vector_typeIfLj2EEiiiiiiS1_IjLj3EES5_S5_.num_vgpr, 17
	.set _ZL33flash_attn_stream_k_fixup_uniformILi80ELi32ELi1EEvPfPK15HIP_vector_typeIfLj2EEiiiiiiS1_IjLj3EES5_S5_.num_agpr, 0
	.set _ZL33flash_attn_stream_k_fixup_uniformILi80ELi32ELi1EEvPfPK15HIP_vector_typeIfLj2EEiiiiiiS1_IjLj3EES5_S5_.numbered_sgpr, 20
	.set _ZL33flash_attn_stream_k_fixup_uniformILi80ELi32ELi1EEvPfPK15HIP_vector_typeIfLj2EEiiiiiiS1_IjLj3EES5_S5_.num_named_barrier, 0
	.set _ZL33flash_attn_stream_k_fixup_uniformILi80ELi32ELi1EEvPfPK15HIP_vector_typeIfLj2EEiiiiiiS1_IjLj3EES5_S5_.private_seg_size, 0
	.set _ZL33flash_attn_stream_k_fixup_uniformILi80ELi32ELi1EEvPfPK15HIP_vector_typeIfLj2EEiiiiiiS1_IjLj3EES5_S5_.uses_vcc, 1
	.set _ZL33flash_attn_stream_k_fixup_uniformILi80ELi32ELi1EEvPfPK15HIP_vector_typeIfLj2EEiiiiiiS1_IjLj3EES5_S5_.uses_flat_scratch, 0
	.set _ZL33flash_attn_stream_k_fixup_uniformILi80ELi32ELi1EEvPfPK15HIP_vector_typeIfLj2EEiiiiiiS1_IjLj3EES5_S5_.has_dyn_sized_stack, 0
	.set _ZL33flash_attn_stream_k_fixup_uniformILi80ELi32ELi1EEvPfPK15HIP_vector_typeIfLj2EEiiiiiiS1_IjLj3EES5_S5_.has_recursion, 0
	.set _ZL33flash_attn_stream_k_fixup_uniformILi80ELi32ELi1EEvPfPK15HIP_vector_typeIfLj2EEiiiiiiS1_IjLj3EES5_S5_.has_indirect_call, 0
	.section	.AMDGPU.csdata,"",@progbits
; Kernel info:
; codeLenInByte = 816
; TotalNumSgprs: 26
; NumVgprs: 17
; NumAgprs: 0
; TotalNumVgprs: 17
; ScratchSize: 0
; MemoryBound: 0
; FloatMode: 240
; IeeeMode: 1
; LDSByteSize: 0 bytes/workgroup (compile time only)
; SGPRBlocks: 3
; VGPRBlocks: 2
; NumSGPRsForWavesPerEU: 26
; NumVGPRsForWavesPerEU: 17
; AccumOffset: 20
; Occupancy: 8
; WaveLimiterHint : 0
; COMPUTE_PGM_RSRC2:SCRATCH_EN: 0
; COMPUTE_PGM_RSRC2:USER_SGPR: 2
; COMPUTE_PGM_RSRC2:TRAP_HANDLER: 0
; COMPUTE_PGM_RSRC2:TGID_X_EN: 1
; COMPUTE_PGM_RSRC2:TGID_Y_EN: 1
; COMPUTE_PGM_RSRC2:TGID_Z_EN: 1
; COMPUTE_PGM_RSRC2:TIDIG_COMP_CNT: 0
; COMPUTE_PGM_RSRC3_GFX90A:ACCUM_OFFSET: 4
; COMPUTE_PGM_RSRC3_GFX90A:TG_SPLIT: 0
	.section	.text._ZL33flash_attn_stream_k_fixup_generalILi80ELi32ELi1EEvPfPK15HIP_vector_typeIfLj2EEiiiiS1_IjLj3EES5_S5_S5_,"axG",@progbits,_ZL33flash_attn_stream_k_fixup_generalILi80ELi32ELi1EEvPfPK15HIP_vector_typeIfLj2EEiiiiS1_IjLj3EES5_S5_S5_,comdat
	.globl	_ZL33flash_attn_stream_k_fixup_generalILi80ELi32ELi1EEvPfPK15HIP_vector_typeIfLj2EEiiiiS1_IjLj3EES5_S5_S5_ ; -- Begin function _ZL33flash_attn_stream_k_fixup_generalILi80ELi32ELi1EEvPfPK15HIP_vector_typeIfLj2EEiiiiS1_IjLj3EES5_S5_S5_
	.p2align	8
	.type	_ZL33flash_attn_stream_k_fixup_generalILi80ELi32ELi1EEvPfPK15HIP_vector_typeIfLj2EEiiiiS1_IjLj3EES5_S5_S5_,@function
_ZL33flash_attn_stream_k_fixup_generalILi80ELi32ELi1EEvPfPK15HIP_vector_typeIfLj2EEiiiiS1_IjLj3EES5_S5_S5_: ; @_ZL33flash_attn_stream_k_fixup_generalILi80ELi32ELi1EEvPfPK15HIP_vector_typeIfLj2EEiiiiS1_IjLj3EES5_S5_S5_
; %bb.0:
	s_load_dwordx4 s[8:11], s[0:1], 0x10
	s_load_dword s22, s[0:1], 0x50
	s_mov_b32 s12, 0
	s_waitcnt lgkmcnt(0)
	s_mul_hi_i32 s13, s11, s2
	s_cmp_lg_u64 s[12:13], 0
	s_mul_i32 s5, s11, s2
	s_cbranch_scc0 .LBB12_20
; %bb.1:
	s_add_u32 s6, s22, 0
	s_addc_u32 s7, 0, 0
	s_xor_b64 s[6:7], s[6:7], 0
	v_cvt_f32_u32_e32 v1, s6
	v_cvt_f32_u32_e32 v2, s7
	s_sub_u32 s12, 0, s6
	s_subb_u32 s18, 0, s7
	v_fmamk_f32 v1, v2, 0x4f800000, v1
	v_rcp_f32_e32 v1, v1
	s_nop 0
	v_mul_f32_e32 v1, 0x5f7ffffc, v1
	v_mul_f32_e32 v2, 0x2f800000, v1
	v_trunc_f32_e32 v2, v2
	v_fmamk_f32 v1, v2, 0xcf800000, v1
	v_cvt_u32_f32_e32 v2, v2
	v_cvt_u32_f32_e32 v1, v1
	v_readfirstlane_b32 s19, v2
	v_readfirstlane_b32 s14, v1
	s_mul_i32 s15, s12, s19
	s_mul_hi_u32 s21, s12, s14
	s_mul_i32 s20, s18, s14
	s_add_i32 s15, s21, s15
	s_add_i32 s15, s15, s20
	s_mul_i32 s23, s12, s14
	s_mul_i32 s21, s14, s15
	s_mul_hi_u32 s24, s14, s23
	s_mul_hi_u32 s20, s14, s15
	s_add_u32 s21, s24, s21
	s_addc_u32 s20, 0, s20
	s_mul_hi_u32 s25, s19, s23
	s_mul_i32 s23, s19, s23
	s_add_u32 s21, s21, s23
	s_mul_hi_u32 s24, s19, s15
	s_addc_u32 s20, s20, s25
	s_addc_u32 s21, s24, 0
	s_mul_i32 s15, s19, s15
	s_add_u32 s15, s20, s15
	s_addc_u32 s20, 0, s21
	s_add_u32 s21, s14, s15
	s_cselect_b64 s[14:15], -1, 0
	s_cmp_lg_u64 s[14:15], 0
	s_addc_u32 s19, s19, s20
	s_mul_i32 s14, s12, s19
	s_mul_hi_u32 s15, s12, s21
	s_add_i32 s14, s15, s14
	s_mul_i32 s18, s18, s21
	s_add_i32 s14, s14, s18
	s_mul_i32 s12, s12, s21
	s_mul_hi_u32 s18, s19, s12
	s_mul_i32 s20, s19, s12
	s_mul_i32 s24, s21, s14
	s_mul_hi_u32 s12, s21, s12
	s_mul_hi_u32 s23, s21, s14
	s_add_u32 s12, s12, s24
	s_addc_u32 s23, 0, s23
	s_add_u32 s12, s12, s20
	s_mul_hi_u32 s15, s19, s14
	s_addc_u32 s12, s23, s18
	s_addc_u32 s15, s15, 0
	s_mul_i32 s14, s19, s14
	s_add_u32 s12, s12, s14
	s_addc_u32 s18, 0, s15
	s_add_u32 s20, s21, s12
	s_cselect_b64 s[14:15], -1, 0
	s_cmp_lg_u64 s[14:15], 0
	s_addc_u32 s18, s19, s18
	s_ashr_i32 s14, s13, 31
	s_add_u32 s12, s5, s14
	s_mov_b32 s15, s14
	s_addc_u32 s13, s13, s14
	s_xor_b64 s[12:13], s[12:13], s[14:15]
	s_mul_i32 s21, s12, s18
	s_mul_hi_u32 s23, s12, s20
	s_mul_hi_u32 s19, s12, s18
	s_add_u32 s21, s23, s21
	s_addc_u32 s19, 0, s19
	s_mul_hi_u32 s24, s13, s20
	s_mul_i32 s20, s13, s20
	s_add_u32 s20, s21, s20
	s_mul_hi_u32 s23, s13, s18
	s_addc_u32 s19, s19, s24
	s_addc_u32 s20, s23, 0
	s_mul_i32 s18, s13, s18
	s_add_u32 s23, s19, s18
	s_addc_u32 s24, 0, s20
	s_mul_i32 s18, s6, s24
	s_mul_hi_u32 s19, s6, s23
	s_add_i32 s18, s19, s18
	s_mul_i32 s19, s7, s23
	s_add_i32 s25, s18, s19
	s_sub_i32 s20, s13, s25
	s_mul_i32 s18, s6, s23
	s_sub_u32 s12, s12, s18
	s_cselect_b64 s[18:19], -1, 0
	s_cmp_lg_u64 s[18:19], 0
	s_subb_u32 s26, s20, s7
	s_sub_u32 s27, s12, s6
	s_cselect_b64 s[20:21], -1, 0
	s_cmp_lg_u64 s[20:21], 0
	s_subb_u32 s20, s26, 0
	s_cmp_ge_u32 s20, s7
	s_cselect_b32 s21, -1, 0
	s_cmp_ge_u32 s27, s6
	s_cselect_b32 s26, -1, 0
	s_cmp_eq_u32 s20, s7
	s_cselect_b32 s20, s26, s21
	s_add_u32 s21, s23, 1
	s_addc_u32 s26, s24, 0
	s_add_u32 s27, s23, 2
	s_addc_u32 s28, s24, 0
	s_cmp_lg_u32 s20, 0
	s_cselect_b32 s20, s27, s21
	s_cselect_b32 s21, s28, s26
	s_cmp_lg_u64 s[18:19], 0
	s_subb_u32 s13, s13, s25
	s_cmp_ge_u32 s13, s7
	s_cselect_b32 s18, -1, 0
	s_cmp_ge_u32 s12, s6
	s_cselect_b32 s6, -1, 0
	s_cmp_eq_u32 s13, s7
	s_cselect_b32 s6, s6, s18
	s_cmp_lg_u32 s6, 0
	s_cselect_b32 s7, s21, s24
	s_cselect_b32 s6, s20, s23
	s_xor_b64 s[12:13], s[14:15], 0
	s_xor_b64 s[6:7], s[6:7], s[12:13]
	s_sub_u32 s6, s6, s12
	s_load_dwordx4 s[12:15], s[0:1], 0x44
	s_cbranch_execnz .LBB12_3
.LBB12_2:
	v_cvt_f32_u32_e32 v1, s22
	s_sub_i32 s6, 0, s22
	v_rcp_iflag_f32_e32 v1, v1
	s_nop 0
	v_mul_f32_e32 v1, 0x4f7ffffe, v1
	v_cvt_u32_f32_e32 v1, v1
	s_nop 0
	v_readfirstlane_b32 s7, v1
	s_mul_i32 s6, s6, s7
	s_mul_hi_u32 s6, s7, s6
	s_add_i32 s7, s7, s6
	s_mul_hi_u32 s6, s5, s7
	s_waitcnt lgkmcnt(0)
	s_mul_i32 s15, s6, s22
	s_sub_i32 s5, s5, s15
	s_add_i32 s7, s6, 1
	s_sub_i32 s15, s5, s22
	s_cmp_ge_u32 s5, s22
	s_cselect_b32 s6, s7, s6
	s_cselect_b32 s5, s15, s5
	s_add_i32 s7, s6, 1
	s_cmp_ge_u32 s5, s22
	s_cselect_b32 s6, s7, s6
.LBB12_3:
	s_add_i32 s5, s2, 1
	s_mul_hi_i32 s21, s11, s5
	s_mov_b32 s20, 0
	s_cmp_lg_u64 s[20:21], 0
	s_mul_i32 s5, s11, s5
	s_cbranch_scc0 .LBB12_21
; %bb.4:
	s_add_u32 s16, s22, 0
	s_addc_u32 s17, 0, 0
	s_xor_b64 s[18:19], s[16:17], 0
	v_cvt_f32_u32_e32 v1, s18
	v_cvt_f32_u32_e32 v2, s19
	s_sub_u32 s7, 0, s18
	s_waitcnt lgkmcnt(0)
	s_subb_u32 s15, 0, s19
	v_fmamk_f32 v1, v2, 0x4f800000, v1
	v_rcp_f32_e32 v1, v1
	s_nop 0
	v_mul_f32_e32 v1, 0x5f7ffffc, v1
	v_mul_f32_e32 v2, 0x2f800000, v1
	v_trunc_f32_e32 v2, v2
	v_fmamk_f32 v1, v2, 0xcf800000, v1
	v_cvt_u32_f32_e32 v2, v2
	v_cvt_u32_f32_e32 v1, v1
	v_readfirstlane_b32 s20, v2
	v_readfirstlane_b32 s23, v1
	s_mul_i32 s24, s7, s20
	s_mul_hi_u32 s26, s7, s23
	s_mul_i32 s25, s15, s23
	s_add_i32 s24, s26, s24
	s_add_i32 s24, s24, s25
	s_mul_i32 s27, s7, s23
	s_mul_i32 s26, s23, s24
	s_mul_hi_u32 s28, s23, s27
	s_mul_hi_u32 s25, s23, s24
	s_add_u32 s26, s28, s26
	s_addc_u32 s25, 0, s25
	s_mul_hi_u32 s29, s20, s27
	s_mul_i32 s27, s20, s27
	s_add_u32 s26, s26, s27
	s_mul_hi_u32 s28, s20, s24
	s_addc_u32 s25, s25, s29
	s_addc_u32 s26, s28, 0
	s_mul_i32 s24, s20, s24
	s_add_u32 s24, s25, s24
	s_addc_u32 s26, 0, s26
	s_add_u32 s23, s23, s24
	s_cselect_b64 s[24:25], -1, 0
	s_cmp_lg_u64 s[24:25], 0
	s_addc_u32 s20, s20, s26
	s_mul_i32 s24, s7, s20
	s_mul_hi_u32 s25, s7, s23
	s_add_i32 s24, s25, s24
	s_mul_i32 s15, s15, s23
	s_add_i32 s24, s24, s15
	s_mul_i32 s7, s7, s23
	s_mul_hi_u32 s25, s20, s7
	s_mul_i32 s26, s20, s7
	s_mul_i32 s28, s23, s24
	s_mul_hi_u32 s7, s23, s7
	s_mul_hi_u32 s27, s23, s24
	s_add_u32 s7, s7, s28
	s_addc_u32 s27, 0, s27
	s_add_u32 s7, s7, s26
	s_mul_hi_u32 s15, s20, s24
	s_addc_u32 s7, s27, s25
	s_addc_u32 s15, s15, 0
	s_mul_i32 s24, s20, s24
	s_add_u32 s7, s7, s24
	s_addc_u32 s15, 0, s15
	s_add_u32 s7, s23, s7
	s_cselect_b64 s[24:25], -1, 0
	s_cmp_lg_u64 s[24:25], 0
	s_addc_u32 s15, s20, s15
	s_ashr_i32 s24, s21, 31
	s_add_u32 s20, s5, s24
	s_mov_b32 s25, s24
	s_addc_u32 s21, s21, s24
	s_xor_b64 s[20:21], s[20:21], s[24:25]
	s_mul_i32 s26, s20, s15
	s_mul_hi_u32 s27, s20, s7
	s_mul_hi_u32 s23, s20, s15
	s_add_u32 s26, s27, s26
	s_addc_u32 s23, 0, s23
	s_mul_hi_u32 s28, s21, s7
	s_mul_i32 s7, s21, s7
	s_add_u32 s7, s26, s7
	s_mul_hi_u32 s27, s21, s15
	s_addc_u32 s7, s23, s28
	s_addc_u32 s23, s27, 0
	s_mul_i32 s15, s21, s15
	s_add_u32 s7, s7, s15
	s_addc_u32 s15, 0, s23
	s_mul_i32 s23, s18, s15
	s_mul_hi_u32 s26, s18, s7
	s_add_i32 s23, s26, s23
	s_mul_i32 s26, s19, s7
	s_add_i32 s23, s23, s26
	s_sub_i32 s28, s21, s23
	s_mul_i32 s26, s18, s7
	s_sub_u32 s20, s20, s26
	s_cselect_b64 s[26:27], -1, 0
	s_cmp_lg_u64 s[26:27], 0
	s_subb_u32 s30, s28, s19
	s_sub_u32 s31, s20, s18
	s_cselect_b64 s[28:29], -1, 0
	s_cmp_lg_u64 s[28:29], 0
	s_subb_u32 s28, s30, 0
	s_cmp_ge_u32 s28, s19
	s_cselect_b32 s29, -1, 0
	s_cmp_ge_u32 s31, s18
	s_cselect_b32 s30, -1, 0
	s_cmp_eq_u32 s28, s19
	s_cselect_b32 s28, s30, s29
	s_add_u32 s29, s7, 1
	s_addc_u32 s30, s15, 0
	s_add_u32 s31, s7, 2
	s_addc_u32 s33, s15, 0
	s_cmp_lg_u32 s28, 0
	s_cselect_b32 s28, s31, s29
	s_cselect_b32 s29, s33, s30
	s_cmp_lg_u64 s[26:27], 0
	s_subb_u32 s21, s21, s23
	s_cmp_ge_u32 s21, s19
	s_cselect_b32 s23, -1, 0
	s_cmp_ge_u32 s20, s18
	s_cselect_b32 s18, -1, 0
	s_cmp_eq_u32 s21, s19
	s_cselect_b32 s18, s18, s23
	s_cmp_lg_u32 s18, 0
	s_cselect_b32 s19, s29, s15
	s_cselect_b32 s18, s28, s7
	s_xor_b64 s[20:21], s[24:25], 0
	s_xor_b64 s[18:19], s[18:19], s[20:21]
	s_sub_u32 s18, s18, s20
	s_cbranch_execnz .LBB12_6
.LBB12_5:
	v_cvt_f32_u32_e32 v1, s22
	s_sub_i32 s7, 0, s22
	v_rcp_iflag_f32_e32 v1, v1
	s_nop 0
	v_mul_f32_e32 v1, 0x4f7ffffe, v1
	v_cvt_u32_f32_e32 v1, v1
	s_waitcnt lgkmcnt(0)
	v_readfirstlane_b32 s15, v1
	s_mul_i32 s7, s7, s15
	s_mul_hi_u32 s7, s15, s7
	s_add_i32 s15, s15, s7
	s_mul_hi_u32 s7, s5, s15
	s_mul_i32 s16, s7, s22
	s_sub_i32 s5, s5, s16
	s_add_i32 s15, s7, 1
	s_sub_i32 s16, s5, s22
	s_cmp_ge_u32 s5, s22
	s_cselect_b32 s7, s15, s7
	s_cselect_b32 s5, s16, s5
	s_add_i32 s15, s7, 1
	s_cmp_ge_u32 s5, s22
	s_cselect_b32 s18, s15, s7
.LBB12_6:
	s_cmp_eq_u32 s6, s18
	s_waitcnt lgkmcnt(0)
	s_mul_hi_u32 s5, s6, s12
	s_cselect_b64 s[16:17], -1, 0
	s_add_i32 s5, s5, s6
	s_lshr_b32 s7, s5, s13
	s_mul_i32 s5, s7, s14
	s_cmp_eq_u32 s5, s6
	s_mul_hi_u32 s5, s18, s12
	s_cselect_b64 s[20:21], -1, 0
	s_add_i32 s5, s5, s18
	s_lshr_b32 s5, s5, s13
	s_cmp_eq_u32 s7, s5
	s_mul_i32 s5, s5, s14
	s_cselect_b64 s[24:25], -1, 0
	s_cmp_lg_u32 s5, s18
	s_cselect_b64 s[18:19], -1, 0
	s_and_b64 s[18:19], s[24:25], s[18:19]
	s_or_b64 s[16:17], s[16:17], s[20:21]
	s_or_b64 s[16:17], s[16:17], s[18:19]
	s_and_b64 vcc, exec, s[16:17]
	s_cbranch_vccnz .LBB12_23
; %bb.7:
	s_load_dwordx8 s[24:31], s[0:1], 0x20
	s_load_dword s5, s[0:1], 0x40
	s_waitcnt lgkmcnt(0)
	s_mul_hi_u32 s15, s6, s24
	s_add_i32 s15, s15, s6
	s_lshr_b32 s20, s15, s25
	s_mul_i32 s15, s20, s26
	s_sub_i32 s15, s6, s15
	s_mul_hi_u32 s16, s15, s27
	s_add_i32 s16, s15, s16
	s_lshr_b32 s21, s16, s28
	s_mul_i32 s16, s21, s29
	s_sub_i32 s15, s15, s16
	;; [unrolled: 5-line block ×3, first 2 shown]
	s_mul_hi_u32 s15, s5, s12
	s_add_i32 s5, s5, s15
	s_lshr_b32 s23, s5, s13
	s_lshl_b32 s5, s23, 5
	s_add_i32 s5, s5, s3
	s_cmp_lt_i32 s5, s8
	s_cselect_b64 s[16:17], -1, 0
	s_add_i32 s24, s24, s4
	s_cmp_lt_i32 s24, s10
	s_cselect_b64 s[18:19], -1, 0
	s_and_b64 s[16:17], s[16:17], s[18:19]
	s_andn2_b64 vcc, exec, s[16:17]
	s_cbranch_vccnz .LBB12_23
; %bb.8:
	s_load_dwordx4 s[16:19], s[0:1], 0x0
	s_mov_b32 s0, 0
	s_add_i32 s15, s3, s4
	s_lshl_b32 s4, s22, 7
	s_mov_b32 s5, s0
	s_lshl_b64 s[4:5], s[4:5], 2
	s_waitcnt lgkmcnt(0)
	s_add_u32 s4, s18, s4
	s_mul_i32 s1, s20, s8
	s_addc_u32 s5, s19, s5
	s_mul_i32 s21, s21, s10
	s_add_i32 s1, s1, s3
	s_mul_i32 s1, s1, s9
	s_add_i32 s3, s24, s21
	;; [unrolled: 2-line block ×3, first 2 shown]
	s_mulk_i32 s8, 0xa00
	s_mulk_i32 s1, 0x50
	s_add_i32 s8, s8, s1
	v_add_u32_e32 v4, s8, v0
	v_mov_b32_e32 v2, s16
	v_mov_b32_e32 v3, s17
	v_ashrrev_i32_e32 v5, 31, v4
	v_lshl_add_u64 v[2:3], v[4:5], 2, v[2:3]
	global_load_dword v1, v[2:3], off
	v_cvt_f32_u32_e32 v4, s22
	s_lshl_b32 s1, s2, 5
	s_add_i32 s8, s1, s15
	s_ashr_i32 s9, s8, 31
	s_lshl_b64 s[8:9], s[8:9], 3
	v_rcp_iflag_f32_e32 v4, v4
	s_add_u32 s8, s18, s8
	s_addc_u32 s9, s19, s9
	s_load_dwordx2 s[8:9], s[8:9], 0x0
	v_mul_f32_e32 v4, 0x4f7ffffe, v4
	v_cvt_u32_f32_e32 v7, v4
	s_mul_i32 s1, s15, 0x50
	s_add_i32 s21, s2, -1
	v_add_u32_e32 v6, s1, v0
	s_waitcnt lgkmcnt(0)
	v_mov_b32_e32 v0, s9
	v_mov_b32_e32 v9, s8
	s_mov_b32 s10, 0x3fb8aa3b
	s_mov_b32 s20, 0xc2ce8ed0
	;; [unrolled: 1-line block ×4, first 2 shown]
	v_mov_b32_e32 v8, 0x7f800000
	s_mul_hi_i32 s1, s21, s11
	s_cmp_lg_u64 s[0:1], 0
	s_mul_i32 s16, s21, s11
	s_cbranch_scc0 .LBB12_19
.LBB12_9:
	s_add_u32 s2, s22, 0
	s_addc_u32 s3, 0, 0
	s_xor_b64 s[2:3], s[2:3], 0
	v_cvt_f32_u32_e32 v4, s2
	v_cvt_f32_u32_e32 v5, s3
	s_sub_u32 s17, 0, s2
	s_subb_u32 s25, 0, s3
	v_fmac_f32_e32 v4, 0x4f800000, v5
	v_rcp_f32_e32 v4, v4
	s_nop 0
	v_mul_f32_e32 v4, 0x5f7ffffc, v4
	v_mul_f32_e32 v5, 0x2f800000, v4
	v_trunc_f32_e32 v5, v5
	v_fmac_f32_e32 v4, 0xcf800000, v5
	v_cvt_u32_f32_e32 v5, v5
	v_cvt_u32_f32_e32 v4, v4
	v_readfirstlane_b32 s26, v5
	v_readfirstlane_b32 s8, v4
	s_mul_i32 s9, s17, s26
	s_mul_hi_u32 s28, s17, s8
	s_mul_i32 s27, s25, s8
	s_add_i32 s9, s28, s9
	s_mul_i32 s29, s17, s8
	s_add_i32 s9, s9, s27
	s_mul_i32 s28, s8, s9
	s_mul_hi_u32 s30, s8, s29
	s_mul_hi_u32 s27, s8, s9
	s_add_u32 s28, s30, s28
	s_addc_u32 s27, 0, s27
	s_mul_hi_u32 s31, s26, s29
	s_mul_i32 s29, s26, s29
	s_add_u32 s28, s28, s29
	s_mul_hi_u32 s30, s26, s9
	s_addc_u32 s27, s27, s31
	s_addc_u32 s28, s30, 0
	s_mul_i32 s9, s26, s9
	s_add_u32 s9, s27, s9
	s_addc_u32 s27, 0, s28
	s_add_u32 s28, s8, s9
	s_cselect_b64 s[8:9], -1, 0
	s_cmp_lg_u64 s[8:9], 0
	s_addc_u32 s26, s26, s27
	s_mul_i32 s8, s17, s26
	s_mul_hi_u32 s9, s17, s28
	s_add_i32 s8, s9, s8
	s_mul_i32 s25, s25, s28
	s_add_i32 s8, s8, s25
	s_mul_i32 s17, s17, s28
	s_mul_hi_u32 s25, s26, s17
	s_mul_i32 s27, s26, s17
	s_mul_i32 s30, s28, s8
	s_mul_hi_u32 s17, s28, s17
	s_mul_hi_u32 s29, s28, s8
	s_add_u32 s17, s17, s30
	s_addc_u32 s29, 0, s29
	s_add_u32 s17, s17, s27
	s_mul_hi_u32 s9, s26, s8
	s_addc_u32 s17, s29, s25
	s_addc_u32 s9, s9, 0
	s_mul_i32 s8, s26, s8
	s_add_u32 s8, s17, s8
	s_addc_u32 s17, 0, s9
	s_add_u32 s25, s28, s8
	s_cselect_b64 s[8:9], -1, 0
	s_cmp_lg_u64 s[8:9], 0
	s_addc_u32 s17, s26, s17
	s_ashr_i32 s8, s1, 31
	s_add_u32 s26, s16, s8
	s_mov_b32 s9, s8
	s_addc_u32 s27, s1, s8
	s_xor_b64 s[26:27], s[26:27], s[8:9]
	s_mul_i32 s28, s26, s17
	s_mul_hi_u32 s29, s26, s25
	s_mul_hi_u32 s1, s26, s17
	s_add_u32 s28, s29, s28
	s_addc_u32 s1, 0, s1
	s_mul_hi_u32 s30, s27, s25
	s_mul_i32 s25, s27, s25
	s_add_u32 s25, s28, s25
	s_mul_hi_u32 s29, s27, s17
	s_addc_u32 s1, s1, s30
	s_addc_u32 s25, s29, 0
	s_mul_i32 s17, s27, s17
	s_add_u32 s1, s1, s17
	s_addc_u32 s17, 0, s25
	s_mul_i32 s25, s2, s17
	s_mul_hi_u32 s28, s2, s1
	s_add_i32 s25, s28, s25
	s_mul_i32 s28, s3, s1
	s_add_i32 s25, s25, s28
	s_sub_i32 s30, s27, s25
	s_mul_i32 s28, s2, s1
	s_sub_u32 s26, s26, s28
	s_cselect_b64 s[28:29], -1, 0
	s_cmp_lg_u64 s[28:29], 0
	s_subb_u32 s33, s30, s3
	s_sub_u32 s34, s26, s2
	s_cselect_b64 s[30:31], -1, 0
	s_cmp_lg_u64 s[30:31], 0
	s_subb_u32 s30, s33, 0
	s_cmp_ge_u32 s30, s3
	s_cselect_b32 s31, -1, 0
	s_cmp_ge_u32 s34, s2
	s_cselect_b32 s33, -1, 0
	s_cmp_eq_u32 s30, s3
	s_cselect_b32 s30, s33, s31
	s_add_u32 s31, s1, 1
	s_addc_u32 s33, s17, 0
	s_add_u32 s34, s1, 2
	s_addc_u32 s35, s17, 0
	s_cmp_lg_u32 s30, 0
	s_cselect_b32 s30, s34, s31
	s_cselect_b32 s31, s35, s33
	s_cmp_lg_u64 s[28:29], 0
	s_subb_u32 s25, s27, s25
	s_cmp_ge_u32 s25, s3
	s_cselect_b32 s27, -1, 0
	s_cmp_ge_u32 s26, s2
	s_cselect_b32 s2, -1, 0
	s_cmp_eq_u32 s25, s3
	s_cselect_b32 s2, s2, s27
	s_cmp_lg_u32 s2, 0
	s_cselect_b32 s3, s31, s17
	s_cselect_b32 s2, s30, s1
	s_xor_b64 s[8:9], s[8:9], 0
	s_xor_b64 s[2:3], s[2:3], s[8:9]
	s_sub_u32 s8, s2, s8
	s_cbranch_execnz .LBB12_11
.LBB12_10:
	s_sub_i32 s1, 0, s22
	v_readfirstlane_b32 s2, v7
	s_mul_i32 s1, s1, s2
	s_mul_hi_u32 s1, s2, s1
	s_add_i32 s2, s2, s1
	s_mul_hi_u32 s1, s16, s2
	s_mul_i32 s3, s1, s22
	s_sub_i32 s3, s16, s3
	s_add_i32 s2, s1, 1
	s_sub_i32 s8, s3, s22
	s_cmp_ge_u32 s3, s22
	s_cselect_b32 s1, s2, s1
	s_cselect_b32 s3, s8, s3
	s_add_i32 s2, s1, 1
	s_cmp_ge_u32 s3, s22
	s_cselect_b32 s8, s2, s1
.LBB12_11:
	s_cmp_lg_u32 s6, s8
	s_cbranch_scc0 .LBB12_15
; %bb.12:
	s_add_i32 s1, s21, s22
	s_lshl_b32 s1, s1, 5
	s_add_i32 s2, s1, s15
	s_mov_b32 s3, s0
	s_lshl_b64 s[2:3], s[2:3], 3
	s_add_u32 s16, s18, s2
	s_mul_hi_u32 s1, s8, s12
	s_addc_u32 s17, s19, s3
	s_add_i32 s1, s1, s8
	s_lshr_b32 s1, s1, s13
	s_mul_i32 s2, s1, s14
	s_cmp_eq_u32 s2, s8
	s_cselect_b64 s[2:3], -1, 0
	s_cmp_lt_u32 s1, s7
	s_cselect_b64 s[26:27], -1, 0
	s_or_b64 s[26:27], s[26:27], s[2:3]
	s_mov_b64 s[2:3], -1
	s_and_b64 vcc, exec, s[26:27]
	s_mov_b32 s1, s21
	s_mov_b32 s25, s6
	s_cbranch_vccnz .LBB12_14
; %bb.13:
	s_add_i32 s1, s21, -1
	s_mov_b64 s[2:3], 0
	s_mov_b32 s25, s8
.LBB12_14:
	s_mul_i32 s8, s21, 0xa00
	v_add_u32_e32 v4, s8, v6
	v_ashrrev_i32_e32 v5, 31, v4
	v_lshl_add_u64 v[4:5], v[4:5], 2, s[4:5]
	global_load_dword v5, v[4:5], off
	s_load_dwordx2 s[8:9], s[16:17], 0x0
	v_max_f32_e32 v4, v9, v9
	s_waitcnt lgkmcnt(0)
	v_max_f32_e64 v10, s8, s8
	v_max_f32_e32 v10, v4, v10
	v_sub_f32_e32 v11, v9, v10
	v_sub_f32_e32 v13, s8, v10
	v_mul_f32_e32 v4, 0x3fb8aa3b, v11
	v_mul_f32_e32 v12, 0x3fb8aa3b, v13
	v_fma_f32 v14, v11, s10, -v4
	v_rndne_f32_e32 v15, v4
	v_fma_f32 v16, v13, s10, -v12
	v_rndne_f32_e32 v17, v12
	v_fmac_f32_e32 v14, 0x32a5705f, v11
	v_sub_f32_e32 v4, v4, v15
	v_fmac_f32_e32 v16, 0x32a5705f, v13
	v_sub_f32_e32 v12, v12, v17
	v_add_f32_e32 v4, v4, v14
	v_cvt_i32_f32_e32 v15, v15
	v_add_f32_e32 v12, v12, v16
	v_exp_f32_e32 v14, v4
	v_cvt_i32_f32_e32 v17, v17
	v_exp_f32_e32 v12, v12
	v_cmp_ngt_f32_e32 vcc, s20, v11
	v_ldexp_f32 v14, v14, v15
	v_mov_b32_e32 v4, s9
	v_ldexp_f32 v12, v12, v17
	v_cndmask_b32_e32 v14, 0, v14, vcc
	v_cmp_ngt_f32_e32 vcc, s20, v13
	s_nop 1
	v_cndmask_b32_e32 v12, 0, v12, vcc
	v_cmp_nlt_f32_e32 vcc, s23, v11
	s_nop 1
	v_cndmask_b32_e32 v14, v8, v14, vcc
	v_cmp_nlt_f32_e32 vcc, s23, v13
	s_nop 1
	v_cndmask_b32_e32 v15, v8, v12, vcc
	v_cmp_le_f32_e32 vcc, s24, v11
	s_nop 1
	v_cndmask_b32_e32 v12, 0, v14, vcc
	v_cmp_le_f32_e32 vcc, s24, v13
	s_nop 1
	v_cndmask_b32_e32 v14, 0, v15, vcc
	s_waitcnt vmcnt(0)
	v_pk_mul_f32 v[4:5], v[4:5], v[14:15] op_sel_hi:[1,0]
	s_nop 0
	v_pk_fma_f32 v[4:5], v[0:1], v[12:13], v[4:5] op_sel_hi:[1,0,1]
	s_cbranch_execz .LBB12_16
	s_branch .LBB12_17
.LBB12_15:
                                        ; implicit-def: $vgpr4_vgpr5
                                        ; implicit-def: $sgpr2_sgpr3
                                        ; implicit-def: $vgpr10
                                        ; implicit-def: $sgpr1
                                        ; implicit-def: $sgpr25
.LBB12_16:
	s_add_i32 s1, s21, -1
	s_mov_b64 s[2:3], 0
	s_mov_b32 s25, s6
	v_mov_b32_e32 v10, v9
	s_waitcnt vmcnt(0)
	v_mov_b64_e32 v[4:5], v[0:1]
.LBB12_17:
	s_andn2_b64 vcc, exec, s[2:3]
	s_cbranch_vccz .LBB12_22
; %bb.18:
	s_mov_b32 s6, s25
	s_mov_b32 s21, s1
	v_mov_b32_e32 v9, v10
	s_waitcnt vmcnt(0)
	v_mov_b64_e32 v[0:1], v[4:5]
	s_mul_hi_i32 s1, s21, s11
	s_cmp_lg_u64 s[0:1], 0
	s_mul_i32 s16, s21, s11
	s_cbranch_scc1 .LBB12_9
.LBB12_19:
                                        ; implicit-def: $sgpr8_sgpr9
	s_branch .LBB12_10
.LBB12_20:
                                        ; implicit-def: $sgpr6_sgpr7
	s_load_dwordx4 s[12:15], s[0:1], 0x44
	s_branch .LBB12_2
.LBB12_21:
                                        ; implicit-def: $sgpr18_sgpr19
	s_branch .LBB12_5
.LBB12_22:
	v_div_scale_f32 v0, s[0:1], v4, v4, v5
	s_waitcnt vmcnt(0)
	v_rcp_f32_e32 v1, v0
	v_div_scale_f32 v6, vcc, v5, v4, v5
	v_fma_f32 v7, -v0, v1, 1.0
	v_fmac_f32_e32 v1, v7, v1
	v_mul_f32_e32 v7, v6, v1
	v_fma_f32 v8, -v0, v7, v6
	v_fmac_f32_e32 v7, v8, v1
	v_fma_f32 v0, -v0, v7, v6
	v_div_fmas_f32 v0, v0, v1, v7
	v_div_fixup_f32 v0, v0, v4, v5
	global_store_dword v[2:3], v0, off
.LBB12_23:
	s_endpgm
	.section	.rodata,"a",@progbits
	.p2align	6, 0x0
	.amdhsa_kernel _ZL33flash_attn_stream_k_fixup_generalILi80ELi32ELi1EEvPfPK15HIP_vector_typeIfLj2EEiiiiS1_IjLj3EES5_S5_S5_
		.amdhsa_group_segment_fixed_size 0
		.amdhsa_private_segment_fixed_size 0
		.amdhsa_kernarg_size 336
		.amdhsa_user_sgpr_count 2
		.amdhsa_user_sgpr_dispatch_ptr 0
		.amdhsa_user_sgpr_queue_ptr 0
		.amdhsa_user_sgpr_kernarg_segment_ptr 1
		.amdhsa_user_sgpr_dispatch_id 0
		.amdhsa_user_sgpr_kernarg_preload_length 0
		.amdhsa_user_sgpr_kernarg_preload_offset 0
		.amdhsa_user_sgpr_private_segment_size 0
		.amdhsa_uses_dynamic_stack 0
		.amdhsa_enable_private_segment 0
		.amdhsa_system_sgpr_workgroup_id_x 1
		.amdhsa_system_sgpr_workgroup_id_y 1
		.amdhsa_system_sgpr_workgroup_id_z 1
		.amdhsa_system_sgpr_workgroup_info 0
		.amdhsa_system_vgpr_workitem_id 0
		.amdhsa_next_free_vgpr 18
		.amdhsa_next_free_sgpr 36
		.amdhsa_accum_offset 20
		.amdhsa_reserve_vcc 1
		.amdhsa_float_round_mode_32 0
		.amdhsa_float_round_mode_16_64 0
		.amdhsa_float_denorm_mode_32 3
		.amdhsa_float_denorm_mode_16_64 3
		.amdhsa_dx10_clamp 1
		.amdhsa_ieee_mode 1
		.amdhsa_fp16_overflow 0
		.amdhsa_tg_split 0
		.amdhsa_exception_fp_ieee_invalid_op 0
		.amdhsa_exception_fp_denorm_src 0
		.amdhsa_exception_fp_ieee_div_zero 0
		.amdhsa_exception_fp_ieee_overflow 0
		.amdhsa_exception_fp_ieee_underflow 0
		.amdhsa_exception_fp_ieee_inexact 0
		.amdhsa_exception_int_div_zero 0
	.end_amdhsa_kernel
	.section	.text._ZL33flash_attn_stream_k_fixup_generalILi80ELi32ELi1EEvPfPK15HIP_vector_typeIfLj2EEiiiiS1_IjLj3EES5_S5_S5_,"axG",@progbits,_ZL33flash_attn_stream_k_fixup_generalILi80ELi32ELi1EEvPfPK15HIP_vector_typeIfLj2EEiiiiS1_IjLj3EES5_S5_S5_,comdat
.Lfunc_end12:
	.size	_ZL33flash_attn_stream_k_fixup_generalILi80ELi32ELi1EEvPfPK15HIP_vector_typeIfLj2EEiiiiS1_IjLj3EES5_S5_S5_, .Lfunc_end12-_ZL33flash_attn_stream_k_fixup_generalILi80ELi32ELi1EEvPfPK15HIP_vector_typeIfLj2EEiiiiS1_IjLj3EES5_S5_S5_
                                        ; -- End function
	.set _ZL33flash_attn_stream_k_fixup_generalILi80ELi32ELi1EEvPfPK15HIP_vector_typeIfLj2EEiiiiS1_IjLj3EES5_S5_S5_.num_vgpr, 18
	.set _ZL33flash_attn_stream_k_fixup_generalILi80ELi32ELi1EEvPfPK15HIP_vector_typeIfLj2EEiiiiS1_IjLj3EES5_S5_S5_.num_agpr, 0
	.set _ZL33flash_attn_stream_k_fixup_generalILi80ELi32ELi1EEvPfPK15HIP_vector_typeIfLj2EEiiiiS1_IjLj3EES5_S5_S5_.numbered_sgpr, 36
	.set _ZL33flash_attn_stream_k_fixup_generalILi80ELi32ELi1EEvPfPK15HIP_vector_typeIfLj2EEiiiiS1_IjLj3EES5_S5_S5_.num_named_barrier, 0
	.set _ZL33flash_attn_stream_k_fixup_generalILi80ELi32ELi1EEvPfPK15HIP_vector_typeIfLj2EEiiiiS1_IjLj3EES5_S5_S5_.private_seg_size, 0
	.set _ZL33flash_attn_stream_k_fixup_generalILi80ELi32ELi1EEvPfPK15HIP_vector_typeIfLj2EEiiiiS1_IjLj3EES5_S5_S5_.uses_vcc, 1
	.set _ZL33flash_attn_stream_k_fixup_generalILi80ELi32ELi1EEvPfPK15HIP_vector_typeIfLj2EEiiiiS1_IjLj3EES5_S5_S5_.uses_flat_scratch, 0
	.set _ZL33flash_attn_stream_k_fixup_generalILi80ELi32ELi1EEvPfPK15HIP_vector_typeIfLj2EEiiiiS1_IjLj3EES5_S5_S5_.has_dyn_sized_stack, 0
	.set _ZL33flash_attn_stream_k_fixup_generalILi80ELi32ELi1EEvPfPK15HIP_vector_typeIfLj2EEiiiiS1_IjLj3EES5_S5_S5_.has_recursion, 0
	.set _ZL33flash_attn_stream_k_fixup_generalILi80ELi32ELi1EEvPfPK15HIP_vector_typeIfLj2EEiiiiS1_IjLj3EES5_S5_S5_.has_indirect_call, 0
	.section	.AMDGPU.csdata,"",@progbits
; Kernel info:
; codeLenInByte = 2936
; TotalNumSgprs: 42
; NumVgprs: 18
; NumAgprs: 0
; TotalNumVgprs: 18
; ScratchSize: 0
; MemoryBound: 0
; FloatMode: 240
; IeeeMode: 1
; LDSByteSize: 0 bytes/workgroup (compile time only)
; SGPRBlocks: 5
; VGPRBlocks: 2
; NumSGPRsForWavesPerEU: 42
; NumVGPRsForWavesPerEU: 18
; AccumOffset: 20
; Occupancy: 8
; WaveLimiterHint : 0
; COMPUTE_PGM_RSRC2:SCRATCH_EN: 0
; COMPUTE_PGM_RSRC2:USER_SGPR: 2
; COMPUTE_PGM_RSRC2:TRAP_HANDLER: 0
; COMPUTE_PGM_RSRC2:TGID_X_EN: 1
; COMPUTE_PGM_RSRC2:TGID_Y_EN: 1
; COMPUTE_PGM_RSRC2:TGID_Z_EN: 1
; COMPUTE_PGM_RSRC2:TIDIG_COMP_CNT: 0
; COMPUTE_PGM_RSRC3_GFX90A:ACCUM_OFFSET: 4
; COMPUTE_PGM_RSRC3_GFX90A:TG_SPLIT: 0
	.section	.text._ZL26flash_attn_combine_resultsILi80EEvPKfPK15HIP_vector_typeIfLj2EEPfi,"axG",@progbits,_ZL26flash_attn_combine_resultsILi80EEvPKfPK15HIP_vector_typeIfLj2EEPfi,comdat
	.globl	_ZL26flash_attn_combine_resultsILi80EEvPKfPK15HIP_vector_typeIfLj2EEPfi ; -- Begin function _ZL26flash_attn_combine_resultsILi80EEvPKfPK15HIP_vector_typeIfLj2EEPfi
	.p2align	8
	.type	_ZL26flash_attn_combine_resultsILi80EEvPKfPK15HIP_vector_typeIfLj2EEPfi,@function
_ZL26flash_attn_combine_resultsILi80EEvPKfPK15HIP_vector_typeIfLj2EEPfi: ; @_ZL26flash_attn_combine_resultsILi80EEvPKfPK15HIP_vector_typeIfLj2EEPfi
; %bb.0:
	s_load_dwordx2 s[6:7], s[0:1], 0x20
	s_load_dword s23, s[0:1], 0x18
	s_load_dwordx4 s[16:19], s[0:1], 0x0
	s_load_dwordx2 s[14:15], s[0:1], 0x10
	s_waitcnt lgkmcnt(0)
	s_mul_i32 s0, s6, s4
	s_add_i32 s0, s0, s2
	s_mul_i32 s22, s0, s7
	s_add_i32 s22, s22, s3
	s_lshl_b32 s12, s23, 1
	s_mul_i32 s2, s22, s23
	v_cmp_gt_i32_e32 vcc, s12, v0
	s_and_saveexec_b64 s[0:1], vcc
	s_cbranch_execz .LBB13_13
; %bb.1:
	v_xad_u32 v1, v0, -1, s12
	s_movk_i32 s4, 0x4f
	s_ashr_i32 s3, s2, 31
	v_cmp_lt_u32_e32 vcc, s4, v1
	s_mov_b64 s[6:7], -1
	v_mov_b32_e32 v2, v0
	s_and_saveexec_b64 s[4:5], vcc
	s_cbranch_execz .LBB13_10
; %bb.2:
	s_mov_b32 s6, 0xcccccccd
	v_mul_hi_u32 v1, v1, s6
	v_lshrrev_b32_e32 v6, 6, v1
	s_lshl_b64 s[6:7], s[2:3], 3
	v_add_u32_e32 v2, -1, v6
	s_add_u32 s6, s18, s6
	v_add_u32_e32 v1, 0x50, v0
	v_lshrrev_b32_e32 v3, 1, v2
	s_addc_u32 s7, s19, s7
	v_add_u32_e32 v7, 1, v3
	v_cmp_lt_u32_e32 vcc, 13, v2
	v_mov_b32_e32 v4, 0
	v_mov_b64_e32 v[2:3], v[0:1]
	s_and_saveexec_b64 s[8:9], vcc
	s_cbranch_execz .LBB13_6
; %bb.3:
	v_and_b32_e32 v8, -8, v7
	s_mov_b32 s13, 0
	v_lshl_add_u32 v9, v0, 2, 0
	s_mov_b64 s[10:11], 0
	v_mov_b32_e32 v5, 0
	v_mov_b64_e32 v[2:3], v[0:1]
.LBB13_4:                               ; =>This Inner Loop Header: Depth=1
	v_mov_b32_e32 v4, v2
	v_lshl_add_u64 v[24:25], v[4:5], 2, s[6:7]
	v_mov_b32_e32 v4, v3
	v_add_u32_e32 v10, 0xa0, v3
	v_mov_b32_e32 v11, v5
	v_lshl_add_u64 v[26:27], v[4:5], 2, s[6:7]
	v_add_u32_e32 v4, 0xa0, v2
	v_lshl_add_u64 v[10:11], v[10:11], 2, s[6:7]
	global_load_dword v1, v[24:25], off
	v_lshl_add_u64 v[24:25], v[4:5], 2, s[6:7]
	v_add_u32_e32 v4, 0x140, v2
	global_load_dword v28, v[26:27], off
	global_load_dword v29, v[24:25], off
	;; [unrolled: 1-line block ×3, first 2 shown]
	v_lshl_add_u64 v[10:11], v[4:5], 2, s[6:7]
	v_add_u32_e32 v4, 0x1e0, v2
	v_add_u32_e32 v12, 0x140, v3
	v_mov_b32_e32 v13, v5
	v_add_u32_e32 v14, 0x1e0, v3
	v_mov_b32_e32 v15, v5
	v_lshl_add_u64 v[24:25], v[4:5], 2, s[6:7]
	v_add_u32_e32 v4, 0x280, v2
	v_lshl_add_u64 v[12:13], v[12:13], 2, s[6:7]
	v_lshl_add_u64 v[14:15], v[14:15], 2, s[6:7]
	global_load_dword v26, v[10:11], off
	global_load_dword v27, v[12:13], off
	;; [unrolled: 1-line block ×4, first 2 shown]
	v_lshl_add_u64 v[10:11], v[4:5], 2, s[6:7]
	v_add_u32_e32 v4, 0x320, v2
	v_add_u32_e32 v16, 0x280, v3
	v_mov_b32_e32 v17, v5
	v_add_u32_e32 v18, 0x320, v3
	v_mov_b32_e32 v19, v5
	v_lshl_add_u64 v[12:13], v[4:5], 2, s[6:7]
	v_add_u32_e32 v4, 0x3c0, v2
	v_add_u32_e32 v20, 0x3c0, v3
	v_mov_b32_e32 v21, v5
	v_add_u32_e32 v22, 0x460, v3
	v_mov_b32_e32 v23, v5
	v_lshl_add_u64 v[16:17], v[16:17], 2, s[6:7]
	v_lshl_add_u64 v[18:19], v[18:19], 2, s[6:7]
	global_load_dword v14, v[10:11], off
	global_load_dword v15, v[16:17], off
	global_load_dword v24, v[12:13], off
	global_load_dword v25, v[18:19], off
	v_lshl_add_u64 v[10:11], v[4:5], 2, s[6:7]
	v_add_u32_e32 v4, 0x460, v2
	v_lshl_add_u64 v[20:21], v[20:21], 2, s[6:7]
	v_lshl_add_u64 v[22:23], v[22:23], 2, s[6:7]
	;; [unrolled: 1-line block ×3, first 2 shown]
	global_load_dword v16, v[10:11], off
	global_load_dword v17, v[20:21], off
	;; [unrolled: 1-line block ×4, first 2 shown]
	v_add_u32_e32 v8, -8, v8
	s_add_i32 s13, s13, 16
	v_cmp_eq_u32_e32 vcc, 0, v8
	v_add_u32_e32 v10, 0x400, v9
	v_add_u32_e32 v11, 0x600, v9
	;; [unrolled: 1-line block ×7, first 2 shown]
	v_mov_b32_e32 v4, s13
	s_or_b64 s[10:11], vcc, s[10:11]
	v_add_u32_e32 v2, 0x500, v2
	s_waitcnt vmcnt(14)
	ds_write2_b32 v9, v1, v28 offset1:80
	s_waitcnt vmcnt(12)
	ds_write2_b32 v9, v29, v30 offset0:160 offset1:240
	v_add_u32_e32 v9, 0x1400, v9
	s_waitcnt vmcnt(10)
	ds_write2_b32 v10, v26, v27 offset0:64 offset1:144
	s_waitcnt vmcnt(8)
	ds_write2_b32 v11, v31, v32 offset0:96 offset1:176
	;; [unrolled: 2-line block ×6, first 2 shown]
	s_andn2_b64 exec, exec, s[10:11]
	s_cbranch_execnz .LBB13_4
; %bb.5:
	s_or_b64 exec, exec, s[10:11]
.LBB13_6:
	s_or_b64 exec, exec, s[8:9]
	v_and_b32_e32 v1, 7, v7
	v_cmp_ne_u32_e32 vcc, 0, v1
	s_and_saveexec_b64 s[8:9], vcc
	s_cbranch_execz .LBB13_9
; %bb.7:
	s_movk_i32 s10, 0x140
	v_mul_lo_u32 v4, v4, s10
	v_lshlrev_b32_e32 v5, 2, v0
	v_add3_u32 v7, v4, v5, 0
	s_mov_b64 s[10:11], 0
	v_mov_b32_e32 v5, 0
.LBB13_8:                               ; =>This Inner Loop Header: Depth=1
	v_mov_b32_e32 v4, v2
	v_lshl_add_u64 v[8:9], v[4:5], 2, s[6:7]
	v_mov_b32_e32 v4, v3
	v_lshl_add_u64 v[10:11], v[4:5], 2, s[6:7]
	global_load_dword v4, v[8:9], off
	global_load_dword v12, v[10:11], off
	v_add_u32_e32 v1, -1, v1
	v_cmp_eq_u32_e32 vcc, 0, v1
	v_add_u32_e32 v2, 0xa0, v2
	v_add_u32_e32 v3, 0xa0, v3
	s_or_b64 s[10:11], vcc, s[10:11]
	s_waitcnt vmcnt(0)
	ds_write2_b32 v7, v4, v12 offset1:80
	v_add_u32_e32 v7, 0x280, v7
	s_andn2_b64 exec, exec, s[10:11]
	s_cbranch_execnz .LBB13_8
.LBB13_9:
	s_or_b64 exec, exec, s[8:9]
	v_add_u32_e32 v1, 1, v6
	v_and_b32_e32 v4, 0x7fffffe, v1
	s_movk_i32 s6, 0x50
	v_mad_u64_u32 v[2:3], s[6:7], v4, s6, v[0:1]
	v_cmp_ne_u32_e32 vcc, v1, v4
	s_orn2_b64 s[6:7], vcc, exec
.LBB13_10:
	s_or_b64 exec, exec, s[4:5]
	s_and_b64 exec, exec, s[6:7]
	s_cbranch_execz .LBB13_13
; %bb.11:
	s_lshl_b64 s[4:5], s[2:3], 3
	s_add_u32 s4, s18, s4
	v_mov_b32_e32 v3, 0
	s_addc_u32 s5, s19, s5
	v_lshl_add_u64 v[4:5], v[2:3], 2, s[4:5]
	v_lshl_add_u32 v1, v2, 2, 0
	s_mov_b64 s[4:5], 0
	s_mov_b64 s[6:7], 0x140
.LBB13_12:                              ; =>This Inner Loop Header: Depth=1
	global_load_dword v3, v[4:5], off
	v_add_u32_e32 v2, 0x50, v2
	v_cmp_le_i32_e32 vcc, s12, v2
	v_lshl_add_u64 v[4:5], v[4:5], 0, s[6:7]
	s_or_b64 s[4:5], vcc, s[4:5]
	s_waitcnt vmcnt(0)
	ds_write_b32 v1, v3
	v_add_u32_e32 v1, 0x140, v1
	s_andn2_b64 exec, exec, s[4:5]
	s_cbranch_execnz .LBB13_12
.LBB13_13:
	s_or_b64 exec, exec, s[0:1]
	v_mov_b32_e32 v1, 0
	s_waitcnt lgkmcnt(0)
	s_barrier
	ds_read_b32 v1, v1
	s_cmp_lt_i32 s23, 2
	s_cbranch_scc1 .LBB13_21
; %bb.14:
	s_cmp_eq_u32 s23, 2
	s_cbranch_scc1 .LBB13_18
; %bb.15:
	s_add_i32 s3, s23, -1
	s_and_b32 s4, s3, -2
	s_add_i32 s6, 0, 8
	s_mov_b32 s5, 2
	s_waitcnt lgkmcnt(0)
	v_mov_b32_e32 v4, v1
.LBB13_16:                              ; =>This Inner Loop Header: Depth=1
	v_mov_b32_e32 v2, v1
	v_mov_b32_e32 v1, s6
	;; [unrolled: 1-line block ×3, first 2 shown]
	ds_read2_b32 v[4:5], v1 offset1:2
	s_cmp_lg_u32 s4, s5
	s_cselect_b64 s[8:9], -1, 0
	v_max_f32_e32 v1, v3, v3
	v_max_f32_e32 v6, v2, v2
	s_waitcnt lgkmcnt(0)
	v_cmp_u_f32_e32 vcc, v5, v5
	v_max_f32_e32 v7, v5, v5
	v_max_f32_e32 v8, v4, v4
	v_cndmask_b32_e64 v5, 0, 1, vcc
	v_cmp_u_f32_e32 vcc, v4, v4
	v_readfirstlane_b32 s0, v5
	s_lshl_b32 s0, s0, 1
	v_cndmask_b32_e64 v9, 0, 1, vcc
	v_max_f32_e32 v4, v1, v7
	v_readfirstlane_b32 s1, v9
	s_or_b32 s0, s1, s0
	s_and_b32 s7, s0, 3
	s_cmp_lg_u32 s7, 0
	s_cselect_b64 s[0:1], -1, 0
	s_cmp_eq_u32 s7, 0
	s_cselect_b64 s[10:11], -1, 0
	s_and_b64 s[8:9], s[10:11], s[8:9]
	v_max_f32_e32 v1, v6, v8
	s_add_i32 s5, s5, 2
	s_add_i32 s6, s6, 16
	s_and_b64 vcc, exec, s[8:9]
	s_cbranch_vccnz .LBB13_16
; %bb.17:
	s_add_i32 s5, s5, -4
	s_and_b64 s[6:7], s[0:1], exec
	s_cselect_b32 s5, s5, s3
	s_or_b32 s5, s5, 1
	v_cndmask_b32_e64 v1, v1, v2, s[0:1]
	v_cndmask_b32_e64 v2, v4, v3, s[0:1]
	s_cmp_lg_u32 s3, s4
	v_max_f32_e32 v2, v2, v2
	v_max_f32_e32 v1, v1, v1
	s_cselect_b64 s[6:7], -1, 0
	v_max_f32_e32 v1, v1, v2
	s_or_b64 s[0:1], s[6:7], s[0:1]
	s_and_b64 vcc, exec, s[0:1]
	s_cbranch_vccnz .LBB13_19
	s_branch .LBB13_21
.LBB13_18:
	s_mov_b32 s5, 1
	s_cbranch_execz .LBB13_21
.LBB13_19:
	s_lshl_b32 s1, s5, 3
	s_sub_i32 s0, s23, s5
	s_add_i32 s1, s1, 0
.LBB13_20:                              ; =>This Inner Loop Header: Depth=1
	v_mov_b32_e32 v2, s1
	ds_read_b32 v2, v2
	s_waitcnt lgkmcnt(1)
	v_max_f32_e32 v1, v1, v1
	s_add_i32 s0, s0, -1
	s_add_i32 s1, s1, 8
	s_cmp_eq_u32 s0, 0
	s_waitcnt lgkmcnt(0)
	v_max_f32_e32 v2, v2, v2
	v_max_f32_e32 v1, v1, v2
	s_cbranch_scc0 .LBB13_20
.LBB13_21:
	s_cmp_lt_i32 s23, 1
	s_cbranch_scc1 .LBB13_26
; %bb.22:
	s_mul_i32 s18, s2, 0x50
	s_ashr_i32 s19, s18, 31
	s_cmp_lt_u32 s23, 8
	s_cbranch_scc1 .LBB13_27
; %bb.23:
	s_lshl_b64 s[0:1], s[18:19], 2
	s_add_u32 s20, s16, s0
	v_mov_b32_e32 v7, 0
	s_addc_u32 s21, s17, s1
	s_and_b32 s24, s23, 0x7ffffff8
	v_add_u32_e32 v4, 0x140, v0
	s_mov_b32 s25, 0
	s_mov_b32 s26, 0x3fb8aa3b
	;; [unrolled: 1-line block ×4, first 2 shown]
	v_mov_b32_e32 v8, 0x7f800000
	s_mov_b32 s29, 0
	v_mov_b32_e32 v2, v7
	v_mov_b32_e32 v3, v7
.LBB13_24:                              ; =>This Inner Loop Header: Depth=1
	v_add_u32_e32 v6, 0xfffffec0, v4
	v_mov_b32_e32 v9, s25
	v_lshl_add_u64 v[26:27], v[6:7], 2, s[20:21]
	v_add_u32_e32 v6, 0xffffff10, v4
	ds_read2_b64 v[10:13], v9 offset1:1
	ds_read2_b64 v[14:17], v9 offset0:2 offset1:3
	ds_read2_b64 v[18:21], v9 offset0:4 offset1:5
	;; [unrolled: 1-line block ×3, first 2 shown]
	v_lshl_add_u64 v[30:31], v[6:7], 2, s[20:21]
	v_add_u32_e32 v6, 0xffffff60, v4
	global_load_dword v33, v[26:27], off
	global_load_dword v35, v[30:31], off
	v_lshl_add_u64 v[26:27], v[6:7], 2, s[20:21]
	v_add_u32_e32 v6, 0xffffffb0, v4
	v_mov_b32_e32 v5, v7
	v_lshl_add_u64 v[30:31], v[6:7], 2, s[20:21]
	v_add_u32_e32 v6, 0x50, v4
	v_lshl_add_u64 v[28:29], v[4:5], 2, s[20:21]
	global_load_dword v37, v[26:27], off
	global_load_dword v39, v[30:31], off
	;; [unrolled: 1-line block ×3, first 2 shown]
	v_lshl_add_u64 v[26:27], v[6:7], 2, s[20:21]
	v_add_u32_e32 v6, 0xa0, v4
	s_waitcnt lgkmcnt(3)
	v_mov_b32_e32 v32, v11
	v_sub_f32_e32 v9, v12, v1
	v_mov_b32_e32 v34, v13
	global_load_dword v11, v[26:27], off
	v_lshl_add_u64 v[12:13], v[6:7], 2, s[20:21]
	v_add_u32_e32 v6, 0xf0, v4
	s_waitcnt lgkmcnt(2)
	v_mov_b32_e32 v36, v15
	global_load_dword v15, v[12:13], off
	v_lshl_add_u64 v[12:13], v[6:7], 2, s[20:21]
	v_mov_b32_e32 v38, v17
	global_load_dword v17, v[12:13], off
	v_sub_f32_e32 v5, v10, v1
	s_waitcnt lgkmcnt(1)
	v_mov_b32_e32 v40, v19
	v_sub_f32_e32 v19, v20, v1
	s_waitcnt lgkmcnt(0)
	v_sub_f32_e32 v20, v22, v1
	v_mul_f32_e32 v22, 0x3fb8aa3b, v5
	v_sub_f32_e32 v28, v14, v1
	v_sub_f32_e32 v29, v16, v1
	v_mov_b32_e32 v14, v23
	v_mul_f32_e32 v23, 0x3fb8aa3b, v9
	v_fma_f32 v6, v5, s26, -v22
	v_rndne_f32_e32 v42, v22
	v_sub_f32_e32 v18, v18, v1
	v_mov_b32_e32 v10, v21
	v_sub_f32_e32 v21, v24, v1
	v_mov_b32_e32 v16, v25
	v_mul_f32_e32 v24, 0x3fb8aa3b, v28
	v_mul_f32_e32 v25, 0x3fb8aa3b, v29
	v_fma_f32 v43, v9, s26, -v23
	v_rndne_f32_e32 v44, v23
	v_fmac_f32_e32 v6, 0x32a5705f, v5
	v_sub_f32_e32 v12, v22, v42
	v_mul_f32_e32 v26, 0x3fb8aa3b, v18
	v_mul_f32_e32 v27, 0x3fb8aa3b, v19
	;; [unrolled: 1-line block ×3, first 2 shown]
	v_fma_f32 v45, v28, s26, -v24
	v_rndne_f32_e32 v46, v24
	v_fma_f32 v47, v29, s26, -v25
	v_rndne_f32_e32 v48, v25
	v_fmac_f32_e32 v43, 0x32a5705f, v9
	v_sub_f32_e32 v22, v23, v44
	v_add_f32_e32 v6, v12, v6
	v_fma_f32 v49, v18, s26, -v26
	v_rndne_f32_e32 v50, v26
	v_fma_f32 v51, v19, s26, -v27
	v_rndne_f32_e32 v52, v27
	;; [unrolled: 2-line block ×3, first 2 shown]
	v_cvt_i32_f32_e32 v13, v42
	v_fmac_f32_e32 v45, 0x32a5705f, v28
	v_sub_f32_e32 v24, v24, v46
	v_fmac_f32_e32 v47, 0x32a5705f, v29
	v_sub_f32_e32 v25, v25, v48
	v_add_f32_e32 v12, v22, v43
	v_exp_f32_e32 v6, v6
	v_cvt_i32_f32_e32 v23, v44
	v_fmac_f32_e32 v49, 0x32a5705f, v18
	v_sub_f32_e32 v26, v26, v50
	v_fmac_f32_e32 v51, 0x32a5705f, v19
	v_sub_f32_e32 v27, v27, v52
	;; [unrolled: 2-line block ×3, first 2 shown]
	v_add_f32_e32 v22, v24, v45
	v_add_f32_e32 v24, v25, v47
	v_exp_f32_e32 v12, v12
	v_mul_f32_e32 v31, 0x3fb8aa3b, v21
	v_cvt_i32_f32_e32 v42, v46
	v_cvt_i32_f32_e32 v44, v48
	v_add_f32_e32 v25, v26, v49
	v_add_f32_e32 v26, v27, v51
	;; [unrolled: 1-line block ×3, first 2 shown]
	v_exp_f32_e32 v22, v22
	v_exp_f32_e32 v24, v24
	v_fma_f32 v55, v21, s26, -v31
	v_rndne_f32_e32 v56, v31
	v_cvt_i32_f32_e32 v46, v50
	v_cvt_i32_f32_e32 v48, v52
	;; [unrolled: 1-line block ×3, first 2 shown]
	v_exp_f32_e32 v25, v25
	v_exp_f32_e32 v26, v26
	;; [unrolled: 1-line block ×3, first 2 shown]
	v_fmac_f32_e32 v55, 0x32a5705f, v21
	v_sub_f32_e32 v31, v31, v56
	v_ldexp_f32 v6, v6, v13
	v_cmp_ngt_f32_e64 s[12:13], s27, v5
	v_add_f32_e32 v30, v31, v55
	v_ldexp_f32 v12, v12, v23
	v_cmp_ngt_f32_e32 vcc, s27, v9
	v_cndmask_b32_e64 v6, 0, v6, s[12:13]
	v_cmp_nlt_f32_e64 s[12:13], s28, v5
	v_cvt_i32_f32_e32 v52, v56
	v_exp_f32_e32 v30, v30
	v_ldexp_f32 v13, v22, v42
	v_cmp_ngt_f32_e64 s[0:1], s27, v28
	v_ldexp_f32 v22, v24, v44
	v_cmp_ngt_f32_e64 s[2:3], s27, v29
	v_cndmask_b32_e32 v12, 0, v12, vcc
	v_cmp_nlt_f32_e32 vcc, s28, v9
	v_cndmask_b32_e64 v6, v8, v6, s[12:13]
	v_ldexp_f32 v23, v25, v46
	v_cmp_ngt_f32_e64 s[4:5], s27, v18
	v_ldexp_f32 v24, v26, v48
	v_cmp_ngt_f32_e64 s[6:7], s27, v19
	;; [unrolled: 2-line block ×3, first 2 shown]
	v_cndmask_b32_e64 v9, 0, v13, s[0:1]
	v_cmp_nlt_f32_e64 s[0:1], s28, v28
	v_cndmask_b32_e64 v13, 0, v22, s[2:3]
	v_cndmask_b32_e32 v12, v8, v12, vcc
	s_waitcnt vmcnt(7)
	v_pk_fma_f32 v[2:3], v[6:7], v[32:33], v[2:3] op_sel_hi:[0,1,1]
	v_cmp_nlt_f32_e64 s[2:3], s28, v29
	v_cndmask_b32_e64 v22, 0, v23, s[4:5]
	v_cmp_nlt_f32_e64 s[4:5], s28, v18
	v_cndmask_b32_e64 v23, 0, v24, s[6:7]
	;; [unrolled: 2-line block ×3, first 2 shown]
	v_cndmask_b32_e64 v18, v8, v9, s[0:1]
	s_waitcnt vmcnt(6)
	v_pk_fma_f32 v[2:3], v[12:13], v[34:35], v[2:3] op_sel_hi:[0,1,1]
	v_cmp_nlt_f32_e64 s[8:9], s28, v20
	v_cndmask_b32_e64 v20, v8, v13, s[2:3]
	s_waitcnt vmcnt(5)
	v_pk_fma_f32 v[2:3], v[18:19], v[36:37], v[2:3] op_sel_hi:[0,1,1]
	v_ldexp_f32 v26, v30, v52
	v_cmp_ngt_f32_e64 s[10:11], s27, v21
	v_cndmask_b32_e64 v22, v8, v22, s[4:5]
	s_waitcnt vmcnt(4)
	v_pk_fma_f32 v[2:3], v[20:21], v[38:39], v[2:3] op_sel_hi:[0,1,1]
	v_cndmask_b32_e64 v25, 0, v26, s[10:11]
	v_cndmask_b32_e64 v24, v8, v23, s[6:7]
	s_waitcnt vmcnt(3)
	v_pk_fma_f32 v[2:3], v[22:23], v[40:41], v[2:3] op_sel_hi:[0,1,1]
	v_cmp_nlt_f32_e64 s[10:11], s28, v21
	v_cndmask_b32_e64 v26, v8, v19, s[8:9]
	s_waitcnt vmcnt(2)
	v_pk_fma_f32 v[2:3], v[24:25], v[10:11], v[2:3] op_sel_hi:[0,1,1]
	s_add_i32 s29, s29, 8
	s_add_i32 s25, s25, 64
	v_cndmask_b32_e64 v28, v8, v25, s[10:11]
	s_waitcnt vmcnt(1)
	v_pk_fma_f32 v[2:3], v[26:27], v[14:15], v[2:3] op_sel_hi:[0,1,1]
	s_cmp_eq_u32 s24, s29
	v_add_u32_e32 v4, 0x280, v4
	s_waitcnt vmcnt(0)
	v_pk_fma_f32 v[2:3], v[28:29], v[16:17], v[2:3] op_sel_hi:[0,1,1]
	s_cbranch_scc0 .LBB13_24
; %bb.25:
	s_and_b32 s2, s23, 7
	s_cmp_eq_u32 s2, 0
	s_cbranch_scc0 .LBB13_28
	s_branch .LBB13_30
.LBB13_26:
	s_waitcnt lgkmcnt(0)
	v_mov_b32_e32 v1, 0x7fc00000
	s_branch .LBB13_31
.LBB13_27:
	v_mov_b32_e32 v2, 0
	s_mov_b32 s24, 0
	v_mov_b32_e32 v3, v2
	s_and_b32 s2, s23, 7
	s_cmp_eq_u32 s2, 0
	s_cbranch_scc1 .LBB13_30
.LBB13_28:
	s_lshl_b64 s[0:1], s[18:19], 2
	s_mul_i32 s3, s24, 0x50
	s_add_u32 s0, s16, s0
	v_add_u32_e32 v4, s3, v0
	v_mov_b32_e32 v5, 0
	s_addc_u32 s1, s17, s1
	v_lshl_add_u64 v[4:5], v[4:5], 2, s[0:1]
	s_lshl_b32 s0, s24, 3
	s_add_i32 s3, s0, 0
	s_mov_b32 s4, 0x3fb8aa3b
	s_mov_b32 s5, 0xc2ce8ed0
	;; [unrolled: 1-line block ×3, first 2 shown]
	v_mov_b32_e32 v6, 0x7f800000
	s_mov_b64 s[0:1], 0x140
.LBB13_29:                              ; =>This Inner Loop Header: Depth=1
	global_load_dword v9, v[4:5], off
	v_mov_b32_e32 v7, s3
	ds_read_b64 v[10:11], v7
	s_add_i32 s3, s3, 8
	s_add_i32 s2, s2, -1
	v_lshl_add_u64 v[4:5], v[4:5], 0, s[0:1]
	s_cmp_lg_u32 s2, 0
	s_waitcnt lgkmcnt(0)
	v_sub_f32_e32 v7, v10, v1
	v_mul_f32_e32 v8, 0x3fb8aa3b, v7
	v_fma_f32 v10, v7, s4, -v8
	v_rndne_f32_e32 v12, v8
	v_fmac_f32_e32 v10, 0x32a5705f, v7
	v_sub_f32_e32 v8, v8, v12
	v_add_f32_e32 v8, v8, v10
	v_cvt_i32_f32_e32 v12, v12
	v_exp_f32_e32 v10, v8
	v_cmp_ngt_f32_e32 vcc, s5, v7
	v_mov_b32_e32 v8, v11
	v_ldexp_f32 v10, v10, v12
	v_cndmask_b32_e32 v10, 0, v10, vcc
	v_cmp_nlt_f32_e32 vcc, s6, v7
	s_nop 1
	v_cndmask_b32_e32 v10, v6, v10, vcc
	s_waitcnt vmcnt(0)
	v_pk_fma_f32 v[2:3], v[10:11], v[8:9], v[2:3] op_sel_hi:[0,1,1]
	s_cbranch_scc1 .LBB13_29
.LBB13_30:
	s_waitcnt lgkmcnt(0)
	v_div_scale_f32 v1, s[0:1], v2, v2, v3
	v_rcp_f32_e32 v4, v1
	v_div_scale_f32 v5, vcc, v3, v2, v3
	v_fma_f32 v6, -v1, v4, 1.0
	v_fmac_f32_e32 v4, v6, v4
	v_mul_f32_e32 v6, v5, v4
	v_fma_f32 v7, -v1, v6, v5
	v_fmac_f32_e32 v6, v7, v4
	v_fma_f32 v1, -v1, v6, v5
	v_div_fmas_f32 v1, v1, v4, v6
	v_div_fixup_f32 v1, v1, v2, v3
.LBB13_31:
	s_mul_i32 s0, s22, 0x50
	s_ashr_i32 s1, s0, 31
	s_lshl_b64 s[0:1], s[0:1], 2
	s_add_u32 s0, s14, s0
	s_addc_u32 s1, s15, s1
	v_lshlrev_b32_e32 v0, 2, v0
	global_store_dword v0, v1, s[0:1]
	s_endpgm
	.section	.rodata,"a",@progbits
	.p2align	6, 0x0
	.amdhsa_kernel _ZL26flash_attn_combine_resultsILi80EEvPKfPK15HIP_vector_typeIfLj2EEPfi
		.amdhsa_group_segment_fixed_size 0
		.amdhsa_private_segment_fixed_size 0
		.amdhsa_kernarg_size 288
		.amdhsa_user_sgpr_count 2
		.amdhsa_user_sgpr_dispatch_ptr 0
		.amdhsa_user_sgpr_queue_ptr 0
		.amdhsa_user_sgpr_kernarg_segment_ptr 1
		.amdhsa_user_sgpr_dispatch_id 0
		.amdhsa_user_sgpr_kernarg_preload_length 0
		.amdhsa_user_sgpr_kernarg_preload_offset 0
		.amdhsa_user_sgpr_private_segment_size 0
		.amdhsa_uses_dynamic_stack 0
		.amdhsa_enable_private_segment 0
		.amdhsa_system_sgpr_workgroup_id_x 1
		.amdhsa_system_sgpr_workgroup_id_y 1
		.amdhsa_system_sgpr_workgroup_id_z 1
		.amdhsa_system_sgpr_workgroup_info 0
		.amdhsa_system_vgpr_workitem_id 0
		.amdhsa_next_free_vgpr 57
		.amdhsa_next_free_sgpr 30
		.amdhsa_accum_offset 60
		.amdhsa_reserve_vcc 1
		.amdhsa_float_round_mode_32 0
		.amdhsa_float_round_mode_16_64 0
		.amdhsa_float_denorm_mode_32 3
		.amdhsa_float_denorm_mode_16_64 3
		.amdhsa_dx10_clamp 1
		.amdhsa_ieee_mode 1
		.amdhsa_fp16_overflow 0
		.amdhsa_tg_split 0
		.amdhsa_exception_fp_ieee_invalid_op 0
		.amdhsa_exception_fp_denorm_src 0
		.amdhsa_exception_fp_ieee_div_zero 0
		.amdhsa_exception_fp_ieee_overflow 0
		.amdhsa_exception_fp_ieee_underflow 0
		.amdhsa_exception_fp_ieee_inexact 0
		.amdhsa_exception_int_div_zero 0
	.end_amdhsa_kernel
	.section	.text._ZL26flash_attn_combine_resultsILi80EEvPKfPK15HIP_vector_typeIfLj2EEPfi,"axG",@progbits,_ZL26flash_attn_combine_resultsILi80EEvPKfPK15HIP_vector_typeIfLj2EEPfi,comdat
.Lfunc_end13:
	.size	_ZL26flash_attn_combine_resultsILi80EEvPKfPK15HIP_vector_typeIfLj2EEPfi, .Lfunc_end13-_ZL26flash_attn_combine_resultsILi80EEvPKfPK15HIP_vector_typeIfLj2EEPfi
                                        ; -- End function
	.set _ZL26flash_attn_combine_resultsILi80EEvPKfPK15HIP_vector_typeIfLj2EEPfi.num_vgpr, 57
	.set _ZL26flash_attn_combine_resultsILi80EEvPKfPK15HIP_vector_typeIfLj2EEPfi.num_agpr, 0
	.set _ZL26flash_attn_combine_resultsILi80EEvPKfPK15HIP_vector_typeIfLj2EEPfi.numbered_sgpr, 30
	.set _ZL26flash_attn_combine_resultsILi80EEvPKfPK15HIP_vector_typeIfLj2EEPfi.num_named_barrier, 0
	.set _ZL26flash_attn_combine_resultsILi80EEvPKfPK15HIP_vector_typeIfLj2EEPfi.private_seg_size, 0
	.set _ZL26flash_attn_combine_resultsILi80EEvPKfPK15HIP_vector_typeIfLj2EEPfi.uses_vcc, 1
	.set _ZL26flash_attn_combine_resultsILi80EEvPKfPK15HIP_vector_typeIfLj2EEPfi.uses_flat_scratch, 0
	.set _ZL26flash_attn_combine_resultsILi80EEvPKfPK15HIP_vector_typeIfLj2EEPfi.has_dyn_sized_stack, 0
	.set _ZL26flash_attn_combine_resultsILi80EEvPKfPK15HIP_vector_typeIfLj2EEPfi.has_recursion, 0
	.set _ZL26flash_attn_combine_resultsILi80EEvPKfPK15HIP_vector_typeIfLj2EEPfi.has_indirect_call, 0
	.section	.AMDGPU.csdata,"",@progbits
; Kernel info:
; codeLenInByte = 3032
; TotalNumSgprs: 36
; NumVgprs: 57
; NumAgprs: 0
; TotalNumVgprs: 57
; ScratchSize: 0
; MemoryBound: 0
; FloatMode: 240
; IeeeMode: 1
; LDSByteSize: 0 bytes/workgroup (compile time only)
; SGPRBlocks: 4
; VGPRBlocks: 7
; NumSGPRsForWavesPerEU: 36
; NumVGPRsForWavesPerEU: 57
; AccumOffset: 60
; Occupancy: 8
; WaveLimiterHint : 0
; COMPUTE_PGM_RSRC2:SCRATCH_EN: 0
; COMPUTE_PGM_RSRC2:USER_SGPR: 2
; COMPUTE_PGM_RSRC2:TRAP_HANDLER: 0
; COMPUTE_PGM_RSRC2:TGID_X_EN: 1
; COMPUTE_PGM_RSRC2:TGID_Y_EN: 1
; COMPUTE_PGM_RSRC2:TGID_Z_EN: 1
; COMPUTE_PGM_RSRC2:TIDIG_COMP_CNT: 0
; COMPUTE_PGM_RSRC3_GFX90A:ACCUM_OFFSET: 14
; COMPUTE_PGM_RSRC3_GFX90A:TG_SPLIT: 0
	.section	.text._ZL18flash_attn_ext_f16ILi96ELi96ELi32ELi1ELb0ELb0EEvPKcS1_S1_S1_S1_PKiPfP15HIP_vector_typeIfLj2EEffffjfiS5_IjLj3EEiiiiiiiiiiiliiliiiiil,"axG",@progbits,_ZL18flash_attn_ext_f16ILi96ELi96ELi32ELi1ELb0ELb0EEvPKcS1_S1_S1_S1_PKiPfP15HIP_vector_typeIfLj2EEffffjfiS5_IjLj3EEiiiiiiiiiiiliiliiiiil,comdat
	.globl	_ZL18flash_attn_ext_f16ILi96ELi96ELi32ELi1ELb0ELb0EEvPKcS1_S1_S1_S1_PKiPfP15HIP_vector_typeIfLj2EEffffjfiS5_IjLj3EEiiiiiiiiiiiliiliiiiil ; -- Begin function _ZL18flash_attn_ext_f16ILi96ELi96ELi32ELi1ELb0ELb0EEvPKcS1_S1_S1_S1_PKiPfP15HIP_vector_typeIfLj2EEffffjfiS5_IjLj3EEiiiiiiiiiiiliiliiiiil
	.p2align	8
	.type	_ZL18flash_attn_ext_f16ILi96ELi96ELi32ELi1ELb0ELb0EEvPKcS1_S1_S1_S1_PKiPfP15HIP_vector_typeIfLj2EEffffjfiS5_IjLj3EEiiiiiiiiiiiliiliiiiil,@function
_ZL18flash_attn_ext_f16ILi96ELi96ELi32ELi1ELb0ELb0EEvPKcS1_S1_S1_S1_PKiPfP15HIP_vector_typeIfLj2EEffffjfiS5_IjLj3EEiiiiiiiiiiiliiliiiiil: ; @_ZL18flash_attn_ext_f16ILi96ELi96ELi32ELi1ELb0ELb0EEvPKcS1_S1_S1_S1_PKiPfP15HIP_vector_typeIfLj2EEffffjfiS5_IjLj3EEiiiiiiiiiiiliiliiiiil
; %bb.0:
	s_load_dwordx2 s[10:11], s[0:1], 0x80
	s_load_dwordx4 s[72:75], s[0:1], 0x64
	s_mov_b32 s53, s2
                                        ; implicit-def: $vgpr215 : SGPR spill to VGPR lane
	s_load_dword s52, s[0:1], 0xd0
	s_mov_b32 s4, 0
	s_waitcnt lgkmcnt(0)
	s_abs_i32 s2, s11
	v_cvt_f32_u32_e32 v1, s2
	s_sub_i32 s6, 0, s2
	s_abs_i32 s5, s73
	s_xor_b32 s3, s73, s11
	v_rcp_iflag_f32_e32 v1, v1
	s_ashr_i32 s3, s3, 31
	v_mul_f32_e32 v1, 0x4f7ffffe, v1
	v_cvt_u32_f32_e32 v1, v1
	s_nop 0
	v_readfirstlane_b32 s7, v1
	s_mul_i32 s6, s6, s7
	s_mul_hi_u32 s6, s7, s6
	s_add_i32 s7, s7, s6
	s_mul_hi_u32 s6, s5, s7
	s_mul_i32 s7, s6, s2
	s_sub_i32 s5, s5, s7
	s_add_i32 s8, s6, 1
	s_sub_i32 s7, s5, s2
	s_cmp_ge_u32 s5, s2
	s_cselect_b32 s6, s8, s6
	s_cselect_b32 s5, s7, s5
	s_add_i32 s7, s6, 1
	s_cmp_ge_u32 s5, s2
	s_cselect_b32 s2, s7, s6
	s_add_i32 s5, s10, 63
	s_xor_b32 s2, s2, s3
	s_ashr_i32 s6, s5, 31
	s_sub_i32 s3, s2, s3
	s_lshr_b32 s2, s6, 26
	s_add_i32 s5, s5, s2
	s_add_i32 s2, s72, 31
	s_lshr_b32 s2, s2, 5
	s_ashr_i32 s5, s5, 6
	v_writelane_b32 v215, s2, 0
	v_writelane_b32 v215, s5, 1
	s_mul_i32 s2, s2, s5
	v_writelane_b32 v215, s3, 2
	v_writelane_b32 v215, s2, 3
	s_mul_i32 s3, s2, s3
	s_mov_b32 s2, s10
	v_writelane_b32 v215, s2, 4
	s_nop 1
	v_writelane_b32 v215, s3, 5
	s_mul_i32 s2, s3, s11
	s_mul_i32 s8, s2, s74
	v_writelane_b32 v215, s3, 6
	s_ashr_i32 s9, s8, 31
	v_writelane_b32 v215, s2, 7
	s_mul_i32 s2, s9, s53
	s_mul_hi_u32 s3, s8, s53
	s_add_i32 s5, s3, s2
	s_cmp_lg_u64 s[4:5], 0
	s_mul_i32 s4, s8, s53
	s_cbranch_scc0 .LBB14_2
; %bb.1:
	s_add_u32 s2, s52, 0
	s_addc_u32 s3, 0, 0
	s_xor_b64 s[6:7], s[2:3], 0
	v_cvt_f32_u32_e32 v1, s6
	v_cvt_f32_u32_e32 v2, s7
	s_sub_u32 s12, 0, s6
	s_subb_u32 s13, 0, s7
	s_mov_b64 s[2:3], 0
	v_fmamk_f32 v1, v2, 0x4f800000, v1
	v_rcp_f32_e32 v1, v1
	s_nop 0
	v_mul_f32_e32 v1, 0x5f7ffffc, v1
	v_mul_f32_e32 v2, 0x2f800000, v1
	v_trunc_f32_e32 v2, v2
	v_fmamk_f32 v1, v2, 0xcf800000, v1
	v_cvt_u32_f32_e32 v2, v2
	v_cvt_u32_f32_e32 v1, v1
	v_readfirstlane_b32 s14, v2
	v_readfirstlane_b32 s10, v1
	s_mul_i32 s11, s12, s14
	s_mul_hi_u32 s16, s12, s10
	s_mul_i32 s15, s13, s10
	s_add_i32 s11, s16, s11
	s_add_i32 s11, s11, s15
	s_mul_i32 s17, s12, s10
	s_mul_i32 s16, s10, s11
	s_mul_hi_u32 s18, s10, s17
	s_mul_hi_u32 s15, s10, s11
	s_add_u32 s16, s18, s16
	s_addc_u32 s15, 0, s15
	s_mul_hi_u32 s19, s14, s17
	s_mul_i32 s17, s14, s17
	s_add_u32 s16, s16, s17
	s_mul_hi_u32 s18, s14, s11
	s_addc_u32 s15, s15, s19
	s_addc_u32 s16, s18, 0
	s_mul_i32 s11, s14, s11
	s_add_u32 s11, s15, s11
	s_addc_u32 s15, 0, s16
	s_add_u32 s16, s10, s11
	s_cselect_b64 s[10:11], -1, 0
	s_cmp_lg_u64 s[10:11], 0
	s_addc_u32 s14, s14, s15
	s_mul_i32 s10, s12, s14
	s_mul_hi_u32 s11, s12, s16
	s_add_i32 s10, s11, s10
	s_mul_i32 s13, s13, s16
	s_add_i32 s10, s10, s13
	s_mul_i32 s12, s12, s16
	s_mul_hi_u32 s13, s14, s12
	s_mul_i32 s15, s14, s12
	s_mul_i32 s18, s16, s10
	s_mul_hi_u32 s12, s16, s12
	s_mul_hi_u32 s17, s16, s10
	s_add_u32 s12, s12, s18
	s_addc_u32 s17, 0, s17
	s_add_u32 s12, s12, s15
	s_mul_hi_u32 s11, s14, s10
	s_addc_u32 s12, s17, s13
	s_addc_u32 s11, s11, 0
	s_mul_i32 s10, s14, s10
	s_add_u32 s10, s12, s10
	s_addc_u32 s12, 0, s11
	s_add_u32 s15, s16, s10
	s_cselect_b64 s[10:11], -1, 0
	s_cmp_lg_u64 s[10:11], 0
	s_addc_u32 s14, s14, s12
	s_ashr_i32 s10, s5, 31
	s_add_u32 s12, s4, s10
	s_mov_b32 s11, s10
	s_addc_u32 s13, s5, s10
	s_xor_b64 s[12:13], s[12:13], s[10:11]
	s_mul_i32 s16, s12, s14
	s_mul_hi_u32 s17, s12, s15
	s_mul_hi_u32 s5, s12, s14
	s_add_u32 s16, s17, s16
	s_addc_u32 s5, 0, s5
	s_mul_hi_u32 s18, s13, s15
	s_mul_i32 s15, s13, s15
	s_add_u32 s15, s16, s15
	s_mul_hi_u32 s17, s13, s14
	s_addc_u32 s5, s5, s18
	s_addc_u32 s15, s17, 0
	s_mul_i32 s14, s13, s14
	s_add_u32 s5, s5, s14
	s_addc_u32 s18, 0, s15
	s_mul_i32 s14, s6, s18
	s_mul_hi_u32 s15, s6, s5
	s_add_i32 s14, s15, s14
	s_mul_i32 s15, s7, s5
	s_add_i32 s19, s14, s15
	s_sub_i32 s16, s13, s19
	s_mul_i32 s14, s6, s5
	s_sub_u32 s12, s12, s14
	s_cselect_b64 s[14:15], -1, 0
	s_cmp_lg_u64 s[14:15], 0
	s_subb_u32 s20, s16, s7
	s_sub_u32 s21, s12, s6
	s_cselect_b64 s[16:17], -1, 0
	s_cmp_lg_u64 s[16:17], 0
	s_subb_u32 s16, s20, 0
	s_cmp_ge_u32 s16, s7
	s_cselect_b32 s17, -1, 0
	s_cmp_ge_u32 s21, s6
	s_cselect_b32 s20, -1, 0
	s_cmp_eq_u32 s16, s7
	s_cselect_b32 s16, s20, s17
	s_add_u32 s17, s5, 1
	s_addc_u32 s20, s18, 0
	s_add_u32 s21, s5, 2
	s_addc_u32 s22, s18, 0
	s_cmp_lg_u32 s16, 0
	s_cselect_b32 s16, s21, s17
	s_cselect_b32 s17, s22, s20
	s_cmp_lg_u64 s[14:15], 0
	s_subb_u32 s13, s13, s19
	s_cmp_ge_u32 s13, s7
	s_cselect_b32 s14, -1, 0
	s_cmp_ge_u32 s12, s6
	s_cselect_b32 s6, -1, 0
	s_cmp_eq_u32 s13, s7
	s_cselect_b32 s6, s6, s14
	s_cmp_lg_u32 s6, 0
	s_cselect_b32 s7, s17, s18
	s_cselect_b32 s6, s16, s5
	s_xor_b64 s[10:11], s[10:11], 0
	s_xor_b64 s[6:7], s[6:7], s[10:11]
	s_sub_u32 s96, s6, s10
	s_branch .LBB14_3
.LBB14_2:
	s_mov_b64 s[2:3], -1
                                        ; implicit-def: $sgpr96_sgpr97
.LBB14_3:
	s_load_dwordx2 s[6:7], s[0:1], 0x74
	v_cvt_f32_u32_e32 v1, s52
	s_andn2_b64 vcc, exec, s[2:3]
	s_waitcnt lgkmcnt(0)
	v_writelane_b32 v215, s6, 8
	s_nop 1
	v_writelane_b32 v215, s7, 9
	s_cbranch_vccnz .LBB14_5
; %bb.4:
	v_rcp_iflag_f32_e32 v2, v1
	s_sub_i32 s2, 0, s52
	v_mul_f32_e32 v2, 0x4f7ffffe, v2
	v_cvt_u32_f32_e32 v2, v2
	s_nop 0
	v_readfirstlane_b32 s3, v2
	s_mul_i32 s2, s2, s3
	s_mul_hi_u32 s2, s3, s2
	s_add_i32 s3, s3, s2
	s_mul_hi_u32 s2, s4, s3
	s_mul_i32 s5, s2, s52
	s_sub_i32 s4, s4, s5
	s_add_i32 s3, s2, 1
	s_sub_i32 s5, s4, s52
	s_cmp_ge_u32 s4, s52
	s_cselect_b32 s2, s3, s2
	s_cselect_b32 s4, s5, s4
	s_add_i32 s3, s2, 1
	s_cmp_ge_u32 s4, s52
	s_cselect_b32 s96, s3, s2
.LBB14_5:
	s_add_i32 s2, s53, 1
	s_mul_i32 s3, s9, s2
	s_mul_hi_u32 s4, s8, s2
	s_add_i32 s7, s4, s3
	s_mov_b32 s6, 0
	s_cmp_lg_u64 s[6:7], 0
	s_mul_i32 s6, s8, s2
	s_cbranch_scc0 .LBB14_296
; %bb.6:
	s_add_u32 s2, s52, 0
	s_addc_u32 s3, 0, 0
	s_xor_b64 s[4:5], s[2:3], 0
	v_cvt_f32_u32_e32 v2, s4
	v_cvt_f32_u32_e32 v3, s5
	s_sub_u32 s10, 0, s4
	s_subb_u32 s11, 0, s5
	v_fmamk_f32 v2, v3, 0x4f800000, v2
	v_rcp_f32_e32 v2, v2
	s_nop 0
	v_mul_f32_e32 v2, 0x5f7ffffc, v2
	v_mul_f32_e32 v3, 0x2f800000, v2
	v_trunc_f32_e32 v3, v3
	v_fmamk_f32 v2, v3, 0xcf800000, v2
	v_cvt_u32_f32_e32 v3, v3
	v_cvt_u32_f32_e32 v2, v2
	v_readfirstlane_b32 s12, v3
	v_readfirstlane_b32 s8, v2
	s_mul_i32 s9, s10, s12
	s_mul_hi_u32 s14, s10, s8
	s_mul_i32 s13, s11, s8
	s_add_i32 s9, s14, s9
	s_add_i32 s9, s9, s13
	s_mul_i32 s15, s10, s8
	s_mul_i32 s14, s8, s9
	s_mul_hi_u32 s16, s8, s15
	s_mul_hi_u32 s13, s8, s9
	s_add_u32 s14, s16, s14
	s_addc_u32 s13, 0, s13
	s_mul_hi_u32 s17, s12, s15
	s_mul_i32 s15, s12, s15
	s_add_u32 s14, s14, s15
	s_mul_hi_u32 s16, s12, s9
	s_addc_u32 s13, s13, s17
	s_addc_u32 s14, s16, 0
	s_mul_i32 s9, s12, s9
	s_add_u32 s9, s13, s9
	s_addc_u32 s13, 0, s14
	s_add_u32 s14, s8, s9
	s_cselect_b64 s[8:9], -1, 0
	s_cmp_lg_u64 s[8:9], 0
	s_addc_u32 s12, s12, s13
	s_mul_i32 s8, s10, s12
	s_mul_hi_u32 s9, s10, s14
	s_add_i32 s8, s9, s8
	s_mul_i32 s11, s11, s14
	s_add_i32 s8, s8, s11
	s_mul_i32 s10, s10, s14
	s_mul_hi_u32 s11, s12, s10
	s_mul_i32 s13, s12, s10
	s_mul_i32 s16, s14, s8
	s_mul_hi_u32 s10, s14, s10
	s_mul_hi_u32 s15, s14, s8
	s_add_u32 s10, s10, s16
	s_addc_u32 s15, 0, s15
	s_add_u32 s10, s10, s13
	s_mul_hi_u32 s9, s12, s8
	s_addc_u32 s10, s15, s11
	s_addc_u32 s9, s9, 0
	s_mul_i32 s8, s12, s8
	s_add_u32 s8, s10, s8
	s_addc_u32 s10, 0, s9
	s_add_u32 s13, s14, s8
	s_cselect_b64 s[8:9], -1, 0
	s_cmp_lg_u64 s[8:9], 0
	s_addc_u32 s12, s12, s10
	s_ashr_i32 s8, s7, 31
	s_add_u32 s10, s6, s8
	s_mov_b32 s9, s8
	s_addc_u32 s11, s7, s8
	s_xor_b64 s[10:11], s[10:11], s[8:9]
	s_mul_i32 s14, s10, s12
	s_mul_hi_u32 s15, s10, s13
	s_mul_hi_u32 s7, s10, s12
	s_add_u32 s14, s15, s14
	s_addc_u32 s7, 0, s7
	s_mul_hi_u32 s16, s11, s13
	s_mul_i32 s13, s11, s13
	s_add_u32 s13, s14, s13
	s_mul_hi_u32 s15, s11, s12
	s_addc_u32 s7, s7, s16
	s_addc_u32 s13, s15, 0
	s_mul_i32 s12, s11, s12
	s_add_u32 s7, s7, s12
	s_addc_u32 s16, 0, s13
	s_mul_i32 s12, s4, s16
	s_mul_hi_u32 s13, s4, s7
	s_add_i32 s12, s13, s12
	s_mul_i32 s13, s5, s7
	s_add_i32 s17, s12, s13
	s_sub_i32 s14, s11, s17
	s_mul_i32 s12, s4, s7
	s_sub_u32 s10, s10, s12
	s_cselect_b64 s[12:13], -1, 0
	s_cmp_lg_u64 s[12:13], 0
	s_subb_u32 s18, s14, s5
	s_sub_u32 s19, s10, s4
	s_cselect_b64 s[14:15], -1, 0
	s_cmp_lg_u64 s[14:15], 0
	s_subb_u32 s14, s18, 0
	s_cmp_ge_u32 s14, s5
	s_cselect_b32 s15, -1, 0
	s_cmp_ge_u32 s19, s4
	s_cselect_b32 s18, -1, 0
	s_cmp_eq_u32 s14, s5
	s_cselect_b32 s14, s18, s15
	s_add_u32 s15, s7, 1
	s_addc_u32 s18, s16, 0
	s_add_u32 s19, s7, 2
	s_addc_u32 s20, s16, 0
	s_cmp_lg_u32 s14, 0
	s_cselect_b32 s14, s19, s15
	s_cselect_b32 s15, s20, s18
	s_cmp_lg_u64 s[12:13], 0
	s_subb_u32 s11, s11, s17
	s_cmp_ge_u32 s11, s5
	s_cselect_b32 s12, -1, 0
	s_cmp_ge_u32 s10, s4
	s_cselect_b32 s4, -1, 0
	s_cmp_eq_u32 s11, s5
	s_cselect_b32 s4, s4, s12
	s_cmp_lg_u32 s4, 0
	s_cselect_b32 s5, s15, s16
	s_cselect_b32 s4, s14, s7
	s_xor_b64 s[8:9], s[8:9], 0
	s_xor_b64 s[4:5], s[4:5], s[8:9]
	s_sub_u32 s4, s4, s8
	v_writelane_b32 v215, s4, 10
	s_nop 1
	v_writelane_b32 v215, s5, 11
	s_load_dwordx2 s[86:87], s[0:1], 0x5c
	s_cbranch_execnz .LBB14_8
.LBB14_7:
	v_rcp_iflag_f32_e32 v1, v1
	s_sub_i32 s2, 0, s52
	v_mul_f32_e32 v1, 0x4f7ffffe, v1
	v_cvt_u32_f32_e32 v1, v1
	s_nop 0
	v_readfirstlane_b32 s3, v1
	s_mul_i32 s2, s2, s3
	s_mul_hi_u32 s2, s3, s2
	s_add_i32 s3, s3, s2
	s_mul_hi_u32 s2, s6, s3
	s_mul_i32 s4, s2, s52
	s_sub_i32 s4, s6, s4
	s_add_i32 s3, s2, 1
	s_sub_i32 s5, s4, s52
	s_cmp_ge_u32 s4, s52
	s_cselect_b32 s2, s3, s2
	s_cselect_b32 s4, s5, s4
	s_add_i32 s3, s2, 1
	s_cmp_ge_u32 s4, s52
	s_cselect_b32 s2, s3, s2
	v_writelane_b32 v215, s2, 10
	s_nop 1
	v_writelane_b32 v215, s3, 11
.LBB14_8:
	s_load_dwordx16 s[56:71], s[0:1], 0x0
	s_load_dwordx4 s[12:15], s[0:1], 0x40
	s_load_dword s2, s[0:1], 0x50
	s_ashr_i32 s48, s75, 3
	v_bfe_u32 v112, v0, 10, 10
	v_bfe_u32 v113, v0, 5, 5
	s_waitcnt lgkmcnt(0)
	v_cvt_f16_f32_e32 v39, s12
	v_writelane_b32 v215, s2, 12
	s_load_dwordx2 s[2:3], s[0:1], 0x8c
	s_load_dwordx4 s[4:7], s[0:1], 0x98
	s_load_dwordx2 s[8:9], s[0:1], 0xa8
	s_load_dwordx2 s[16:17], s[0:1], 0xb8
	s_nop 0
	s_load_dwordx2 s[0:1], s[0:1], 0xc8
	v_lshlrev_b32_e32 v35, 1, v112
	s_waitcnt lgkmcnt(0)
	s_ashr_i32 s74, s2, 2
	s_ashr_i32 s54, s6, 2
	v_writelane_b32 v215, s8, 13
	s_ashr_i32 s76, s17, 1
	v_and_b32_e32 v34, 31, v0
	v_writelane_b32 v215, s9, 14
	v_writelane_b32 v215, s0, 15
	v_lshlrev_b32_e32 v115, 3, v112
	v_lshlrev_b32_e32 v114, 4, v112
	v_writelane_b32 v215, s1, 16
	s_mov_b32 s1, s3
	v_readlane_b32 s8, v215, 1
	s_abs_i32 s33, s8
	v_cvt_f32_u32_e32 v1, s33
	v_writelane_b32 v215, s0, 17
	s_mov_b32 s3, s7
	v_mbcnt_lo_u32_b32 v116, -1, 0
	v_rcp_iflag_f32_e32 v1, v1
	v_writelane_b32 v215, s1, 18
	s_mov_b64 s[0:1], s[4:5]
	v_writelane_b32 v215, s0, 19
	v_mul_f32_e32 v1, 0x4f7ffffe, v1
	v_cvt_u32_f32_e32 v1, v1
	v_writelane_b32 v215, s1, 20
	v_writelane_b32 v215, s2, 21
	;; [unrolled: 1-line block ×3, first 2 shown]
	s_sub_i32 s2, 0, s33
	v_readfirstlane_b32 s4, v1
	s_mul_i32 s2, s2, s4
	s_ashr_i32 s1, s8, 31
	s_mul_hi_u32 s2, s4, s2
	v_writelane_b32 v215, s1, 23
	s_abs_i32 s1, s96
	s_add_i32 s43, s4, s2
	s_mul_hi_u32 s2, s1, s43
	s_mul_i32 s2, s2, s33
	s_sub_i32 s1, s1, s2
	s_ashr_i32 s0, s96, 31
	s_sub_i32 s2, s1, s33
	s_cmp_ge_u32 s1, s33
	s_cselect_b32 s1, s2, s1
	s_sub_i32 s2, s1, s33
	s_cmp_ge_u32 s1, s33
	s_cselect_b32 s1, s2, s1
	s_xor_b32 s1, s1, s0
	s_sub_i32 s42, s1, s0
	v_readlane_b32 s0, v215, 10
	s_mov_b32 s4, s0
	s_sub_i32 s0, s0, s96
	s_add_i32 s2, s0, s42
	s_min_i32 s88, s8, s2
	s_cmp_gt_i32 s4, s96
	v_readlane_b32 s1, v215, 11
	s_cselect_b64 s[28:29], -1, 0
	s_cmp_le_i32 s4, s96
	s_cselect_b64 s[0:1], -1, 0
	s_cmp_gt_i32 s8, s2
	s_cselect_b64 s[4:5], -1, 0
	s_or_b64 s[0:1], s[4:5], s[0:1]
	s_mov_b32 s3, 0
	s_and_b64 vcc, exec, s[0:1]
	s_cbranch_vccz .LBB14_11
; %bb.9:
	s_andn2_b64 vcc, exec, s[28:29]
	s_cbranch_vccz .LBB14_254
.LBB14_10:
	s_endpgm
.LBB14_11:
	s_cmp_lg_u64 s[62:63], 0
	v_writelane_b32 v215, s52, 24
	s_cselect_b64 s[0:1], -1, 0
	v_writelane_b32 v215, s0, 25
	s_cmp_eq_u64 s[64:65], 0
	s_mov_b64 s[6:7], s[14:15]
	v_writelane_b32 v215, s1, 26
	s_mul_i32 s0, s72, s73
	v_writelane_b32 v215, s0, 27
	s_cselect_b64 s[0:1], -1, 0
	v_writelane_b32 v215, s0, 28
	s_mov_b32 s5, s13
	v_and_b32_e32 v38, 0x3ff, v0
	v_writelane_b32 v215, s1, 29
	v_writelane_b32 v215, s4, 30
	v_bfe_u32 v6, v0, 2, 8
	v_lshlrev_b32_e32 v8, 2, v38
	v_writelane_b32 v215, s5, 31
	s_movk_i32 s14, 0xd0
	v_bfe_u32 v3, v0, 3, 7
	v_and_b32_e32 v5, 8, v115
	s_movk_i32 s2, 0x1a0
	v_add_u32_e32 v117, v6, v114
	v_and_b32_e32 v42, 12, v8
	v_writelane_b32 v215, s6, 32
	v_mad_u32_u24 v5, v5, s2, 0
	v_mad_u32_u24 v7, v117, s14, 0
	v_lshlrev_b32_e32 v9, 2, v42
	s_movk_i32 s2, 0x80
	v_add_u32_e32 v119, v3, v115
	v_and_b32_e32 v44, 28, v8
	v_writelane_b32 v215, s7, 33
	v_cmp_nle_f32_e64 s[0:1], s13, 0
	v_add3_u32 v118, v7, v9, s2
	v_mul_u32_u24_e32 v7, 0xd0, v119
	v_lshlrev_b32_e32 v8, 2, v44
	v_lshlrev_b32_e32 v3, 1, v3
	v_writelane_b32 v215, s0, 34
	s_cmp_lg_u64 s[66:67], 0
	v_and_b32_e32 v36, 15, v0
	v_add3_u32 v120, 0, v7, v8
	v_and_b32_e32 v7, 60, v3
	v_or_b32_e32 v8, 2, v3
	v_or_b32_e32 v3, 3, v3
	v_writelane_b32 v215, s1, 35
	s_cselect_b64 s[0:1], -1, 0
	v_mul_u32_u24_e32 v3, 0xd0, v3
	v_lshlrev_b32_e32 v9, 1, v36
	v_writelane_b32 v215, s0, 36
	v_add3_u32 v123, v5, v3, v9
	v_bfe_u32 v3, v0, 10, 1
	v_writelane_b32 v215, s1, 37
	v_cmp_eq_u32_e64 s[4:5], 0, v3
	v_and_b32_e32 v3, 0x400, v0
	v_lshrrev_b32_e32 v4, 1, v0
	v_writelane_b32 v215, s4, 38
	v_bfe_u32 v1, v0, 4, 6
	v_and_b32_e32 v4, 0x78, v4
	v_writelane_b32 v215, s5, 39
	v_cmp_ne_u32_e64 s[4:5], 0, v3
	v_or_b32_e32 v3, v115, v38
	v_lshlrev_b32_e32 v40, 3, v3
	v_or_b32_e32 v3, v114, v36
	v_writelane_b32 v215, s4, 40
	s_lshl_b32 s2, s53, 5
	v_mul_u32_u24_e32 v3, 0xd0, v3
	v_add_u32_e32 v125, v113, v112
	v_lshl_add_u32 v43, v112, 2, v1
	v_mul_u32_u24_e32 v2, 0xd0, v36
	v_mul_u32_u24_e32 v7, 0xd0, v7
	;; [unrolled: 1-line block ×3, first 2 shown]
	v_writelane_b32 v215, s5, 41
	s_lshl_b64 s[4:5], s[2:3], 3
	v_add3_u32 v124, 0, v3, v4
	v_add_u32_e32 v126, v35, v1
	v_lshlrev_b32_e32 v1, 1, v125
	v_and_b32_e32 v3, 15, v125
	s_movk_i32 s2, 0x3e0
	v_add_u32_e32 v127, 4, v125
	v_add3_u32 v45, 0, v2, v4
	v_add3_u32 v121, v5, v7, v9
	;; [unrolled: 1-line block ×3, first 2 shown]
	v_and_or_b32 v1, v1, s2, v3
	v_lshlrev_b32_e32 v4, 1, v127
	v_and_b32_e32 v5, 15, v127
	s_movk_i32 s2, 0x7e0
	v_add_u32_e32 v128, 8, v125
	v_and_or_b32 v4, v4, s2, v5
	v_lshlrev_b32_e32 v5, 1, v128
	v_and_b32_e32 v7, 15, v128
	v_add_u32_e32 v129, 12, v125
	v_and_or_b32 v5, v5, s2, v7
	v_lshlrev_b32_e32 v7, 1, v129
	v_and_b32_e32 v8, 15, v129
	v_add_u32_e32 v130, 16, v125
	v_and_or_b32 v7, v7, s2, v8
	v_lshlrev_b32_e32 v8, 1, v130
	v_add_u32_e32 v131, 20, v125
	v_and_or_b32 v3, v8, s2, v3
	v_lshlrev_b32_e32 v8, 1, v131
	v_and_b32_e32 v9, 15, v131
	v_add_u32_e32 v132, 24, v125
	v_and_or_b32 v8, v8, s2, v9
	v_lshlrev_b32_e32 v9, 1, v132
	v_and_b32_e32 v10, 15, v132
	;; [unrolled: 4-line block ×3, first 2 shown]
	s_ashr_i32 s77, s76, 31
	s_ashr_i32 s75, s74, 31
	;; [unrolled: 1-line block ×3, first 2 shown]
	v_writelane_b32 v215, s53, 42
	v_and_or_b32 v10, v10, s2, v11
	v_lshlrev_b32_e32 v11, 1, v126
	v_and_b32_e32 v12, 15, v126
	v_add_u32_e32 v134, 8, v126
	s_add_u32 s4, s70, s4
	v_and_or_b32 v11, v11, s2, v12
	v_lshlrev_b32_e32 v13, 1, v134
	v_and_b32_e32 v14, 15, v134
	s_movk_i32 s2, 0xfe0
	v_add_u32_e32 v135, 16, v126
	v_readlane_b32 s17, v215, 7
	s_addc_u32 s5, s71, s5
	v_and_or_b32 v13, v13, s2, v14
	v_lshlrev_b32_e32 v14, 1, v135
	s_abs_i32 s20, s17
	v_and_or_b32 v12, v14, s2, v12
	v_cvt_f32_u32_e32 v14, s20
	v_readlane_b32 s19, v215, 6
	s_abs_i32 s21, s19
	v_cvt_f32_u32_e32 v17, s21
	v_rcp_iflag_f32_e32 v14, v14
	v_add_u32_e32 v136, 24, v126
	v_lshlrev_b32_e32 v15, 1, v136
	v_and_b32_e32 v16, 15, v136
	v_mul_f32_e32 v14, 0x4f7ffffe, v14
	v_readlane_b32 s18, v215, 3
	v_and_or_b32 v15, v15, s2, v16
	v_cvt_u32_f32_e32 v14, v14
	v_rcp_iflag_f32_e32 v16, v17
	s_abs_i32 s22, s18
	s_mov_b32 s2, s16
	v_cvt_f32_u32_e32 v17, s22
	v_writelane_b32 v215, s2, 43
	s_mul_i32 s24, s73, 48
	s_ashr_i32 s17, s17, 31
	v_writelane_b32 v215, s3, 44
	v_writelane_b32 v215, s24, 45
	s_abs_i32 s23, s16
	v_readfirstlane_b32 s2, v14
	v_mul_f32_e32 v16, 0x4f7ffffe, v16
	v_writelane_b32 v215, s17, 46
	s_sub_i32 s17, 0, s20
	v_cvt_f32_u32_e32 v18, s23
	v_rcp_iflag_f32_e32 v14, v17
	v_cvt_u32_f32_e32 v16, v16
	s_mul_i32 s17, s17, s2
	s_mul_hi_u32 s17, s2, s17
	v_writelane_b32 v215, s20, 47
	s_add_i32 s2, s2, s17
	v_writelane_b32 v215, s2, 48
	s_ashr_i32 s2, s19, 31
	v_rcp_iflag_f32_e32 v17, v18
	v_mul_f32_e32 v14, 0x4f7ffffe, v14
	v_readfirstlane_b32 s16, v16
	v_writelane_b32 v215, s2, 49
	s_sub_i32 s2, 0, s21
	v_cvt_u32_f32_e32 v14, v14
	s_mul_i32 s2, s2, s16
	s_mul_hi_u32 s2, s16, s2
	v_writelane_b32 v215, s21, 50
	s_add_i32 s2, s16, s2
	v_mov_b32_e32 v41, 0
	v_mul_f32_e32 v17, 0x4f7ffffe, v17
	v_writelane_b32 v215, s2, 51
	s_ashr_i32 s2, s18, 31
	v_cvt_u32_f32_e32 v17, v17
	v_lshl_add_u64 v[46:47], s[4:5], 0, v[40:41]
	v_readfirstlane_b32 s4, v14
	v_writelane_b32 v215, s2, 52
	s_sub_i32 s2, 0, s22
	s_mul_i32 s2, s2, s4
	s_mul_hi_u32 s2, s4, s2
	v_writelane_b32 v215, s22, 53
	s_add_i32 s2, s4, s2
	v_readfirstlane_b32 s5, v17
	v_writelane_b32 v215, s2, 54
	s_sub_i32 s2, 0, s23
	v_mul_u32_u24_e32 v2, 0x90, v112
	v_lshlrev_b32_e32 v48, 1, v38
	s_mul_i32 s2, s2, s5
	v_add3_u32 v137, 0, v2, v48
	v_and_b32_e32 v2, 60, v6
	v_and_b32_e32 v6, 16, v114
	s_mul_hi_u32 s2, s5, s2
	v_add_u32_e32 v138, v2, v6
	v_add_u16_e32 v2, v2, v6
	v_mul_u32_u24_e32 v139, 0xd0, v6
	v_and_b32_e32 v6, 0x7f0, v115
	v_writelane_b32 v215, s23, 55
	s_add_i32 s2, s5, s2
	s_movk_i32 s12, 0x90
	v_mad_u32_u24 v140, v6, s14, v45
	v_or_b32_e32 v6, v6, v36
	v_writelane_b32 v215, s2, 56
	v_cmp_gt_u32_e64 s[28:29], 16, v38
	v_mad_u32_u24 v6, v6, s12, 0
	v_lshrrev_b16_e32 v2, 1, v2
	v_writelane_b32 v215, s28, 57
	v_and_b32_e32 v14, 3, v0
	v_lshl_add_u32 v141, v2, 2, v6
	v_mul_lo_u32 v56, s54, v117
	v_add_u32_e32 v2, v114, v38
	v_writelane_b32 v215, s29, 58
	v_cmp_gt_u32_e64 s[28:29], 32, v38
	v_lshlrev_b32_e32 v40, 4, v14
	v_ashrrev_i32_e32 v57, 31, v56
	v_mul_u32_u24_e32 v146, 0xd0, v2
	v_add_u32_e32 v2, v114, v34
	v_writelane_b32 v215, s28, 59
	v_mul_lo_u32 v50, s74, v117
	v_mul_u32_u24_e32 v147, 0xd0, v2
	v_mul_u32_u24_e32 v152, 0xd0, v3
	v_lshl_add_u64 v[2:3], v[56:57], 2, v[40:41]
	v_writelane_b32 v215, s29, 60
	s_mov_b32 s2, s76
	v_ashrrev_i32_e32 v51, 31, v50
	v_mul_lo_u32 v52, s74, v119
	v_mul_lo_u32 v58, s54, v119
	v_lshl_add_u64 v[2:3], s[60:61], 0, v[2:3]
	s_mov_b64 s[4:5], 0x80
	v_writelane_b32 v215, s2, 61
	v_lshl_add_u32 v54, s74, 5, v52
	v_lshl_add_u32 v60, s54, 5, v58
	v_lshl_add_u64 v[62:63], v[2:3], 0, s[4:5]
	v_lshl_add_u64 v[2:3], v[50:51], 2, v[40:41]
	v_lshl_add_u32 v163, v36, 2, 0
	v_writelane_b32 v215, s3, 62
	s_lshl_b64 s[28:29], s[76:77], 1
                                        ; implicit-def: $vgpr214 : SGPR spill to VGPR lane
	s_mov_b32 s15, 0x10001
	v_ashrrev_i32_e32 v53, 31, v52
	v_ashrrev_i32_e32 v55, 31, v54
	v_add_u32_e32 v142, 32, v138
	v_add_u32_e32 v144, 34, v138
	v_ashrrev_i32_e32 v59, 31, v58
	v_ashrrev_i32_e32 v61, 31, v60
	v_mul_u32_u24_e32 v148, 0xd0, v1
	v_and_b32_e32 v1, 7, v0
	v_lshl_add_u64 v[2:3], s[58:59], 0, v[2:3]
	v_add_u32_e32 v161, v35, v113
	v_mad_u32_u24 v190, v43, s14, v163
	v_writelane_b32 v215, s28, 63
	s_mov_b64 s[90:91], src_private_base
	v_cmp_lt_u32_e64 s[0:1], 63, v38
	v_writelane_b32 v214, s29, 0
	v_cmp_gt_u32_e64 s[6:7], 64, v117
	v_cmp_gt_u32_e64 s[8:9], 64, v119
	;; [unrolled: 1-line block ×3, first 2 shown]
	v_lshl_add_u32 v143, v142, 1, v6
	v_lshl_add_u32 v145, v144, 1, v6
	v_cmp_gt_u32_e64 s[12:13], 64, v138
	v_mul_u32_u24_e32 v149, 0xd0, v4
	v_mul_u32_u24_e32 v150, 0xd0, v5
	;; [unrolled: 1-line block ×10, first 2 shown]
	v_mov_b32_e32 v37, v41
	v_mov_b32_e32 v49, v41
	v_lshlrev_b32_e32 v64, 4, v1
	v_mov_b32_e32 v65, v41
	v_lshl_add_u64 v[66:67], v[2:3], 0, s[4:5]
	s_mov_b32 s73, 0x42b17218
	s_mov_b32 s98, 0x3fb8aa3b
	;; [unrolled: 1-line block ×3, first 2 shown]
	v_mov_b32_e32 v204, v41
	v_mov_b32_e32 v205, v41
	;; [unrolled: 1-line block ×4, first 2 shown]
	s_mov_b32 s92, 0xc1a00000
	v_mul_lo_u32 v160, v39, s15
	v_lshl_add_u32 v162, v34, 2, 0
	v_add_u32_e32 v164, 4, v112
	v_add_u32_e32 v165, 0x240, v137
	;; [unrolled: 1-line block ×16, first 2 shown]
	v_or_b32_e32 v180, 1, v138
	v_or_b32_e32 v181, 2, v138
	;; [unrolled: 1-line block ×3, first 2 shown]
	v_add_u32_e32 v183, 33, v138
	v_add_u32_e32 v184, 35, v138
	v_mul_u32_u24_e32 v185, 0xd0, v161
	v_add_u32_e32 v186, 8, v161
	v_add_u32_e32 v187, 16, v161
	;; [unrolled: 1-line block ×3, first 2 shown]
	v_mul_u32_u24_e32 v189, 0xd0, v43
	s_mov_b32 s93, 0x5040100
	v_add_u32_e32 v191, 16, v43
	v_add_u32_e32 v192, 0xd00, v190
	v_mov_b32_e32 v193, 0x3e91f4c4
	v_mov_b32_e32 v194, 0x37000000
	;; [unrolled: 1-line block ×4, first 2 shown]
	v_mbcnt_hi_u32_b32 v197, -1, v116
	v_mov_b32_e32 v198, 0
	v_lshl_add_u64 v[68:69], v[58:59], 2, s[60:61]
	v_lshl_add_u64 v[70:71], v[60:61], 2, s[60:61]
	;; [unrolled: 1-line block ×4, first 2 shown]
	s_movk_i32 s53, 0x47
	v_cmp_gt_u32_e64 s[14:15], 63, v138
	v_cmp_gt_u32_e64 s[16:17], 62, v138
	;; [unrolled: 1-line block ×7, first 2 shown]
	s_lshl_b64 s[82:83], s[54:55], 8
	s_lshl_b64 s[84:85], s[74:75], 8
	v_writelane_b32 v214, s48, 1
                                        ; implicit-def: $vgpr1
	v_writelane_b32 v214, s43, 2
	s_branch .LBB14_14
.LBB14_12:                              ;   in Loop: Header=BB14_14 Depth=1
	s_or_b64 exec, exec, s[30:31]
	s_barrier
.LBB14_13:                              ;   in Loop: Header=BB14_14 Depth=1
	v_readlane_b32 s31, v215, 1
	s_add_i32 s2, s96, s31
	s_abs_i32 s29, s2
	v_readlane_b32 s43, v214, 2
	s_mul_hi_u32 s30, s29, s43
	s_mul_i32 s30, s30, s33
	s_sub_i32 s29, s29, s30
	s_ashr_i32 s28, s2, 31
	s_sub_i32 s30, s29, s33
	s_cmp_ge_u32 s29, s33
	s_cselect_b32 s29, s30, s29
	s_sub_i32 s30, s29, s33
	s_cmp_ge_u32 s29, s33
	s_cselect_b32 s29, s30, s29
	s_xor_b32 s29, s29, s28
	s_sub_i32 s28, s28, s29
	s_add_i32 s96, s2, s28
	v_readlane_b32 s28, v215, 10
	s_sub_i32 s2, s28, s96
	s_min_i32 s88, s31, s2
	v_readlane_b32 s29, v215, 11
	s_cmp_gt_i32 s28, s96
	s_cselect_b64 s[28:29], -1, 0
	s_cmp_le_i32 s31, s2
	s_cselect_b64 s[30:31], -1, 0
	s_and_b64 s[30:31], s[30:31], s[28:29]
	s_mov_b32 s42, 0
	s_and_b64 vcc, exec, s[30:31]
	s_cbranch_vccz .LBB14_253
.LBB14_14:                              ; =>This Loop Header: Depth=1
                                        ;     Child Loop BB14_170 Depth 2
                                        ;     Child Loop BB14_47 Depth 2
	s_ashr_i32 s2, s96, 31
	v_readlane_b32 s28, v215, 46
	s_xor_b32 s2, s2, s28
	s_abs_i32 s28, s96
	v_readlane_b32 s29, v215, 48
	s_mul_hi_u32 s29, s28, s29
	v_readlane_b32 s34, v215, 47
	s_mul_i32 s30, s29, s34
	s_sub_i32 s28, s28, s30
	s_add_i32 s30, s29, 1
	s_sub_i32 s31, s28, s34
	s_cmp_ge_u32 s28, s34
	s_cselect_b32 s29, s30, s29
	s_cselect_b32 s28, s31, s28
	s_add_i32 s30, s29, 1
	s_cmp_ge_u32 s28, s34
	s_cselect_b32 s28, s30, s29
	s_xor_b32 s28, s28, s2
	v_readlane_b32 s30, v215, 25
	s_sub_i32 s28, s28, s2
	v_readlane_b32 s31, v215, 26
	s_ashr_i32 s38, s28, 31
	s_andn2_b64 vcc, exec, s[30:31]
	s_mov_b64 s[80:81], 0
	s_cbranch_vccnz .LBB14_16
; %bb.15:                               ;   in Loop: Header=BB14_14 Depth=1
	s_abs_i32 s2, s28
	v_readlane_b32 s29, v215, 56
	s_mul_hi_u32 s29, s2, s29
	v_readlane_b32 s30, v215, 55
	s_mul_i32 s29, s29, s30
	s_sub_i32 s2, s2, s29
	s_sub_i32 s29, s2, s30
	s_cmp_ge_u32 s2, s30
	s_cselect_b32 s2, s29, s2
	s_sub_i32 s29, s2, s30
	s_cmp_ge_u32 s2, s30
	s_cselect_b32 s2, s29, s2
	s_xor_b32 s2, s2, s38
	s_sub_i32 s2, s2, s38
	s_ashr_i32 s29, s2, 31
	v_readlane_b32 s34, v215, 15
	v_readlane_b32 s35, v215, 16
	s_mul_i32 s29, s34, s29
	s_mul_hi_u32 s30, s34, s2
	s_add_i32 s29, s30, s29
	s_mul_i32 s30, s35, s2
	s_add_i32 s29, s29, s30
	s_mul_i32 s2, s34, s2
	s_add_u32 s80, s62, s2
	s_addc_u32 s81, s63, s29
.LBB14_16:                              ;   in Loop: Header=BB14_14 Depth=1
	v_readlane_b32 s2, v215, 7
	s_mul_i32 s2, s28, s2
	s_sub_i32 s2, s96, s2
	s_ashr_i32 s29, s2, 31
	v_readlane_b32 s30, v215, 49
	s_xor_b32 s29, s29, s30
	s_abs_i32 s30, s2
	v_readlane_b32 s31, v215, 51
	s_mul_hi_u32 s31, s30, s31
	v_readlane_b32 s36, v215, 50
	s_mul_i32 s34, s31, s36
	s_sub_i32 s30, s30, s34
	s_add_i32 s34, s31, 1
	s_sub_i32 s35, s30, s36
	s_cmp_ge_u32 s30, s36
	s_cselect_b32 s31, s34, s31
	s_cselect_b32 s30, s35, s30
	s_add_i32 s34, s31, 1
	s_cmp_ge_u32 s30, s36
	s_cselect_b32 s30, s34, s31
	s_xor_b32 s30, s30, s29
	s_sub_i32 s39, s30, s29
	v_readlane_b32 s29, v215, 6
	s_mul_i32 s29, s39, s29
	s_sub_i32 s2, s2, s29
	s_ashr_i32 s29, s2, 31
	v_readlane_b32 s30, v215, 52
	s_xor_b32 s29, s29, s30
	s_abs_i32 s30, s2
	v_readlane_b32 s31, v215, 54
	s_mul_hi_u32 s31, s30, s31
	v_readlane_b32 s36, v215, 53
	s_mul_i32 s34, s31, s36
	s_sub_i32 s30, s30, s34
	s_add_i32 s34, s31, 1
	s_sub_i32 s35, s30, s36
	s_cmp_ge_u32 s30, s36
	s_cselect_b32 s31, s34, s31
	s_cselect_b32 s30, s35, s30
	s_add_i32 s34, s31, 1
	s_cmp_ge_u32 s30, s36
	s_cselect_b32 s30, s34, s31
	s_xor_b32 s30, s30, s29
	s_sub_i32 s29, s30, s29
	v_readlane_b32 s30, v215, 2
	v_readlane_b32 s34, v215, 34
	s_mul_i32 s30, s39, s30
	v_readlane_b32 s35, v215, 35
	s_add_i32 s30, s30, s29
	s_andn2_b64 vcc, exec, s[34:35]
	v_mov_b32_e32 v76, 1.0
	s_cbranch_vccnz .LBB14_18
; %bb.17:                               ;   in Loop: Header=BB14_14 Depth=1
	v_readlane_b32 s31, v215, 12
	v_readlane_b32 s44, v215, 30
	;; [unrolled: 1-line block ×3, first 2 shown]
	v_mov_b32_e32 v1, s31
	v_sub_co_u32_e32 v1, vcc, s30, v1
	s_add_i32 s31, s30, 1
	v_lshlrev_b32_e32 v1, 1, v1
	v_mov_b32_e32 v3, s31
	v_or_b32_e32 v1, 1, v1
	v_cndmask_b32_e32 v1, v1, v3, vcc
	v_readlane_b32 s47, v215, 33
	v_cvt_f32_i32_e32 v1, v1
	v_mov_b32_e32 v3, s46
	v_mov_b32_e32 v2, s47
	v_cndmask_b32_e32 v2, v2, v3, vcc
	v_cmp_neq_f32_e32 vcc, 1.0, v2
	s_mov_b32 s31, 0x3f2aaaab
	s_movk_i32 s36, 0x204
	v_cndmask_b32_e32 v1, 1.0, v1, vcc
	v_cmp_neq_f32_e32 vcc, 0, v1
	v_readlane_b32 s45, v215, 31
	s_nop 0
	v_cndmask_b32_e32 v18, 1.0, v2, vcc
	v_frexp_mant_f32_e64 v2, |v18|
	v_cmp_gt_f32_e32 vcc, s31, v2
	s_mov_b32 s31, 0x3f317218
	v_cmp_class_f32_e64 s[40:41], v18, s36
	v_cndmask_b32_e64 v3, 1.0, 2.0, vcc
	v_mul_f32_e32 v2, v2, v3
	v_add_f32_e32 v5, 1.0, v2
	v_rcp_f32_e32 v10, v5
	v_add_f32_e32 v3, -1.0, v5
	v_sub_f32_e32 v7, v2, v3
	v_add_f32_e32 v3, -1.0, v2
	v_mul_f32_e32 v11, v3, v10
	v_mul_f32_e32 v4, v5, v11
	v_fma_f32 v6, v11, v5, -v4
	v_fmac_f32_e32 v6, v11, v7
	v_add_f32_e32 v2, v4, v6
	v_sub_f32_e32 v5, v3, v2
	v_pk_add_f32 v[8:9], v[2:3], v[4:5] neg_lo:[0,1] neg_hi:[0,1]
	v_mov_b32_e32 v7, v2
	v_pk_add_f32 v[2:3], v[8:9], v[6:7] neg_lo:[0,1] neg_hi:[0,1]
	s_nop 0
	v_add_f32_e32 v2, v2, v3
	v_add_f32_e32 v2, v5, v2
	v_mul_f32_e32 v3, v10, v2
	v_add_f32_e32 v2, v11, v3
	v_sub_f32_e32 v4, v2, v11
	v_sub_f32_e32 v12, v3, v4
	v_mul_f32_e32 v3, v2, v2
	v_fma_f32 v5, v2, v2, -v3
	v_add_f32_e32 v4, v12, v12
	v_fmac_f32_e32 v5, v2, v4
	v_add_f32_e32 v4, v3, v5
	v_fmamk_f32 v6, v4, 0x3e76c4e1, v193
	v_fmaak_f32 v6, v4, v6, 0x3ecccdef
	v_sub_f32_e32 v3, v4, v3
	v_sub_f32_e32 v13, v5, v3
	v_mul_f32_e32 v3, v4, v6
	v_fma_f32 v5, v4, v6, -v3
	v_fmac_f32_e32 v5, v13, v6
	v_add_f32_e32 v6, v3, v5
	v_add_f32_e32 v7, 0x3f2aaaaa, v6
	v_sub_f32_e32 v3, v6, v3
	v_sub_f32_e32 v3, v5, v3
	v_add_f32_e32 v5, 0xbf2aaaaa, v7
	v_add_f32_e32 v3, 0x31739010, v3
	v_sub_f32_e32 v5, v6, v5
	v_pk_mul_f32 v[8:9], v[2:3], v[4:5]
	v_pk_add_f32 v[10:11], v[2:3], v[4:5]
	v_fma_f32 v6, v4, v2, -v8
	v_fmac_f32_e32 v6, v4, v12
	v_mov_b32_e32 v9, v11
	v_fmac_f32_e32 v6, v13, v2
	v_pk_add_f32 v[4:5], v[8:9], v[6:7]
	v_ldexp_f32 v14, v12, 1
	v_sub_f32_e32 v3, v4, v8
	v_sub_f32_e32 v3, v6, v3
	;; [unrolled: 1-line block ×3, first 2 shown]
	v_add_f32_e32 v10, v11, v6
	v_pk_mul_f32 v[6:7], v[4:5], v[4:5] op_sel:[0,1] op_sel_hi:[1,0]
	v_cvt_f64_f32_e64 v[8:9], |v18|
	v_frexp_exp_i32_f64_e32 v7, v[8:9]
	v_subbrev_co_u32_e32 v7, vcc, 0, v7, vcc
	v_cvt_f32_i32_e32 v7, v7
	v_fma_f32 v8, v4, v5, -v6
	v_fmac_f32_e32 v8, v4, v10
	v_fmac_f32_e32 v8, v3, v5
	v_mul_f32_e32 v4, 0x3f317218, v7
	v_fma_f32 v10, v7, s31, -v4
	v_fmac_f32_e32 v10, 0xb102e308, v7
	v_ldexp_f32 v11, v2, 1
	v_add_f32_e32 v5, v6, v8
	v_pk_add_f32 v[2:3], v[4:5], v[10:11]
	v_mov_b32_e32 v12, v5
	v_mov_b32_e32 v13, v3
	;; [unrolled: 1-line block ×3, first 2 shown]
	v_pk_add_f32 v[6:7], v[12:13], v[6:7] neg_lo:[0,1] neg_hi:[0,1]
	v_mov_b32_e32 v9, v5
	v_pk_add_f32 v[6:7], v[8:9], v[6:7] neg_lo:[0,1] neg_hi:[0,1]
	v_mov_b32_e32 v11, v2
	v_add_f32_e32 v5, v14, v6
	v_add_f32_e32 v5, v5, v7
	v_pk_add_f32 v[6:7], v[2:3], v[4:5] neg_lo:[0,1] neg_hi:[0,1]
	v_pk_add_f32 v[8:9], v[2:3], v[4:5]
	v_mov_b32_e32 v16, v3
	v_mov_b32_e32 v7, v9
	v_pk_add_f32 v[12:13], v[10:11], v[6:7] neg_lo:[0,1] neg_hi:[0,1]
	v_pk_add_f32 v[6:7], v[10:11], v[6:7]
	v_mov_b32_e32 v4, v5
	v_pk_add_f32 v[10:11], v[6:7], v[2:3] op_sel:[1,0] op_sel_hi:[0,1] neg_lo:[0,1] neg_hi:[0,1]
	v_pk_add_f32 v[14:15], v[8:9], v[10:11] op_sel_hi:[1,0] neg_lo:[0,1] neg_hi:[0,1]
	v_mov_b32_e32 v8, v9
	v_mov_b32_e32 v9, v7
	v_mov_b32_e32 v17, v10
	v_pk_add_f32 v[8:9], v[8:9], v[16:17] neg_lo:[0,1] neg_hi:[0,1]
	v_mov_b32_e32 v5, v2
	v_pk_add_f32 v[2:3], v[4:5], v[8:9] neg_lo:[0,1] neg_hi:[0,1]
	v_mov_b32_e32 v14, v12
	v_pk_add_f32 v[4:5], v[14:15], v[2:3]
	v_mov_b32_e32 v13, v7
	v_pk_add_f32 v[8:9], v[4:5], v[4:5] op_sel:[0,1] op_sel_hi:[1,0]
	s_mov_b32 s31, 0x7f800000
	v_pk_add_f32 v[6:7], v[6:7], v[8:9] op_sel:[1,0] op_sel_hi:[0,1]
	v_mov_b32_e32 v5, v6
	v_pk_add_f32 v[10:11], v[4:5], v[12:13] neg_lo:[0,1] neg_hi:[0,1]
	v_mov_b32_e32 v3, v8
	v_sub_f32_e32 v4, v4, v10
	v_pk_add_f32 v[2:3], v[2:3], v[10:11] neg_lo:[0,1] neg_hi:[0,1]
	v_sub_f32_e32 v4, v12, v4
	v_add_f32_e32 v2, v2, v4
	v_add_f32_e32 v2, v2, v3
	;; [unrolled: 1-line block ×3, first 2 shown]
	v_sub_f32_e32 v4, v3, v6
	v_sub_f32_e32 v2, v2, v4
	v_mul_f32_e32 v4, v1, v3
	v_fma_f32 v3, v1, v3, -v4
	v_fmac_f32_e32 v3, v1, v2
	v_add_f32_e32 v2, v4, v3
	v_cmp_class_f32_e64 vcc, v4, s36
	v_sub_f32_e32 v5, v2, v4
	v_sub_f32_e32 v3, v3, v5
	v_cndmask_b32_e32 v2, v2, v4, vcc
	v_cmp_eq_f32_e32 vcc, s73, v2
	s_nop 1
	v_cndmask_b32_e32 v4, 0, v194, vcc
	v_sub_f32_e32 v5, v2, v4
	v_mul_f32_e32 v6, 0x3fb8aa3b, v5
	v_fma_f32 v7, v5, s98, -v6
	v_rndne_f32_e32 v8, v6
	v_fmac_f32_e32 v7, 0x32a5705f, v5
	v_sub_f32_e32 v6, v6, v8
	v_add_f32_e32 v6, v6, v7
	v_exp_f32_e32 v6, v6
	v_cvt_i32_f32_e32 v7, v8
	v_cmp_neq_f32_e64 vcc, |v2|, s31
	s_brev_b32 s31, -2
	s_nop 0
	v_cndmask_b32_e32 v2, 0, v3, vcc
	v_ldexp_f32 v3, v6, v7
	v_cmp_ngt_f32_e32 vcc, s97, v5
	v_add_f32_e32 v2, v4, v2
	s_nop 0
	v_cndmask_b32_e32 v3, 0, v3, vcc
	v_cmp_nlt_f32_e32 vcc, s73, v5
	s_nop 1
	v_cndmask_b32_e32 v3, v195, v3, vcc
	v_fma_f32 v2, v3, v2, v3
	v_cmp_class_f32_e64 vcc, v3, s36
	v_cmp_gt_f32_e64 s[36:37], 0, v1
	s_nop 0
	v_cndmask_b32_e32 v2, v2, v3, vcc
	v_trunc_f32_e32 v3, v1
	v_cmp_eq_f32_e32 vcc, v3, v1
	v_mul_f32_e32 v3, 0.5, v1
	v_trunc_f32_e32 v4, v3
	v_cmp_neq_f32_e64 s[34:35], v4, v3
	s_and_b64 s[34:35], vcc, s[34:35]
	s_nop 0
	v_cndmask_b32_e64 v3, 1.0, v18, s[34:35]
	v_bfi_b32 v2, s31, v2, v3
	v_cndmask_b32_e32 v3, v196, v2, vcc
	v_cmp_gt_f32_e32 vcc, 0, v18
	s_nop 1
	v_cndmask_b32_e32 v2, v2, v3, vcc
	v_cmp_eq_f32_e32 vcc, 0, v18
	s_xor_b64 s[36:37], s[36:37], vcc
	v_cndmask_b32_e64 v1, v195, 0, s[36:37]
	v_cndmask_b32_e64 v3, 0, v18, s[34:35]
	v_bfi_b32 v1, s31, v1, v3
	s_or_b64 vcc, vcc, s[40:41]
	v_cndmask_b32_e32 v1, v2, v1, vcc
	v_cmp_o_f32_e32 vcc, v18, v18
	s_nop 1
	v_cndmask_b32_e32 v76, v196, v1, vcc
.LBB14_18:                              ;   in Loop: Header=BB14_14 Depth=1
	v_readlane_b32 s31, v215, 3
	s_mul_i32 s29, s29, s31
	s_sub_i32 s2, s2, s29
	s_ashr_i32 s29, s2, 31
	v_readlane_b32 s31, v215, 23
	s_abs_i32 s2, s2
	s_xor_b32 s29, s29, s31
	s_mul_hi_u32 s31, s2, s43
	s_mul_i32 s34, s31, s33
	s_sub_i32 s2, s2, s34
	s_add_i32 s34, s31, 1
	s_sub_i32 s35, s2, s33
	s_cmp_ge_u32 s2, s33
	s_cselect_b32 s31, s34, s31
	s_cselect_b32 s2, s35, s2
	s_add_i32 s34, s31, 1
	s_cmp_ge_u32 s2, s33
	s_cselect_b32 s2, s34, s31
	v_readlane_b32 s34, v215, 36
	s_xor_b32 s2, s2, s29
	v_readlane_b32 s35, v215, 37
	s_andn2_b64 vcc, exec, s[34:35]
	s_sub_i32 s76, s2, s29
	s_cbranch_vccnz .LBB14_20
; %bb.19:                               ;   in Loop: Header=BB14_14 Depth=1
	v_readlane_b32 s2, v215, 0
	s_mul_i32 s2, s28, s2
	s_add_i32 s34, s76, s2
	s_ashr_i32 s35, s34, 31
	s_lshl_b64 s[34:35], s[34:35], 2
	s_add_u32 s34, s66, s34
	s_addc_u32 s35, s67, s35
	global_load_dword v1, v41, s[34:35]
	s_waitcnt vmcnt(0)
	v_readfirstlane_b32 s2, v1
	s_ashr_i32 s29, s2, 31
	s_lshr_b32 s29, s29, 26
	s_add_i32 s2, s2, s29
	s_ashr_i32 s2, s2, 6
	s_min_i32 s88, s88, s2
.LBB14_20:                              ;   in Loop: Header=BB14_14 Depth=1
	v_readlane_b32 s2, v215, 27
	s_mul_i32 s2, s2, s28
	s_add_i32 s2, s30, s2
	s_mul_i32 s2, s2, 48
	s_lshl_b64 s[34:35], s[2:3], 3
	s_add_u32 s34, s68, s34
	s_addc_u32 s35, s69, s35
	v_writelane_b32 v214, s34, 3
	v_readlane_b32 s44, v215, 19
	v_readlane_b32 s47, v215, 22
	v_writelane_b32 v214, s35, 4
	v_readlane_b32 s34, v215, 13
	v_readlane_b32 s35, v215, 14
	s_mul_i32 s2, s34, s38
	s_mul_hi_u32 s29, s34, s28
	s_add_i32 s2, s29, s2
	s_mul_i32 s29, s35, s28
	s_add_i32 s29, s2, s29
	s_mul_i32 s2, s34, s28
	v_writelane_b32 v214, s2, 5
	s_add_u32 s2, s60, s2
	v_writelane_b32 v214, s29, 6
	s_addc_u32 s31, s61, s29
	s_mul_i32 s29, s39, s47
	s_ashr_i32 s34, s29, 31
	s_add_u32 s89, s2, s29
	s_addc_u32 s90, s31, s34
	s_ashr_i32 s31, s30, 31
	v_writelane_b32 v214, s34, 7
	s_lshl_b64 s[34:35], s[30:31], 2
	s_add_u32 s2, s64, s34
	s_addc_u32 s31, s65, s35
	v_readlane_b32 s34, v215, 28
	v_readlane_b32 s35, v215, 29
	s_and_b64 s[34:35], s[34:35], exec
	v_readlane_b32 s34, v215, 8
	v_readlane_b32 s35, v215, 9
	s_cselect_b32 s94, 0, s2
	s_mul_i32 s2, s28, s35
	s_cselect_b32 s95, 0, s31
	s_ashr_i32 s31, s2, 31
	s_add_u32 s2, s56, s2
	s_mul_i32 s30, s30, s34
	v_readlane_b32 s45, v215, 20
	s_addc_u32 s31, s57, s31
	s_ashr_i32 s34, s30, 31
	s_mov_b64 s[40:41], s[44:45]
	s_add_u32 s30, s2, s30
	s_addc_u32 s31, s31, s34
	s_mul_i32 s2, s40, s38
	s_mul_hi_u32 s34, s40, s28
	s_add_i32 s2, s34, s2
	s_mul_i32 s34, s41, s28
	v_readlane_b32 s36, v215, 17
	s_add_i32 s2, s2, s34
	s_mul_i32 s28, s40, s28
	v_readlane_b32 s37, v215, 18
	v_writelane_b32 v214, s28, 8
	s_add_u32 s34, s58, s28
	s_mul_i32 s28, s39, s37
	s_mov_b32 s79, s2
	s_addc_u32 s35, s59, s2
	s_ashr_i32 s2, s28, 31
	s_add_u32 s78, s34, s28
	s_addc_u32 s99, s35, s2
	s_cmp_lg_u32 s42, 0
	v_readlane_b32 s46, v215, 21
	s_cbranch_scc0 .LBB14_57
; %bb.21:                               ;   in Loop: Header=BB14_14 Depth=1
	s_lshl_b32 s77, s76, 5
	v_add_u32_e32 v1, s77, v161
	v_cmp_le_i32_e32 vcc, s72, v1
	s_and_saveexec_b64 s[34:35], vcc
	s_xor_b64 s[34:35], exec, s[34:35]
; %bb.22:                               ;   in Loop: Header=BB14_14 Depth=1
	v_add_u32_e32 v1, v162, v185
	ds_write_b32 v1, v41
                                        ; implicit-def: $vgpr1
; %bb.23:                               ;   in Loop: Header=BB14_14 Depth=1
	s_andn2_saveexec_b64 s[34:35], s[34:35]
	s_cbranch_execz .LBB14_25
; %bb.24:                               ;   in Loop: Header=BB14_14 Depth=1
	v_mad_u64_u32 v[2:3], s[36:37], v1, s48, v[34:35]
	v_ashrrev_i32_e32 v3, 31, v2
	v_lshl_add_u64 v[2:3], v[2:3], 3, s[30:31]
	global_load_dwordx2 v[2:3], v[2:3], off
	s_waitcnt vmcnt(0)
	v_cvt_pk_f16_f32 v1, v2, v3
	v_pk_mul_f16 v1, v1, v160
	v_add_u32_e32 v2, v162, v185
	ds_write_b32 v2, v1
.LBB14_25:                              ;   in Loop: Header=BB14_14 Depth=1
	s_or_b64 exec, exec, s[34:35]
	v_add_u32_e32 v1, s77, v186
	v_cmp_le_i32_e32 vcc, s72, v1
	s_and_saveexec_b64 s[34:35], vcc
	s_xor_b64 s[34:35], exec, s[34:35]
; %bb.26:                               ;   in Loop: Header=BB14_14 Depth=1
	v_add_u32_e32 v1, v162, v185
	ds_write_b32 v1, v41 offset:1664
                                        ; implicit-def: $vgpr1
; %bb.27:                               ;   in Loop: Header=BB14_14 Depth=1
	s_andn2_saveexec_b64 s[34:35], s[34:35]
	s_cbranch_execz .LBB14_29
; %bb.28:                               ;   in Loop: Header=BB14_14 Depth=1
	v_mad_u64_u32 v[2:3], s[36:37], v1, s48, v[34:35]
	v_ashrrev_i32_e32 v3, 31, v2
	v_lshl_add_u64 v[2:3], v[2:3], 3, s[30:31]
	global_load_dwordx2 v[2:3], v[2:3], off
	s_waitcnt vmcnt(0)
	v_cvt_pk_f16_f32 v1, v2, v3
	v_pk_mul_f16 v1, v1, v160
	v_add_u32_e32 v2, v162, v185
	ds_write_b32 v2, v1 offset:1664
.LBB14_29:                              ;   in Loop: Header=BB14_14 Depth=1
	s_or_b64 exec, exec, s[34:35]
	v_add_u32_e32 v1, s77, v187
	v_cmp_le_i32_e32 vcc, s72, v1
	s_and_saveexec_b64 s[34:35], vcc
	s_xor_b64 s[34:35], exec, s[34:35]
; %bb.30:                               ;   in Loop: Header=BB14_14 Depth=1
	v_add_u32_e32 v1, v162, v185
	ds_write_b32 v1, v41 offset:3328
                                        ; implicit-def: $vgpr1
; %bb.31:                               ;   in Loop: Header=BB14_14 Depth=1
	s_andn2_saveexec_b64 s[34:35], s[34:35]
	s_cbranch_execz .LBB14_33
; %bb.32:                               ;   in Loop: Header=BB14_14 Depth=1
	v_mad_u64_u32 v[2:3], s[36:37], v1, s48, v[34:35]
	v_ashrrev_i32_e32 v3, 31, v2
	v_lshl_add_u64 v[2:3], v[2:3], 3, s[30:31]
	global_load_dwordx2 v[2:3], v[2:3], off
	s_waitcnt vmcnt(0)
	v_cvt_pk_f16_f32 v1, v2, v3
	v_pk_mul_f16 v1, v1, v160
	v_add_u32_e32 v2, v162, v185
	ds_write_b32 v2, v1 offset:3328
.LBB14_33:                              ;   in Loop: Header=BB14_14 Depth=1
	s_or_b64 exec, exec, s[34:35]
	v_add_u32_e32 v1, s77, v188
	v_cmp_le_i32_e32 vcc, s72, v1
	s_and_saveexec_b64 s[34:35], vcc
	s_xor_b64 s[34:35], exec, s[34:35]
; %bb.34:                               ;   in Loop: Header=BB14_14 Depth=1
	v_add_u32_e32 v1, v162, v185
	ds_write_b32 v1, v41 offset:4992
                                        ; implicit-def: $vgpr1
; %bb.35:                               ;   in Loop: Header=BB14_14 Depth=1
	s_andn2_saveexec_b64 s[34:35], s[34:35]
	s_cbranch_execz .LBB14_37
; %bb.36:                               ;   in Loop: Header=BB14_14 Depth=1
	v_mad_u64_u32 v[2:3], s[36:37], v1, s48, v[34:35]
	v_ashrrev_i32_e32 v3, 31, v2
	v_lshl_add_u64 v[2:3], v[2:3], 3, s[30:31]
	global_load_dwordx2 v[2:3], v[2:3], off
	s_waitcnt vmcnt(0)
	v_cvt_pk_f16_f32 v1, v2, v3
	v_pk_mul_f16 v1, v1, v160
	v_add_u32_e32 v2, v162, v185
	ds_write_b32 v2, v1 offset:4992
.LBB14_37:                              ;   in Loop: Header=BB14_14 Depth=1
	s_or_b64 exec, exec, s[34:35]
	v_add_u32_e32 v1, s77, v43
	v_cmp_le_i32_e32 vcc, s72, v1
	s_and_saveexec_b64 s[34:35], vcc
	s_xor_b64 s[34:35], exec, s[34:35]
; %bb.38:                               ;   in Loop: Header=BB14_14 Depth=1
	ds_write_b32 v190, v41 offset:128
                                        ; implicit-def: $vgpr1
; %bb.39:                               ;   in Loop: Header=BB14_14 Depth=1
	s_andn2_saveexec_b64 s[34:35], s[34:35]
	s_cbranch_execz .LBB14_41
; %bb.40:                               ;   in Loop: Header=BB14_14 Depth=1
	v_mul_lo_u32 v2, v1, s48
	v_ashrrev_i32_e32 v3, 31, v2
	v_lshl_add_u64 v[2:3], v[2:3], 0, v[36:37]
	v_lshl_add_u64 v[2:3], v[2:3], 3, s[30:31]
	global_load_dwordx2 v[2:3], v[2:3], off offset:256
	s_waitcnt vmcnt(0)
	v_cvt_pk_f16_f32 v1, v2, v3
	v_pk_mul_f16 v1, v1, v160
	v_add_u32_e32 v2, v163, v189
	ds_write_b32 v2, v1 offset:128
.LBB14_41:                              ;   in Loop: Header=BB14_14 Depth=1
	s_or_b64 exec, exec, s[34:35]
	v_add_u32_e32 v1, s77, v191
	v_cmp_le_i32_e32 vcc, s72, v1
	s_and_saveexec_b64 s[34:35], vcc
	s_xor_b64 s[34:35], exec, s[34:35]
; %bb.42:                               ;   in Loop: Header=BB14_14 Depth=1
	ds_write_b32 v192, v41 offset:128
                                        ; implicit-def: $vgpr1
; %bb.43:                               ;   in Loop: Header=BB14_14 Depth=1
	s_andn2_saveexec_b64 s[34:35], s[34:35]
	s_cbranch_execz .LBB14_45
; %bb.44:                               ;   in Loop: Header=BB14_14 Depth=1
	v_mul_lo_u32 v2, v1, s48
	v_ashrrev_i32_e32 v3, 31, v2
	v_lshl_add_u64 v[2:3], v[2:3], 0, v[36:37]
	v_lshl_add_u64 v[2:3], v[2:3], 3, s[30:31]
	global_load_dwordx2 v[2:3], v[2:3], off offset:256
	s_waitcnt vmcnt(0)
	v_cvt_pk_f16_f32 v1, v2, v3
	v_pk_mul_f16 v1, v1, v160
	v_add_u32_e32 v2, v163, v189
	ds_write_b32 v2, v1 offset:3456
.LBB14_45:                              ;   in Loop: Header=BB14_14 Depth=1
	s_or_b64 exec, exec, s[34:35]
	s_waitcnt lgkmcnt(0)
	s_barrier
	ds_read2_b64 v[10:13], v140 offset1:4
	ds_read2_b64 v[6:9], v140 offset0:8 offset1:12
	ds_read2_b64 v[2:5], v140 offset0:16 offset1:20
	s_add_i32 s43, s88, -1
	s_cmp_ge_i32 s42, s43
	s_waitcnt lgkmcnt(0)
	s_barrier
	s_cbranch_scc1 .LBB14_58
; %bb.46:                               ;   in Loop: Header=BB14_14 Depth=1
	v_add_u32_e32 v1, s77, v112
	v_mul_hi_u32 v14, s86, v1
	v_add_u32_e32 v14, v1, v14
	v_lshrrev_b32_e32 v14, s87, v14
	v_mul_lo_u32 v14, v14, s72
	v_readlane_b32 s34, v215, 61
	v_sub_u32_e32 v1, v1, v14
	v_readlane_b32 s35, v215, 62
	s_mov_b32 s38, s34
	v_mad_i64_i32 v[80:81], s[34:35], v1, s38, 0
	v_add_u32_e32 v1, s77, v164
	v_mul_hi_u32 v14, s86, v1
	v_add_u32_e32 v14, v1, v14
	v_lshrrev_b32_e32 v14, s87, v14
	v_mul_lo_u32 v14, v14, s72
	v_sub_u32_e32 v1, v1, v14
	v_mad_i64_i32 v[82:83], s[34:35], v1, s38, 0
	v_add_u32_e32 v1, s77, v166
	v_mul_hi_u32 v14, s86, v1
	v_add_u32_e32 v14, v1, v14
	v_lshrrev_b32_e32 v14, s87, v14
	v_mul_lo_u32 v14, v14, s72
	v_sub_u32_e32 v1, v1, v14
	;; [unrolled: 7-line block ×7, first 2 shown]
	v_mad_i64_i32 v[94:95], s[34:35], v1, s38, 0
	v_and_b32_e32 v1, 64, v197
	v_add_u32_e32 v1, 64, v1
	v_xor_b32_e32 v14, 32, v197
	v_cmp_lt_i32_e32 vcc, v14, v1
	s_cmp_lg_u64 s[80:81], 0
	v_lshlrev_b32_e32 v40, 1, v38
	v_cndmask_b32_e32 v14, v197, v14, vcc
	v_lshlrev_b32_e32 v103, 2, v14
	v_xor_b32_e32 v14, 16, v197
	v_cmp_lt_i32_e32 vcc, v14, v1
	s_cselect_b64 s[36:37], -1, 0
	v_lshl_add_u64 v[78:79], s[80:81], 0, v[40:41]
	v_cndmask_b32_e32 v1, v197, v14, vcc
	v_lshlrev_b32_e32 v104, 2, v1
	v_mov_b32_e32 v96, v76
	v_mov_b32_e32 v97, v76
	s_lshl_b32 s38, s42, 6
	v_mov_b32_e32 v27, 0
	v_mov_b32_e32 v31, 0xfeffffff
	;; [unrolled: 1-line block ×14, first 2 shown]
.LBB14_47:                              ;   Parent Loop BB14_14 Depth=1
                                        ; =>  This Inner Loop Header: Depth=2
	v_cndmask_b32_e64 v1, 0, 1, s[36:37]
	v_cmp_ne_u32_e64 s[34:35], 1, v1
	s_andn2_b64 vcc, exec, s[36:37]
	s_ashr_i32 s39, s38, 31
	s_cbranch_vccnz .LBB14_53
; %bb.48:                               ;   in Loop: Header=BB14_47 Depth=2
	s_and_saveexec_b64 s[40:41], s[0:1]
	s_xor_b64 s[40:41], exec, s[40:41]
	s_cbranch_execz .LBB14_50
; %bb.49:                               ;   in Loop: Header=BB14_47 Depth=2
	ds_write_b16 v137, v41 offset:13312
	ds_write_b16 v165, v41 offset:13312
	;; [unrolled: 1-line block ×4, first 2 shown]
.LBB14_50:                              ;   in Loop: Header=BB14_47 Depth=2
	s_or_saveexec_b64 s[40:41], s[40:41]
	v_mov_b32_e32 v1, 0
	v_mov_b32_e32 v14, 0
	;; [unrolled: 1-line block ×4, first 2 shown]
	s_xor_b64 exec, exec, s[40:41]
	s_cbranch_execz .LBB14_52
; %bb.51:                               ;   in Loop: Header=BB14_47 Depth=2
	v_lshl_add_u64 v[16:17], s[38:39], 1, v[78:79]
	v_lshl_add_u64 v[14:15], v[80:81], 1, v[16:17]
	global_load_ushort v1, v[14:15], off
	v_lshl_add_u64 v[14:15], v[82:83], 1, v[16:17]
	global_load_ushort v18, v[14:15], off
	;; [unrolled: 2-line block ×4, first 2 shown]
	s_waitcnt vmcnt(3)
	ds_write_b16 v137, v1 offset:13312
	s_waitcnt vmcnt(2)
	ds_write_b16 v165, v18 offset:13312
	;; [unrolled: 2-line block ×4, first 2 shown]
	v_lshl_add_u64 v[14:15], v[88:89], 1, v[16:17]
	global_load_ushort v1, v[14:15], off
	v_lshl_add_u64 v[14:15], v[90:91], 1, v[16:17]
	v_lshl_add_u64 v[18:19], v[92:93], 1, v[16:17]
	;; [unrolled: 1-line block ×3, first 2 shown]
	global_load_ushort v14, v[14:15], off
	s_nop 0
	global_load_ushort v16, v[16:17], off
	s_nop 0
	global_load_ushort v15, v[18:19], off
.LBB14_52:                              ;   in Loop: Header=BB14_47 Depth=2
	s_or_b64 exec, exec, s[40:41]
	s_waitcnt vmcnt(3)
	ds_write_b16 v171, v1 offset:13312
	s_waitcnt vmcnt(2)
	ds_write_b16 v173, v14 offset:13312
	;; [unrolled: 2-line block ×3, first 2 shown]
	ds_write_b16 v177, v16 offset:13312
.LBB14_53:                              ;   in Loop: Header=BB14_47 Depth=2
	s_mul_hi_i32 s41, s38, s74
	s_mul_i32 s40, s38, s74
	s_lshl_b64 s[40:41], s[40:41], 2
	s_add_u32 s40, s78, s40
	s_addc_u32 s41, s99, s41
	v_lshl_add_u64 v[14:15], v[50:51], 2, s[40:41]
	v_lshlrev_b32_e32 v40, 2, v42
	v_lshl_add_u64 v[16:17], v[52:53], 2, s[40:41]
	v_lshlrev_b32_e32 v22, 2, v44
	v_mov_b32_e32 v23, v41
	v_lshl_add_u64 v[14:15], v[14:15], 0, v[40:41]
	v_mov_b32_e32 v1, s91
	v_lshl_add_u64 v[16:17], v[16:17], 0, v[22:23]
	v_lshl_add_u64 v[14:15], v[14:15], 0, s[4:5]
	v_cndmask_b32_e64 v19, v1, v17, s[8:9]
	v_cndmask_b32_e64 v18, v198, v16, s[8:9]
	v_lshl_add_u64 v[16:17], v[54:55], 2, s[40:41]
	v_cndmask_b32_e64 v15, v1, v15, s[6:7]
	v_cndmask_b32_e64 v14, v198, v14, s[6:7]
	v_lshl_add_u64 v[16:17], v[16:17], 0, v[22:23]
	scratch_store_dwordx4 off, v[204:207], off
	v_cndmask_b32_e64 v21, v1, v17, s[10:11]
	v_cndmask_b32_e64 v20, v198, v16, s[10:11]
	flat_load_dwordx4 v[14:17], v[14:15]
	v_add_u32_e32 v1, v45, v139
	s_and_b64 vcc, exec, s[34:35]
	s_waitcnt vmcnt(0) lgkmcnt(0)
	ds_write_b128 v118, v[14:17]
	flat_load_dwordx4 v[14:17], v[18:19]
	s_waitcnt vmcnt(0) lgkmcnt(0)
	ds_write_b128 v120, v[14:17]
	flat_load_dwordx4 v[14:17], v[20:21]
	s_waitcnt vmcnt(0) lgkmcnt(0)
	ds_write_b128 v179, v[14:17]
	s_waitcnt lgkmcnt(0)
	s_barrier
	ds_read2_b64 v[14:17], v1 offset1:4
	s_waitcnt lgkmcnt(0)
	v_mfma_f32_16x16x16_f16 v[18:21], v[14:15], v[10:11], 0
	v_mfma_f32_16x16x16_f16 v[14:17], v[16:17], v[12:13], v[18:21]
	s_nop 6
	ds_read2_b64 v[18:21], v1 offset0:8 offset1:12
	s_waitcnt lgkmcnt(0)
	v_mfma_f32_16x16x16_f16 v[14:17], v[18:19], v[6:7], v[14:17]
	v_mfma_f32_16x16x16_f16 v[14:17], v[20:21], v[8:9], v[14:17]
	ds_read2_b64 v[18:21], v1 offset0:16 offset1:20
	v_add_u32_e32 v1, 0x1800, v1
	s_waitcnt lgkmcnt(0)
	v_mfma_f32_16x16x16_f16 v[14:17], v[18:19], v[2:3], v[14:17]
	v_mfma_f32_16x16x16_f16 v[14:17], v[20:21], v[4:5], v[14:17]
	ds_read2_b64 v[18:21], v1 offset0:64 offset1:68
	s_waitcnt lgkmcnt(0)
	v_mfma_f32_16x16x16_f16 v[108:111], v[18:19], v[10:11], 0
	v_mfma_f32_16x16x16_f16 v[18:21], v[20:21], v[12:13], v[108:111]
	s_nop 6
	ds_read2_b64 v[108:111], v1 offset0:72 offset1:76
	s_waitcnt lgkmcnt(0)
	v_mfma_f32_16x16x16_f16 v[18:21], v[108:109], v[6:7], v[18:21]
	v_mfma_f32_16x16x16_f16 v[18:21], v[110:111], v[8:9], v[18:21]
	ds_read2_b64 v[108:111], v1 offset0:80 offset1:84
	s_waitcnt lgkmcnt(0)
	s_barrier
	v_mfma_f32_16x16x16_f16 v[18:21], v[108:109], v[2:3], v[18:21]
	v_mfma_f32_16x16x16_f16 v[18:21], v[110:111], v[4:5], v[18:21]
	s_cbranch_vccnz .LBB14_55
; %bb.54:                               ;   in Loop: Header=BB14_47 Depth=2
	v_add_u32_e32 v1, 0x3400, v141
	ds_read2_b32 v[32:33], v1 offset1:1
	ds_read_b32 v1, v143 offset:13312
	v_mov_b32_e32 v77, v76
	s_waitcnt lgkmcnt(1)
	v_cvt_f32_f16_e32 v108, v32
	v_cvt_f32_f16_sdwa v109, v32 dst_sel:DWORD dst_unused:UNUSED_PAD src0_sel:WORD_1
	v_cvt_f32_f16_e32 v32, v33
	v_cvt_f32_f16_sdwa v33, v33 dst_sel:DWORD dst_unused:UNUSED_PAD src0_sel:WORD_1
	v_pk_fma_f32 v[14:15], v[96:97], v[108:109], v[14:15]
	v_pk_fma_f32 v[16:17], v[76:77], v[32:33], v[16:17]
	s_waitcnt lgkmcnt(0)
	v_cvt_f32_f16_sdwa v33, v1 dst_sel:DWORD dst_unused:UNUSED_PAD src0_sel:WORD_1
	v_cvt_f32_f16_e32 v32, v1
	ds_read_b32 v1, v145 offset:13312
	v_pk_fma_f32 v[18:19], v[96:97], v[32:33], v[18:19]
	s_waitcnt lgkmcnt(0)
	v_cvt_f32_f16_sdwa v109, v1 dst_sel:DWORD dst_unused:UNUSED_PAD src0_sel:WORD_1
	v_cvt_f32_f16_e32 v108, v1
	v_pk_fma_f32 v[20:21], v[76:77], v[108:109], v[20:21]
.LBB14_55:                              ;   in Loop: Header=BB14_47 Depth=2
	v_add_f32_e32 v1, 0x40051340, v14
	v_max_f32_e32 v32, v31, v31
	v_max_f32_e32 v1, v32, v1
	v_cndmask_b32_e64 v1, v31, v1, s[12:13]
	v_add_f32_e32 v32, 0x40051340, v15
	v_max_f32_e32 v33, v1, v1
	v_max_f32_e32 v32, v33, v32
	v_cndmask_b32_e64 v1, v1, v32, s[14:15]
	;; [unrolled: 4-line block ×8, first 2 shown]
	ds_bpermute_b32 v32, v103, v1
	v_max_f32_e32 v1, v1, v1
	s_mul_hi_i32 s35, s38, s54
	s_mul_i32 s34, s38, s54
	s_lshl_b64 s[34:35], s[34:35], 2
	s_waitcnt lgkmcnt(0)
	v_max_f32_e32 v32, v32, v32
	v_max_f32_e32 v1, v1, v32
	ds_bpermute_b32 v32, v104, v1
	s_add_u32 s34, s89, s34
	s_addc_u32 s35, s90, s35
	scratch_store_dwordx4 off, v[204:207], off
	s_add_i32 s42, s42, 1
	s_waitcnt lgkmcnt(0)
	v_max_f32_e32 v32, v32, v32
	v_max_f32_e32 v102, v1, v32
	v_sub_f32_e32 v1, v14, v102
	v_mul_f32_e32 v14, 0x3fb8aa3b, v1
	v_fma_f32 v32, v1, s98, -v14
	v_rndne_f32_e32 v33, v14
	v_fmac_f32_e32 v32, 0x32a5705f, v1
	v_sub_f32_e32 v14, v14, v33
	v_add_f32_e32 v14, v14, v32
	v_exp_f32_e32 v14, v14
	v_cvt_i32_f32_e32 v32, v33
	v_cmp_ngt_f32_e32 vcc, s97, v1
	v_sub_f32_e32 v16, v16, v102
	v_sub_f32_e32 v18, v18, v102
	v_ldexp_f32 v14, v14, v32
	v_cndmask_b32_e32 v14, 0, v14, vcc
	v_cmp_nlt_f32_e32 vcc, s73, v1
	v_sub_f32_e32 v20, v20, v102
	s_add_i32 s38, s38, 64
	v_cndmask_b32_e32 v1, v195, v14, vcc
	v_cndmask_b32_e64 v14, 0, v1, s[12:13]
	v_sub_f32_e32 v1, v15, v102
	v_mul_f32_e32 v15, 0x3fb8aa3b, v1
	v_fma_f32 v32, v1, s98, -v15
	v_rndne_f32_e32 v33, v15
	v_fmac_f32_e32 v32, 0x32a5705f, v1
	v_sub_f32_e32 v15, v15, v33
	v_add_f32_e32 v15, v15, v32
	v_exp_f32_e32 v15, v15
	v_cvt_i32_f32_e32 v32, v33
	v_cmp_ngt_f32_e32 vcc, s97, v1
	s_cmp_lt_i32 s42, s43
	v_ldexp_f32 v15, v15, v32
	v_cndmask_b32_e32 v15, 0, v15, vcc
	v_cmp_nlt_f32_e32 vcc, s73, v1
	v_mov_b32_e32 v1, s3
	s_nop 0
	v_cndmask_b32_e32 v15, v195, v15, vcc
	v_add_f32_e32 v32, v15, v14
	v_cndmask_b32_e64 v1, v1, v15, s[14:15]
	v_cndmask_b32_e64 v15, v14, v32, s[14:15]
	v_mul_f32_e32 v32, 0x3fb8aa3b, v16
	v_fma_f32 v33, v16, s98, -v32
	v_rndne_f32_e32 v77, v32
	v_fmac_f32_e32 v33, 0x32a5705f, v16
	v_sub_f32_e32 v32, v32, v77
	v_add_f32_e32 v32, v32, v33
	v_exp_f32_e32 v32, v32
	v_cvt_i32_f32_e32 v33, v77
	v_cmp_ngt_f32_e32 vcc, s97, v16
	v_ldexp_f32 v32, v32, v33
	s_nop 0
	v_cndmask_b32_e32 v32, 0, v32, vcc
	v_cmp_nlt_f32_e32 vcc, s73, v16
	v_mov_b32_e32 v16, s3
	s_nop 0
	v_cndmask_b32_e32 v32, v195, v32, vcc
	v_add_f32_e32 v33, v15, v32
	v_cndmask_b32_e64 v16, v16, v32, s[16:17]
	v_cndmask_b32_e64 v32, v15, v33, s[16:17]
	v_sub_f32_e32 v15, v17, v102
	v_mul_f32_e32 v17, 0x3fb8aa3b, v15
	v_fma_f32 v33, v15, s98, -v17
	v_rndne_f32_e32 v77, v17
	v_fmac_f32_e32 v33, 0x32a5705f, v15
	v_sub_f32_e32 v17, v17, v77
	v_add_f32_e32 v17, v17, v33
	v_exp_f32_e32 v17, v17
	v_cvt_i32_f32_e32 v33, v77
	v_cmp_ngt_f32_e32 vcc, s97, v15
	v_ldexp_f32 v17, v17, v33
	s_nop 0
	v_cndmask_b32_e32 v17, 0, v17, vcc
	v_cmp_nlt_f32_e32 vcc, s73, v15
	v_mov_b32_e32 v15, s3
	s_nop 0
	v_cndmask_b32_e32 v17, v195, v17, vcc
	v_add_f32_e32 v33, v32, v17
	v_cndmask_b32_e64 v17, v15, v17, s[18:19]
	v_cndmask_b32_e64 v15, v32, v33, s[18:19]
	v_mul_f32_e32 v32, 0x3fb8aa3b, v18
	v_fma_f32 v33, v18, s98, -v32
	v_rndne_f32_e32 v77, v32
	v_fmac_f32_e32 v33, 0x32a5705f, v18
	v_sub_f32_e32 v32, v32, v77
	v_add_f32_e32 v32, v32, v33
	v_exp_f32_e32 v32, v32
	v_cvt_i32_f32_e32 v33, v77
	v_cmp_ngt_f32_e32 vcc, s97, v18
	v_ldexp_f32 v32, v32, v33
	s_nop 0
	v_cndmask_b32_e32 v32, 0, v32, vcc
	v_cmp_nlt_f32_e32 vcc, s73, v18
	v_mov_b32_e32 v18, s3
	s_nop 0
	v_cndmask_b32_e32 v32, v195, v32, vcc
	v_add_f32_e32 v33, v32, v15
	v_cndmask_b32_e64 v18, v18, v32, s[20:21]
	v_cndmask_b32_e64 v32, v15, v33, s[20:21]
	v_sub_f32_e32 v15, v19, v102
	v_mul_f32_e32 v19, 0x3fb8aa3b, v15
	v_fma_f32 v33, v15, s98, -v19
	v_rndne_f32_e32 v77, v19
	v_fmac_f32_e32 v33, 0x32a5705f, v15
	v_sub_f32_e32 v19, v19, v77
	v_add_f32_e32 v19, v19, v33
	v_exp_f32_e32 v19, v19
	v_cvt_i32_f32_e32 v33, v77
	v_cmp_ngt_f32_e32 vcc, s97, v15
	v_ldexp_f32 v19, v19, v33
	s_nop 0
	;; [unrolled: 39-line block ×3, first 2 shown]
	v_cndmask_b32_e32 v21, 0, v21, vcc
	v_cmp_nlt_f32_e32 vcc, s73, v19
	v_mov_b32_e32 v19, s3
	s_nop 0
	v_cndmask_b32_e32 v21, v195, v21, vcc
	v_cndmask_b32_e64 v109, v19, v21, s[26:27]
	v_sub_f32_e32 v19, v31, v102
	v_add_f32_e32 v33, v21, v32
	v_mul_f32_e32 v21, 0x3fb8aa3b, v19
	v_cndmask_b32_e64 v77, v32, v33, s[26:27]
	v_fma_f32 v31, v19, s98, -v21
	v_rndne_f32_e32 v32, v21
	v_fmac_f32_e32 v31, 0x32a5705f, v19
	v_sub_f32_e32 v21, v21, v32
	v_add_f32_e32 v21, v21, v31
	v_exp_f32_e32 v21, v21
	v_cvt_i32_f32_e32 v31, v32
	v_cmp_ngt_f32_e32 vcc, s97, v19
	v_ldexp_f32 v21, v21, v31
	s_nop 0
	v_cndmask_b32_e32 v21, 0, v21, vcc
	v_cmp_nlt_f32_e32 vcc, s73, v19
	s_nop 1
	v_cndmask_b32_e32 v21, v195, v21, vcc
	v_cmp_le_f32_e32 vcc, s92, v19
	s_nop 1
	v_cndmask_b32_e32 v19, 0, v21, vcc
	v_fmac_f32_e32 v77, v30, v19
	v_cvt_f16_f32_e32 v19, v19
	v_mul_u32_u24_e32 v199, 0x10001, v19
	v_pk_mul_f16 v111, v106, v199
	v_pk_mul_f16 v110, v105, v199
	;; [unrolled: 1-line block ×4, first 2 shown]
	v_lshl_add_u64 v[24:25], v[56:57], 2, s[34:35]
	v_lshl_add_u64 v[24:25], v[24:25], 0, v[40:41]
	v_pk_mul_f16 v30, v28, v199
	v_lshl_add_u64 v[24:25], v[24:25], 0, s[4:5]
	v_mov_b32_e32 v28, s91
	v_cndmask_b32_e64 v25, v28, v25, s[6:7]
	v_cndmask_b32_e64 v24, v198, v24, s[6:7]
	v_pk_mul_f16 v33, v27, v199
	v_pk_mul_f16 v32, v26, v199
	flat_load_dwordx4 v[24:27], v[24:25]
	v_pk_mul_f16 v31, v29, v199
	v_pk_mul_f16 v21, v101, v199
	;; [unrolled: 1-line block ×3, first 2 shown]
	v_cvt_pk_f16_f32 v101, v16, v17
	v_cvt_pk_f16_f32 v100, v14, v1
	v_pk_mul_f16 v107, v98, v199
	v_pk_mul_f16 v108, v99, v199
	v_cvt_pk_f16_f32 v99, v20, v109
	v_cvt_f32_f16_e32 v20, v21
	v_cvt_f32_f16_sdwa v21, v21 dst_sel:DWORD dst_unused:UNUSED_PAD src0_sel:WORD_1
	v_cvt_f32_f16_sdwa v109, v31 dst_sel:DWORD dst_unused:UNUSED_PAD src0_sel:WORD_1
	s_waitcnt vmcnt(0) lgkmcnt(0)
	ds_write_b128 v118, v[24:27]
	v_lshl_add_u64 v[24:25], v[58:59], 2, s[34:35]
	v_lshl_add_u64 v[24:25], v[24:25], 0, v[22:23]
	v_cndmask_b32_e64 v25, v28, v25, s[8:9]
	v_cndmask_b32_e64 v24, v198, v24, s[8:9]
	flat_load_dwordx4 v[24:27], v[24:25]
	s_waitcnt vmcnt(0) lgkmcnt(0)
	ds_write_b128 v120, v[24:27]
	v_lshl_add_u64 v[24:25], v[60:61], 2, s[34:35]
	v_lshl_add_u64 v[22:23], v[24:25], 0, v[22:23]
	v_cndmask_b32_e64 v23, v28, v23, s[10:11]
	v_cndmask_b32_e64 v22, v198, v22, s[10:11]
	flat_load_dwordx4 v[22:25], v[22:23]
	s_waitcnt vmcnt(0) lgkmcnt(0)
	ds_write_b128 v179, v[22:25]
	s_waitcnt lgkmcnt(0)
	s_barrier
	ds_read_u16 v26, v121 offset:208
	ds_read_u16 v27, v122
	ds_read_u16 v28, v122 offset:32
	ds_read_u16 v29, v123
	ds_read_u16 v40, v123 offset:32
	v_cvt_f32_f16_e32 v24, v110
	v_cvt_f32_f16_sdwa v25, v110 dst_sel:DWORD dst_unused:UNUSED_PAD src0_sel:WORD_1
	v_cvt_f32_f16_e32 v22, v111
	s_waitcnt lgkmcnt(1)
	v_perm_b32 v27, v29, v27, s93
	ds_read_u16 v29, v121
	ds_read_u16 v110, v121 offset:32
	v_cvt_f32_f16_sdwa v23, v111 dst_sel:DWORD dst_unused:UNUSED_PAD src0_sel:WORD_1
	v_cvt_f32_f16_sdwa v111, v30 dst_sel:DWORD dst_unused:UNUSED_PAD src0_sel:WORD_1
	s_waitcnt lgkmcnt(1)
	v_perm_b32 v26, v26, v29, s93
	s_nop 1
	v_mfma_f32_16x16x16_f16 v[22:25], v[26:27], v[100:101], v[22:25]
	ds_read_u16 v26, v121 offset:6656
	ds_read_u16 v27, v121 offset:6864
	;; [unrolled: 1-line block ×4, first 2 shown]
	s_nop 3
	v_cvt_f16_f32_e32 v1, v22
	v_cvt_f16_f32_e32 v16, v24
	;; [unrolled: 1-line block ×4, first 2 shown]
	v_cvt_f32_f16_e32 v22, v1
	v_cvt_f32_f16_e32 v24, v16
	;; [unrolled: 1-line block ×3, first 2 shown]
	s_waitcnt lgkmcnt(0)
	v_perm_b32 v17, v98, v29, s93
	v_perm_b32 v16, v27, v26, s93
	ds_read_u16 v1, v121 offset:240
	v_cvt_f32_f16_e32 v23, v14
	v_cvt_pk_f16_f32 v98, v18, v15
	s_waitcnt lgkmcnt(0)
	v_perm_b32 v18, v1, v110, s93
	v_mfma_f32_16x16x16_f16 v[14:17], v[16:17], v[98:99], v[22:25]
	v_cvt_f32_f16_e32 v110, v30
	s_nop 1
	v_cvt_f32_f16_e32 v22, v19
	v_cvt_f32_f16_sdwa v23, v19 dst_sel:DWORD dst_unused:UNUSED_PAD src0_sel:WORD_1
	v_perm_b32 v19, v40, v28, s93
	s_nop 1
	v_mfma_f32_16x16x16_f16 v[18:21], v[18:19], v[100:101], v[20:23]
	s_nop 2
	ds_read_u16 v22, v121 offset:6688
	ds_read_u16 v24, v121 offset:6896
	;; [unrolled: 1-line block ×4, first 2 shown]
	s_nop 0
	v_cvt_f16_f32_e32 v1, v18
	v_cvt_f16_f32_e32 v19, v19
	;; [unrolled: 1-line block ×4, first 2 shown]
	v_cvt_f32_f16_e32 v18, v1
	ds_read_u16 v1, v121 offset:64
	ds_read_u16 v26, v121 offset:272
	;; [unrolled: 1-line block ×4, first 2 shown]
	s_waitcnt lgkmcnt(4)
	v_perm_b32 v23, v25, v23, s93
	v_perm_b32 v22, v24, v22, s93
	v_cvt_f32_f16_e32 v19, v19
	v_cvt_f32_f16_e32 v20, v20
	v_cvt_f32_f16_e32 v21, v21
	s_waitcnt lgkmcnt(0)
	v_perm_b32 v27, v28, v27, s93
	v_perm_b32 v26, v26, v1, s93
	v_mfma_f32_16x16x16_f16 v[18:21], v[22:23], v[98:99], v[18:21]
	v_cvt_f32_f16_e32 v22, v108
	v_cvt_f32_f16_sdwa v23, v108 dst_sel:DWORD dst_unused:UNUSED_PAD src0_sel:WORD_1
	v_cvt_f32_f16_e32 v24, v107
	v_cvt_f32_f16_sdwa v25, v107 dst_sel:DWORD dst_unused:UNUSED_PAD src0_sel:WORD_1
	s_nop 1
	v_mfma_f32_16x16x16_f16 v[22:25], v[26:27], v[100:101], v[22:25]
	ds_read_u16 v26, v121 offset:6720
	ds_read_u16 v28, v121 offset:6928
	ds_read_u16 v27, v122 offset:6720
	ds_read_u16 v29, v123 offset:6720
	s_nop 3
	v_cvt_f16_f32_e32 v1, v22
	v_cvt_f16_f32_e32 v23, v23
	;; [unrolled: 1-line block ×4, first 2 shown]
	v_cvt_f32_f16_e32 v22, v1
	s_waitcnt lgkmcnt(0)
	v_perm_b32 v27, v29, v27, s93
	v_perm_b32 v26, v28, v26, s93
	ds_read_u16 v1, v121 offset:96
	ds_read_u16 v40, v121 offset:304
	ds_read_u16 v107, v122 offset:96
	ds_read_u16 v108, v123 offset:96
	v_cvt_f32_f16_e32 v23, v23
	v_cvt_f32_f16_e32 v24, v24
	;; [unrolled: 1-line block ×4, first 2 shown]
	v_cvt_f32_f16_sdwa v29, v32 dst_sel:DWORD dst_unused:UNUSED_PAD src0_sel:WORD_1
	v_mfma_f32_16x16x16_f16 v[22:25], v[26:27], v[98:99], v[22:25]
	v_cvt_f32_f16_e32 v26, v33
	v_cvt_f32_f16_sdwa v27, v33 dst_sel:DWORD dst_unused:UNUSED_PAD src0_sel:WORD_1
	s_waitcnt lgkmcnt(0)
	v_perm_b32 v33, v108, v107, s93
	v_perm_b32 v32, v40, v1, s93
	v_cvt_f32_f16_e32 v108, v31
	s_nop 0
	v_mfma_f32_16x16x16_f16 v[26:29], v[32:33], v[100:101], v[26:29]
	ds_read_u16 v32, v121 offset:6752
	ds_read_u16 v40, v121 offset:6960
	;; [unrolled: 1-line block ×4, first 2 shown]
	s_nop 3
	v_cvt_f16_f32_e32 v1, v26
	v_cvt_f16_f32_e32 v27, v27
	;; [unrolled: 1-line block ×4, first 2 shown]
	s_waitcnt lgkmcnt(0)
	v_perm_b32 v33, v107, v33, s93
	v_perm_b32 v32, v40, v32, s93
	v_cvt_f32_f16_e32 v26, v1
	v_cvt_f32_f16_e32 v27, v27
	;; [unrolled: 1-line block ×4, first 2 shown]
	s_nop 1
	v_mfma_f32_16x16x16_f16 v[26:29], v[32:33], v[98:99], v[26:29]
	ds_read_u16 v1, v121 offset:128
	ds_read_u16 v32, v121 offset:336
	;; [unrolled: 1-line block ×4, first 2 shown]
	s_waitcnt lgkmcnt(2)
	v_perm_b32 v30, v32, v1, s93
	s_nop 1
	v_cvt_pk_f16_f32 v27, v26, v27
	s_waitcnt lgkmcnt(0)
	v_perm_b32 v31, v40, v33, s93
	v_cvt_pk_f16_f32 v26, v28, v29
	s_nop 0
	v_mfma_f32_16x16x16_f16 v[30:33], v[30:31], v[100:101], v[108:111]
	ds_read_u16 v40, v121 offset:6784
	ds_read_u16 v107, v121 offset:6992
	s_nop 0
	ds_read_u16 v108, v122 offset:6784
	ds_read_u16 v109, v123 offset:6784
	v_cvt_f32_f16_e32 v110, v105
	v_cvt_f32_f16_sdwa v111, v105 dst_sel:DWORD dst_unused:UNUSED_PAD src0_sel:WORD_1
	s_nop 0
	v_cvt_f16_f32_e32 v1, v30
	v_cvt_f16_f32_e32 v31, v31
	;; [unrolled: 1-line block ×4, first 2 shown]
	v_cvt_f32_f16_e32 v30, v1
	s_waitcnt lgkmcnt(0)
	v_perm_b32 v109, v109, v108, s93
	v_perm_b32 v108, v107, v40, s93
	ds_read_u16 v1, v121 offset:160
	ds_read_u16 v40, v121 offset:368
	;; [unrolled: 1-line block ×4, first 2 shown]
	v_cvt_f32_f16_e32 v31, v31
	v_cvt_f32_f16_e32 v32, v32
	;; [unrolled: 1-line block ×3, first 2 shown]
	s_waitcnt lgkmcnt(0)
	v_perm_b32 v107, v199, v107, s93
	v_mfma_f32_16x16x16_f16 v[30:33], v[108:109], v[98:99], v[30:33]
	v_cvt_f32_f16_e32 v108, v106
	v_cvt_f32_f16_sdwa v109, v106 dst_sel:DWORD dst_unused:UNUSED_PAD src0_sel:WORD_1
	v_perm_b32 v106, v40, v1, s93
	s_nop 1
	v_mfma_f32_16x16x16_f16 v[106:109], v[106:107], v[100:101], v[108:111]
	ds_read_u16 v105, v121 offset:6816
	s_nop 1
	ds_read_u16 v110, v121 offset:7024
	ds_read_u16 v111, v122 offset:6816
	;; [unrolled: 1-line block ×3, first 2 shown]
	v_cvt_pk_f16_f32 v29, v30, v31
	v_cvt_pk_f16_f32 v28, v32, v33
	v_cvt_f16_f32_e32 v100, v108
	v_cvt_f16_f32_e32 v101, v109
	v_cvt_f16_f32_e32 v1, v106
	v_cvt_f16_f32_e32 v40, v107
	v_cvt_f32_f16_e32 v108, v100
	v_cvt_f32_f16_e32 v109, v101
	s_waitcnt lgkmcnt(0)
	v_perm_b32 v101, v199, v111, s93
	v_perm_b32 v100, v110, v105, s93
	v_cvt_f32_f16_e32 v106, v1
	v_cvt_f32_f16_e32 v107, v40
	v_cvt_pk_f16_f32 v105, v16, v17
	s_nop 0
	v_mfma_f32_16x16x16_f16 v[108:111], v[100:101], v[98:99], v[106:109]
	v_cvt_pk_f16_f32 v99, v22, v23
	v_cvt_pk_f16_f32 v98, v24, v25
	;; [unrolled: 1-line block ×5, first 2 shown]
	s_nop 2
	v_cvt_pk_f16_f32 v25, v108, v109
	v_cvt_pk_f16_f32 v24, v110, v111
	s_barrier
	s_cbranch_scc0 .LBB14_59
; %bb.56:                               ;   in Loop: Header=BB14_47 Depth=2
	v_mov_b32_e32 v30, v77
	v_mov_b32_e32 v31, v102
	s_branch .LBB14_47
.LBB14_57:                              ;   in Loop: Header=BB14_14 Depth=1
	s_cbranch_execz .LBB14_13
	s_branch .LBB14_139
.LBB14_58:                              ;   in Loop: Header=BB14_14 Depth=1
	v_mov_b32_e32 v102, 0xfeffffff
	v_mov_b32_e32 v77, 0
	;; [unrolled: 1-line block ×14, first 2 shown]
.LBB14_59:                              ;   in Loop: Header=BB14_14 Depth=1
	s_lshl_b32 s40, s42, 6
	v_readlane_b32 s34, v215, 4
	s_sub_i32 s48, s34, s40
	s_cmp_lg_u64 s[80:81], 0
	s_cselect_b64 s[42:43], -1, 0
	s_ashr_i32 s41, s40, 31
	s_cmp_eq_u64 s[80:81], 0
	v_readlane_b32 s35, v215, 5
	s_cbranch_scc1 .LBB14_69
; %bb.60:                               ;   in Loop: Header=BB14_14 Depth=1
	s_lshl_b64 s[34:35], s[40:41], 1
	s_add_u32 s36, s80, s34
	s_addc_u32 s37, s81, s35
	v_cmp_le_i32_e32 vcc, s48, v38
	s_and_saveexec_b64 s[34:35], vcc
	s_xor_b64 s[34:35], exec, s[34:35]
	s_cbranch_execz .LBB14_62
; %bb.61:                               ;   in Loop: Header=BB14_14 Depth=1
	ds_write_b16 v137, v41 offset:13312
	ds_write_b16 v165, v41 offset:13312
.LBB14_62:                              ;   in Loop: Header=BB14_14 Depth=1
	s_or_saveexec_b64 s[34:35], s[34:35]
	v_lshlrev_b32_e32 v40, 1, v38
	v_lshl_add_u64 v[14:15], s[36:37], 0, v[40:41]
	v_mov_b32_e32 v1, 0
	v_mov_b32_e32 v16, 0
	s_xor_b64 exec, exec, s[34:35]
	s_cbranch_execz .LBB14_64
; %bb.63:                               ;   in Loop: Header=BB14_14 Depth=1
	v_add_u32_e32 v1, s77, v112
	v_mul_hi_u32 v16, s86, v1
	v_add_u32_e32 v16, v1, v16
	v_lshrrev_b32_e32 v16, s87, v16
	v_mul_lo_u32 v16, v16, s72
	v_readlane_b32 s36, v215, 61
	v_sub_u32_e32 v1, v1, v16
	v_readlane_b32 s37, v215, 62
	s_mov_b32 s38, s36
	v_mad_i64_i32 v[16:17], s[36:37], v1, s38, 0
	v_lshl_add_u64 v[16:17], v[16:17], 1, v[14:15]
	global_load_ushort v1, v[16:17], off
	v_add_u32_e32 v16, s77, v164
	v_mul_hi_u32 v17, s86, v16
	v_add_u32_e32 v17, v16, v17
	v_lshrrev_b32_e32 v17, s87, v17
	v_mul_lo_u32 v17, v17, s72
	v_sub_u32_e32 v16, v16, v17
	v_mad_i64_i32 v[16:17], s[36:37], v16, s38, 0
	v_lshl_add_u64 v[16:17], v[16:17], 1, v[14:15]
	global_load_ushort v16, v[16:17], off
	s_waitcnt vmcnt(1)
	ds_write_b16 v137, v1 offset:13312
	s_waitcnt vmcnt(0)
	ds_write_b16 v165, v16 offset:13312
	v_add_u32_e32 v1, s77, v166
	v_mul_hi_u32 v16, s86, v1
	v_add_u32_e32 v16, v1, v16
	v_lshrrev_b32_e32 v16, s87, v16
	v_mul_lo_u32 v16, v16, s72
	v_sub_u32_e32 v1, v1, v16
	v_mad_i64_i32 v[16:17], s[36:37], v1, s38, 0
	v_lshl_add_u64 v[16:17], v[16:17], 1, v[14:15]
	global_load_ushort v1, v[16:17], off
	v_add_u32_e32 v16, s77, v168
	v_mul_hi_u32 v17, s86, v16
	v_add_u32_e32 v17, v16, v17
	v_lshrrev_b32_e32 v17, s87, v17
	v_mul_lo_u32 v17, v17, s72
	v_sub_u32_e32 v16, v16, v17
	v_mad_i64_i32 v[16:17], s[36:37], v16, s38, 0
	v_lshl_add_u64 v[16:17], v[16:17], 1, v[14:15]
	global_load_ushort v16, v[16:17], off
.LBB14_64:                              ;   in Loop: Header=BB14_14 Depth=1
	s_or_b64 exec, exec, s[34:35]
	s_waitcnt vmcnt(1)
	ds_write_b16 v167, v1 offset:13312
	s_waitcnt vmcnt(0)
	ds_write_b16 v169, v16 offset:13312
	s_and_saveexec_b64 s[34:35], vcc
	s_xor_b64 s[34:35], exec, s[34:35]
	s_cbranch_execz .LBB14_66
; %bb.65:                               ;   in Loop: Header=BB14_14 Depth=1
	ds_write_b16 v171, v41 offset:13312
	ds_write_b16 v173, v41 offset:13312
                                        ; implicit-def: $vgpr14_vgpr15
.LBB14_66:                              ;   in Loop: Header=BB14_14 Depth=1
	s_or_saveexec_b64 s[34:35], s[34:35]
	v_mov_b32_e32 v1, 0
	v_mov_b32_e32 v16, 0
	s_xor_b64 exec, exec, s[34:35]
	s_cbranch_execz .LBB14_68
; %bb.67:                               ;   in Loop: Header=BB14_14 Depth=1
	v_add_u32_e32 v1, s77, v170
	v_mul_hi_u32 v16, s86, v1
	v_add_u32_e32 v16, v1, v16
	v_lshrrev_b32_e32 v16, s87, v16
	v_mul_lo_u32 v16, v16, s72
	v_readlane_b32 s36, v215, 61
	v_sub_u32_e32 v1, v1, v16
	v_readlane_b32 s37, v215, 62
	s_mov_b32 s38, s36
	v_mad_i64_i32 v[16:17], s[36:37], v1, s38, 0
	v_lshl_add_u64 v[16:17], v[16:17], 1, v[14:15]
	global_load_ushort v1, v[16:17], off
	v_add_u32_e32 v16, s77, v172
	v_mul_hi_u32 v17, s86, v16
	v_add_u32_e32 v17, v16, v17
	v_lshrrev_b32_e32 v17, s87, v17
	v_mul_lo_u32 v17, v17, s72
	v_sub_u32_e32 v16, v16, v17
	v_mad_i64_i32 v[16:17], s[36:37], v16, s38, 0
	v_lshl_add_u64 v[16:17], v[16:17], 1, v[14:15]
	global_load_ushort v16, v[16:17], off
	s_waitcnt vmcnt(1)
	ds_write_b16 v171, v1 offset:13312
	s_waitcnt vmcnt(0)
	ds_write_b16 v173, v16 offset:13312
	v_add_u32_e32 v1, s77, v174
	v_mul_hi_u32 v16, s86, v1
	v_add_u32_e32 v16, v1, v16
	v_lshrrev_b32_e32 v16, s87, v16
	v_mul_lo_u32 v16, v16, s72
	v_sub_u32_e32 v1, v1, v16
	v_mad_i64_i32 v[16:17], s[36:37], v1, s38, 0
	v_lshl_add_u64 v[16:17], v[16:17], 1, v[14:15]
	global_load_ushort v1, v[16:17], off
	v_add_u32_e32 v16, s77, v176
	v_mul_hi_u32 v17, s86, v16
	v_add_u32_e32 v17, v16, v17
	v_lshrrev_b32_e32 v17, s87, v17
	v_mul_lo_u32 v17, v17, s72
	v_sub_u32_e32 v16, v16, v17
	v_mad_i64_i32 v[16:17], s[36:37], v16, s38, 0
	v_lshl_add_u64 v[14:15], v[16:17], 1, v[14:15]
	global_load_ushort v16, v[14:15], off
.LBB14_68:                              ;   in Loop: Header=BB14_14 Depth=1
	s_or_b64 exec, exec, s[34:35]
	s_waitcnt vmcnt(1)
	ds_write_b16 v175, v1 offset:13312
	s_waitcnt vmcnt(0)
	ds_write_b16 v177, v16 offset:13312
.LBB14_69:                              ;   in Loop: Header=BB14_14 Depth=1
	s_mul_hi_i32 s35, s40, s74
	s_mul_i32 s34, s40, s74
	s_lshl_b64 s[34:35], s[34:35], 2
	s_add_u32 s36, s78, s34
	s_addc_u32 s37, s99, s35
	v_lshl_add_u64 v[14:15], v[50:51], 2, s[36:37]
	v_lshlrev_b32_e32 v40, 2, v42
	v_lshl_add_u64 v[14:15], v[14:15], 0, v[40:41]
	v_lshl_add_u64 v[14:15], v[14:15], 0, s[4:5]
	v_mov_b32_e32 v1, s91
	v_cmp_gt_i32_e64 s[38:39], s48, v117
	scratch_store_dwordx4 off, v[204:207], off
	v_lshlrev_b32_e32 v16, 2, v44
	v_cndmask_b32_e64 v15, v1, v15, s[38:39]
	v_cndmask_b32_e64 v14, v198, v14, s[38:39]
	flat_load_dwordx4 v[18:21], v[14:15]
	v_mov_b32_e32 v17, v41
	v_lshl_add_u64 v[14:15], v[52:53], 2, s[36:37]
	v_lshl_add_u64 v[14:15], v[14:15], 0, v[16:17]
	v_cmp_gt_i32_e64 s[34:35], s48, v119
	s_andn2_b64 vcc, exec, s[42:43]
	s_waitcnt vmcnt(0) lgkmcnt(0)
	ds_write_b128 v118, v[18:21]
	v_cndmask_b32_e64 v15, v1, v15, s[34:35]
	v_cndmask_b32_e64 v14, v198, v14, s[34:35]
	flat_load_dwordx4 v[18:21], v[14:15]
	v_lshl_add_u64 v[14:15], v[54:55], 2, s[36:37]
	v_lshl_add_u64 v[14:15], v[14:15], 0, v[16:17]
	v_cmp_gt_i32_e64 s[36:37], s48, v178
	s_waitcnt vmcnt(0) lgkmcnt(0)
	ds_write_b128 v120, v[18:21]
	v_cndmask_b32_e64 v15, v1, v15, s[36:37]
	v_cndmask_b32_e64 v14, v198, v14, s[36:37]
	flat_load_dwordx4 v[18:21], v[14:15]
	v_add_u32_e32 v1, v45, v139
	v_add_u32_e32 v14, 0x1800, v1
	s_waitcnt vmcnt(0) lgkmcnt(0)
	ds_write_b128 v179, v[18:21]
	s_waitcnt lgkmcnt(0)
	s_barrier
	ds_read2_b64 v[18:21], v1 offset1:4
	ds_read2_b64 v[78:81], v14 offset0:64 offset1:68
	s_waitcnt lgkmcnt(1)
	v_mfma_f32_16x16x16_f16 v[30:33], v[18:19], v[10:11], 0
	s_waitcnt lgkmcnt(0)
	v_mfma_f32_16x16x16_f16 v[82:85], v[78:79], v[10:11], 0
	v_mfma_f32_16x16x16_f16 v[18:21], v[20:21], v[12:13], v[30:33]
	v_mfma_f32_16x16x16_f16 v[10:13], v[80:81], v[12:13], v[82:85]
	s_nop 3
	ds_read2_b64 v[30:33], v1 offset0:8 offset1:12
	ds_read2_b64 v[78:81], v14 offset0:72 offset1:76
	s_waitcnt lgkmcnt(1)
	v_mfma_f32_16x16x16_f16 v[18:21], v[30:31], v[6:7], v[18:21]
	s_waitcnt lgkmcnt(0)
	v_mfma_f32_16x16x16_f16 v[10:13], v[78:79], v[6:7], v[10:13]
	v_mfma_f32_16x16x16_f16 v[18:21], v[32:33], v[8:9], v[18:21]
	ds_read2_b64 v[30:33], v14 offset0:80 offset1:84
	v_mfma_f32_16x16x16_f16 v[6:9], v[80:81], v[8:9], v[10:13]
	s_nop 4
	ds_read2_b64 v[10:13], v1 offset0:16 offset1:20
	s_waitcnt lgkmcnt(0)
	v_mfma_f32_16x16x16_f16 v[18:21], v[10:11], v[2:3], v[18:21]
	s_barrier
	v_mfma_f32_16x16x16_f16 v[78:81], v[30:31], v[2:3], v[6:9]
	v_mfma_f32_16x16x16_f16 v[6:9], v[12:13], v[4:5], v[18:21]
	;; [unrolled: 1-line block ×3, first 2 shown]
	s_cbranch_vccnz .LBB14_71
; %bb.70:                               ;   in Loop: Header=BB14_14 Depth=1
	v_add_u32_e32 v1, 0x3400, v141
	ds_read2_b32 v[10:11], v1 offset1:1
	ds_read_b32 v1, v143 offset:13312
	s_waitcnt lgkmcnt(1)
	v_cvt_f32_f16_e32 v12, v10
	v_cvt_f32_f16_sdwa v13, v10 dst_sel:DWORD dst_unused:UNUSED_PAD src0_sel:WORD_1
	v_cvt_f32_f16_e32 v10, v11
	v_cvt_f32_f16_sdwa v11, v11 dst_sel:DWORD dst_unused:UNUSED_PAD src0_sel:WORD_1
	v_pk_fma_f32 v[6:7], v[76:77], v[12:13], v[6:7] op_sel_hi:[0,1,1]
	v_pk_fma_f32 v[8:9], v[76:77], v[10:11], v[8:9] op_sel_hi:[0,1,1]
	s_waitcnt lgkmcnt(0)
	v_cvt_f32_f16_sdwa v11, v1 dst_sel:DWORD dst_unused:UNUSED_PAD src0_sel:WORD_1
	v_cvt_f32_f16_e32 v10, v1
	ds_read_b32 v1, v145 offset:13312
	v_pk_fma_f32 v[2:3], v[76:77], v[10:11], v[2:3] op_sel_hi:[0,1,1]
	s_waitcnt lgkmcnt(0)
	v_cvt_f32_f16_sdwa v13, v1 dst_sel:DWORD dst_unused:UNUSED_PAD src0_sel:WORD_1
	v_cvt_f32_f16_e32 v12, v1
	v_pk_fma_f32 v[4:5], v[76:77], v[12:13], v[4:5] op_sel_hi:[0,1,1]
.LBB14_71:                              ;   in Loop: Header=BB14_14 Depth=1
	s_mul_hi_i32 s41, s40, s54
	s_mul_i32 s40, s40, s54
	s_lshl_b64 s[40:41], s[40:41], 2
	s_add_u32 s52, s89, s40
	s_addc_u32 s53, s90, s41
	v_lshl_add_u64 v[10:11], v[56:57], 2, s[52:53]
	v_lshl_add_u64 v[10:11], v[10:11], 0, v[40:41]
	v_lshl_add_u64 v[10:11], v[10:11], 0, s[4:5]
	v_mov_b32_e32 v20, s91
	scratch_store_dwordx4 off, v[204:207], off
	v_cndmask_b32_e64 v11, v20, v11, s[38:39]
	v_cndmask_b32_e64 v10, v198, v10, s[38:39]
	flat_load_dwordx4 v[30:33], v[10:11]
	v_add_f32_e32 v18, 0x40051340, v6
	v_max_f32_e32 v19, v102, v102
	v_and_b32_e32 v21, 64, v197
	v_xor_b32_e32 v22, 32, v197
	v_max_f32_e32 v18, v19, v18
	v_add_u32_e32 v19, 64, v21
	v_xor_b32_e32 v83, 16, v197
	v_cmp_gt_u32_e64 s[50:51], s48, v138
	v_cmp_lt_i32_e32 vcc, v22, v19
	v_add_f32_e32 v23, 0x40051340, v7
	v_cndmask_b32_e64 v84, v102, v18, s[50:51]
	v_cndmask_b32_e32 v18, v197, v22, vcc
	v_cmp_lt_i32_e32 vcc, v83, v19
	v_add_f32_e32 v40, 0x40051340, v8
	v_cmp_gt_u32_e64 s[38:39], s48, v181
	v_cndmask_b32_e32 v19, v197, v83, vcc
	v_max_f32_e32 v83, v84, v84
	v_max_f32_e32 v23, v83, v23
	v_cmp_gt_u32_e32 vcc, s48, v180
	v_add_f32_e32 v78, 0x40051340, v9
	v_cmp_gt_u32_e64 s[40:41], s48, v182
	v_cndmask_b32_e32 v23, v84, v23, vcc
	v_max_f32_e32 v83, v23, v23
	v_max_f32_e32 v40, v83, v40
	v_cndmask_b32_e64 v23, v23, v40, s[38:39]
	v_max_f32_e32 v40, v23, v23
	v_max_f32_e32 v40, v40, v78
	v_cndmask_b32_e64 v23, v23, v40, s[40:41]
	v_add_f32_e32 v79, 0x40051340, v2
	v_max_f32_e32 v40, v23, v23
	v_max_f32_e32 v40, v40, v79
	v_cmp_gt_u32_e64 s[42:43], s48, v142
	v_add_f32_e32 v80, 0x40051340, v3
	v_cmp_gt_u32_e64 s[44:45], s48, v183
	v_cndmask_b32_e64 v23, v23, v40, s[42:43]
	v_max_f32_e32 v40, v23, v23
	v_max_f32_e32 v40, v40, v80
	v_cndmask_b32_e64 v23, v23, v40, s[44:45]
	v_add_f32_e32 v81, 0x40051340, v4
	v_max_f32_e32 v40, v23, v23
	v_max_f32_e32 v40, v40, v81
	v_cmp_gt_u32_e64 s[46:47], s48, v144
	v_add_f32_e32 v82, 0x40051340, v5
	v_cmp_gt_u32_e64 s[48:49], s48, v184
	v_cndmask_b32_e64 v23, v23, v40, s[46:47]
	v_max_f32_e32 v40, v23, v23
	v_max_f32_e32 v40, v40, v82
	v_lshlrev_b32_e32 v21, 2, v18
	v_cndmask_b32_e64 v23, v23, v40, s[48:49]
	ds_bpermute_b32 v40, v21, v23
	v_max_f32_e32 v23, v23, v23
	v_lshlrev_b32_e32 v22, 2, v19
	v_lshl_add_u64 v[18:19], v[58:59], 2, s[52:53]
	v_lshl_add_u64 v[78:79], v[60:61], 2, s[52:53]
	s_waitcnt lgkmcnt(0)
	v_max_f32_e32 v40, v40, v40
	v_max_f32_e32 v23, v23, v40
	ds_bpermute_b32 v40, v22, v23
	v_lshl_add_u64 v[18:19], v[18:19], 0, v[16:17]
	v_lshl_add_u64 v[16:17], v[78:79], 0, v[16:17]
	v_cndmask_b32_e64 v19, v20, v19, s[34:35]
	v_cndmask_b32_e64 v18, v198, v18, s[34:35]
	;; [unrolled: 1-line block ×3, first 2 shown]
	s_waitcnt lgkmcnt(0)
	v_max_f32_e32 v16, v40, v40
	v_cndmask_b32_e64 v79, v20, v17, s[36:37]
	v_max_f32_e32 v20, v23, v16
	v_sub_f32_e32 v6, v6, v20
	v_sub_f32_e32 v7, v7, v20
	;; [unrolled: 1-line block ×6, first 2 shown]
	v_mul_f32_e32 v40, 0x3fb8aa3b, v2
	v_sub_f32_e32 v4, v4, v20
	v_mul_f32_e32 v80, 0x3fb8aa3b, v3
	v_fma_f32 v92, v2, s98, -v40
	v_rndne_f32_e32 v93, v40
	v_sub_f32_e32 v5, v5, v20
	v_mul_f32_e32 v81, 0x3fb8aa3b, v4
	v_fma_f32 v94, v3, s98, -v80
	s_waitcnt vmcnt(0)
	ds_write_b128 v118, v[30:33]
	flat_load_dwordx4 v[16:19], v[18:19]
	v_mul_f32_e32 v30, 0x3fb8aa3b, v6
	v_mul_f32_e32 v31, 0x3fb8aa3b, v7
	v_fma_f32 v84, v6, s98, -v30
	v_rndne_f32_e32 v85, v30
	v_mul_f32_e32 v32, 0x3fb8aa3b, v8
	v_fma_f32 v86, v7, s98, -v31
	v_rndne_f32_e32 v87, v31
	v_fmac_f32_e32 v84, 0x32a5705f, v6
	v_sub_f32_e32 v30, v30, v85
	v_mul_f32_e32 v33, 0x3fb8aa3b, v9
	v_fma_f32 v88, v8, s98, -v32
	v_rndne_f32_e32 v89, v32
	v_fmac_f32_e32 v86, 0x32a5705f, v7
	v_sub_f32_e32 v31, v31, v87
	v_add_f32_e32 v30, v30, v84
	v_fma_f32 v90, v9, s98, -v33
	v_rndne_f32_e32 v91, v33
	v_cvt_i32_f32_e32 v85, v85
	v_fmac_f32_e32 v88, 0x32a5705f, v8
	v_sub_f32_e32 v32, v32, v89
	v_add_f32_e32 v31, v31, v86
	v_exp_f32_e32 v30, v30
	v_cvt_i32_f32_e32 v87, v87
	v_fmac_f32_e32 v90, 0x32a5705f, v9
	v_sub_f32_e32 v33, v33, v91
	v_add_f32_e32 v32, v32, v88
	v_exp_f32_e32 v31, v31
	v_rndne_f32_e32 v95, v80
	v_cvt_i32_f32_e32 v89, v89
	v_fmac_f32_e32 v92, 0x32a5705f, v2
	v_sub_f32_e32 v40, v40, v93
	v_add_f32_e32 v33, v33, v90
	v_exp_f32_e32 v32, v32
	v_sub_f32_e32 v23, v102, v20
	v_mul_f32_e32 v82, 0x3fb8aa3b, v5
	v_fma_f32 v96, v4, s98, -v81
	v_rndne_f32_e32 v97, v81
	v_cvt_i32_f32_e32 v91, v91
	v_fmac_f32_e32 v94, 0x32a5705f, v3
	v_sub_f32_e32 v80, v80, v95
	v_add_f32_e32 v40, v40, v92
	v_exp_f32_e32 v33, v33
	v_mul_f32_e32 v83, 0x3fb8aa3b, v23
	v_fma_f32 v102, v5, s98, -v82
	v_rndne_f32_e32 v103, v82
	v_cvt_i32_f32_e32 v93, v93
	v_fmac_f32_e32 v96, 0x32a5705f, v4
	v_sub_f32_e32 v81, v81, v97
	v_add_f32_e32 v80, v80, v94
	v_exp_f32_e32 v40, v40
	v_ldexp_f32 v30, v30, v85
	v_cmp_ngt_f32_e64 s[34:35], s97, v6
	v_fma_f32 v104, v23, s98, -v83
	v_rndne_f32_e32 v107, v83
	v_cvt_i32_f32_e32 v95, v95
	v_fmac_f32_e32 v102, 0x32a5705f, v5
	v_sub_f32_e32 v82, v82, v103
	v_add_f32_e32 v81, v81, v96
	v_exp_f32_e32 v80, v80
	v_ldexp_f32 v31, v31, v87
	v_cndmask_b32_e64 v30, 0, v30, s[34:35]
	v_cmp_ngt_f32_e64 s[34:35], s97, v7
	v_cvt_i32_f32_e32 v97, v97
	v_fmac_f32_e32 v104, 0x32a5705f, v23
	v_sub_f32_e32 v83, v83, v107
	v_add_f32_e32 v82, v82, v102
	v_exp_f32_e32 v81, v81
	v_ldexp_f32 v32, v32, v89
	v_cndmask_b32_e64 v31, 0, v31, s[34:35]
	v_cmp_ngt_f32_e64 s[34:35], s97, v8
	v_cvt_i32_f32_e32 v103, v103
	v_add_f32_e32 v83, v83, v104
	v_ldexp_f32 v33, v33, v91
	v_cndmask_b32_e64 v32, 0, v32, s[34:35]
	v_cmp_ngt_f32_e64 s[34:35], s97, v9
	v_cvt_i32_f32_e32 v107, v107
	v_ldexp_f32 v40, v40, v93
	v_cndmask_b32_e64 v33, 0, v33, s[34:35]
	v_cmp_ngt_f32_e64 s[34:35], s97, v2
	s_waitcnt vmcnt(0) lgkmcnt(0)
	ds_write_b128 v120, v[16:19]
	flat_load_dwordx4 v[16:19], v[78:79]
	v_exp_f32_e32 v78, v82
	v_exp_f32_e32 v79, v83
	v_ldexp_f32 v80, v80, v95
	v_cndmask_b32_e64 v40, 0, v40, s[34:35]
	v_cmp_ngt_f32_e64 s[34:35], s97, v3
	v_ldexp_f32 v81, v81, v97
	v_ldexp_f32 v78, v78, v103
	v_cndmask_b32_e64 v80, 0, v80, s[34:35]
	v_cmp_ngt_f32_e64 s[34:35], s97, v4
	v_ldexp_f32 v79, v79, v107
	v_mov_b32_e32 v1, s3
	v_cndmask_b32_e64 v81, 0, v81, s[34:35]
	v_cmp_ngt_f32_e64 s[34:35], s97, v5
	v_mov_b32_e32 v10, s3
	v_mov_b32_e32 v11, s3
	v_cndmask_b32_e64 v78, 0, v78, s[34:35]
	v_cmp_ngt_f32_e64 s[34:35], s97, v23
	v_mov_b32_e32 v12, s3
	v_mov_b32_e32 v15, s3
	v_cndmask_b32_e64 v79, 0, v79, s[34:35]
	v_cmp_nlt_f32_e64 s[34:35], s73, v6
	v_mov_b32_e32 v13, s3
	v_mov_b32_e32 v14, s3
	v_cndmask_b32_e64 v6, v195, v30, s[34:35]
	v_cmp_nlt_f32_e64 s[34:35], s73, v7
	v_cndmask_b32_e64 v6, 0, v6, s[50:51]
	s_cmp_lg_u64 s[94:95], 0
	v_cndmask_b32_e64 v7, v195, v31, s[34:35]
	v_cmp_nlt_f32_e64 s[34:35], s73, v8
	s_waitcnt vmcnt(0) lgkmcnt(0)
	ds_write_b128 v179, v[16:19]
	v_cndmask_b32_e64 v30, v195, v32, s[34:35]
	v_cmp_nlt_f32_e64 s[34:35], s73, v9
	v_cndmask_b32_e64 v8, v10, v30, s[38:39]
	s_waitcnt lgkmcnt(0)
	v_cndmask_b32_e64 v9, v195, v33, s[34:35]
	v_cmp_nlt_f32_e64 s[34:35], s73, v2
	s_barrier
	s_nop 0
	v_cndmask_b32_e64 v31, v195, v40, s[34:35]
	v_cmp_nlt_f32_e64 s[34:35], s73, v3
	v_cndmask_b32_e32 v3, v1, v7, vcc
	v_add_f32_e32 v7, v7, v6
	v_cndmask_b32_e64 v32, v195, v80, s[34:35]
	v_cmp_nlt_f32_e64 s[34:35], s73, v4
	v_cndmask_b32_e32 v7, v6, v7, vcc
	v_cndmask_b32_e64 v2, v12, v31, s[42:43]
	v_cndmask_b32_e64 v33, v195, v81, s[34:35]
	v_cmp_nlt_f32_e64 s[34:35], s73, v5
	v_add_f32_e32 v12, v7, v30
	v_cndmask_b32_e64 v7, v7, v12, s[38:39]
	v_cndmask_b32_e64 v5, v195, v78, s[34:35]
	v_cmp_nlt_f32_e64 s[34:35], s73, v23
	v_cndmask_b32_e64 v78, v11, v9, s[40:41]
	v_add_f32_e32 v9, v7, v9
	v_cndmask_b32_e64 v40, v195, v79, s[34:35]
	v_cmp_le_f32_e64 s[34:35], s92, v23
	v_cndmask_b32_e64 v7, v7, v9, s[40:41]
	v_cndmask_b32_e64 v79, v15, v5, s[48:49]
	;; [unrolled: 1-line block ×3, first 2 shown]
	v_cvt_f16_f32_e32 v11, v10
	v_cndmask_b32_e64 v1, v13, v32, s[44:45]
	v_cndmask_b32_e64 v4, v14, v33, s[46:47]
	v_cvt_pk_f16_f32 v30, v6, v3
	v_mul_u32_u24_e32 v23, 0x10001, v11
	v_add_f32_e32 v11, v31, v7
	v_cndmask_b32_e64 v7, v7, v11, s[42:43]
	v_add_f32_e32 v11, v32, v7
	v_cndmask_b32_e64 v7, v7, v11, s[44:45]
	;; [unrolled: 2-line block ×4, first 2 shown]
	v_fmac_f32_e32 v82, v77, v10
	ds_read_u16 v5, v122
	ds_read_u16 v16, v122 offset:32
	ds_read_u16 v17, v122 offset:6656
	;; [unrolled: 1-line block ×7, first 2 shown]
	ds_read_u16 v7, v123
	ds_read_u16 v85, v123 offset:32
	ds_read_u16 v86, v123 offset:64
	;; [unrolled: 1-line block ×7, first 2 shown]
	v_pk_mul_f16 v9, v106, v23
	v_pk_mul_f16 v13, v105, v23
	s_waitcnt lgkmcnt(7)
	v_perm_b32 v15, v7, v5, s93
	ds_read_u16 v5, v121 offset:208
	ds_read_u16 v7, v121
	ds_read_u16 v92, v121 offset:32
	ds_read_u16 v93, v121 offset:240
	;; [unrolled: 1-line block ×6, first 2 shown]
	s_waitcnt lgkmcnt(6)
	v_perm_b32 v14, v5, v7, s93
	v_cvt_f32_f16_e32 v10, v9
	v_cvt_f32_f16_sdwa v11, v9 dst_sel:DWORD dst_unused:UNUSED_PAD src0_sel:WORD_1
	v_cvt_f32_f16_e32 v12, v13
	v_cvt_f32_f16_sdwa v13, v13 dst_sel:DWORD dst_unused:UNUSED_PAD src0_sel:WORD_1
	v_cvt_pk_f16_f32 v31, v8, v78
	v_pk_mul_f16 v40, v101, v23
	v_pk_mul_f16 v80, v100, v23
	v_mfma_f32_16x16x16_f16 v[6:9], v[14:15], v[30:31], v[10:13]
	v_pk_mul_f16 v81, v99, v23
	v_cvt_pk_f16_f32 v33, v4, v79
	v_cvt_pk_f16_f32 v32, v2, v1
	v_pk_mul_f16 v98, v98, v23
	v_pk_mul_f16 v27, v27, v23
	s_nop 2
	v_cvt_f16_f32_e32 v3, v6
	v_cvt_f16_f32_e32 v5, v7
	;; [unrolled: 1-line block ×4, first 2 shown]
	v_cvt_f32_f16_e32 v6, v3
	ds_read_u16 v3, v123 offset:6656
	ds_read_u16 v12, v123 offset:6688
	;; [unrolled: 1-line block ×8, first 2 shown]
	v_cvt_f32_f16_e32 v7, v5
	s_waitcnt lgkmcnt(7)
	v_perm_b32 v11, v3, v17, s93
	ds_read_u16 v3, v121 offset:6656
	ds_read_u16 v13, v121 offset:6688
	;; [unrolled: 1-line block ×16, first 2 shown]
	s_waitcnt lgkmcnt(7)
	v_perm_b32 v10, v5, v3, s93
	v_cvt_f32_f16_e32 v8, v8
	v_cvt_f32_f16_e32 v9, v9
	v_perm_b32 v14, v14, v94, s93
	v_pk_mul_f16 v28, v28, v23
	v_mfma_f32_16x16x16_f16 v[2:5], v[10:11], v[32:33], v[6:9]
	v_perm_b32 v11, v85, v16, s93
	v_perm_b32 v10, v93, v92, s93
	s_nop 0
	v_cvt_f32_f16_e32 v6, v40
	v_cvt_f32_f16_sdwa v7, v40 dst_sel:DWORD dst_unused:UNUSED_PAD src0_sel:WORD_1
	v_cvt_f32_f16_e32 v8, v80
	v_cvt_f32_f16_sdwa v9, v80 dst_sel:DWORD dst_unused:UNUSED_PAD src0_sel:WORD_1
	v_pk_mul_f16 v16, v26, v23
	v_pk_mul_f16 v26, v29, v23
	v_mfma_f32_16x16x16_f16 v[6:9], v[10:11], v[30:31], v[6:9]
	v_perm_b32 v11, v12, v18, s93
	s_waitcnt lgkmcnt(6)
	v_perm_b32 v10, v15, v13, s93
	v_perm_b32 v15, v86, v19, s93
	v_cvt_f32_f16_e32 v12, v98
	s_nop 2
	v_cvt_f16_f32_e32 v1, v6
	v_cvt_f16_f32_e32 v7, v7
	;; [unrolled: 1-line block ×4, first 2 shown]
	v_cvt_f32_f16_e32 v6, v1
	v_cvt_f32_f16_e32 v7, v7
	;; [unrolled: 1-line block ×4, first 2 shown]
	v_cvt_f32_f16_sdwa v13, v98 dst_sel:DWORD dst_unused:UNUSED_PAD src0_sel:WORD_1
	v_cvt_f16_f32_e32 v1, v4
	v_mfma_f32_16x16x16_f16 v[6:9], v[10:11], v[32:33], v[6:9]
	v_cvt_f32_f16_e32 v10, v81
	v_cvt_f32_f16_sdwa v11, v81 dst_sel:DWORD dst_unused:UNUSED_PAD src0_sel:WORD_1
	v_cvt_f16_f32_e32 v18, v5
	v_pk_mul_f16 v25, v25, v23
	v_mfma_f32_16x16x16_f16 v[10:13], v[14:15], v[30:31], v[10:13]
	v_perm_b32 v1, v18, v1, s93
	s_nop 1
	v_cvt_f16_f32_e32 v18, v9
	v_cvt_f32_f16_e32 v14, v16
	v_cvt_f32_f16_sdwa v15, v16 dst_sel:DWORD dst_unused:UNUSED_PAD src0_sel:WORD_1
	s_nop 1
	v_cvt_f16_f32_e32 v4, v10
	v_cvt_f16_f32_e32 v5, v11
	;; [unrolled: 1-line block ×4, first 2 shown]
	v_cvt_f32_f16_e32 v10, v4
	v_cvt_f32_f16_e32 v11, v5
	v_perm_b32 v5, v78, v87, s93
	s_waitcnt lgkmcnt(5)
	v_perm_b32 v4, v108, v17, s93
	v_cvt_f32_f16_e32 v12, v12
	v_cvt_f32_f16_e32 v13, v13
	v_cvt_f16_f32_e32 v17, v8
	v_pk_mul_f16 v23, v24, v23
	v_mfma_f32_16x16x16_f16 v[8:11], v[4:5], v[32:33], v[10:13]
	v_perm_b32 v5, v88, v77, s93
	v_perm_b32 v4, v104, v95, s93
	s_nop 0
	v_cvt_f32_f16_e32 v12, v27
	v_cvt_f32_f16_sdwa v13, v27 dst_sel:DWORD dst_unused:UNUSED_PAD src0_sel:WORD_1
	s_nop 2
	v_cvt_f16_f32_e32 v19, v10
	v_cvt_f16_f32_e32 v24, v11
	v_mfma_f32_16x16x16_f16 v[12:15], v[4:5], v[30:31], v[12:15]
	v_perm_b32 v18, v18, v17, s93
	v_cvt_f32_f16_e32 v16, v28
	v_cvt_f32_f16_sdwa v17, v28 dst_sel:DWORD dst_unused:UNUSED_PAD src0_sel:WORD_1
	v_perm_b32 v19, v24, v19, s93
	s_nop 3
	v_cvt_f16_f32_e32 v4, v12
	v_cvt_f16_f32_e32 v5, v13
	;; [unrolled: 1-line block ×4, first 2 shown]
	v_cvt_f32_f16_e32 v12, v4
	v_cvt_f32_f16_e32 v13, v5
	v_perm_b32 v5, v99, v89, s93
	s_waitcnt lgkmcnt(4)
	v_perm_b32 v4, v109, v105, s93
	v_cvt_f32_f16_e32 v14, v14
	v_cvt_f32_f16_e32 v15, v15
	;; [unrolled: 1-line block ×3, first 2 shown]
	v_cvt_f32_f16_sdwa v25, v25 dst_sel:DWORD dst_unused:UNUSED_PAD src0_sel:WORD_1
	v_mfma_f32_16x16x16_f16 v[10:13], v[4:5], v[32:33], v[12:15]
	v_perm_b32 v5, v100, v83, s93
	v_perm_b32 v4, v106, v96, s93
	s_nop 0
	v_cvt_f32_f16_e32 v14, v26
	v_cvt_f32_f16_sdwa v15, v26 dst_sel:DWORD dst_unused:UNUSED_PAD src0_sel:WORD_1
	s_nop 2
	v_cvt_f16_f32_e32 v83, v12
	v_cvt_f16_f32_e32 v85, v13
	v_mfma_f32_16x16x16_f16 v[14:17], v[4:5], v[30:31], v[14:17]
	v_cvt_f32_f16_e32 v26, v23
	v_cvt_f32_f16_sdwa v27, v23 dst_sel:DWORD dst_unused:UNUSED_PAD src0_sel:WORD_1
	v_perm_b32 v23, v85, v83, s93
	v_cvt_f16_f32_e32 v29, v2
	s_nop 3
	v_cvt_f16_f32_e32 v4, v14
	v_cvt_f16_f32_e32 v5, v15
	;; [unrolled: 1-line block ×4, first 2 shown]
	v_cvt_f32_f16_e32 v14, v4
	v_cvt_f32_f16_e32 v15, v5
	v_perm_b32 v5, v101, v90, s93
	s_waitcnt lgkmcnt(2)
	v_perm_b32 v4, v111, v110, s93
	v_cvt_f32_f16_e32 v16, v16
	v_cvt_f32_f16_e32 v17, v17
	v_cvt_f16_f32_e32 v40, v3
	v_cvt_f16_f32_e32 v77, v6
	v_mfma_f32_16x16x16_f16 v[12:15], v[4:5], v[32:33], v[14:17]
	v_perm_b32 v5, v103, v84, s93
	v_perm_b32 v4, v107, v97, s93
	v_cvt_f16_f32_e32 v78, v7
	v_cvt_f16_f32_e32 v79, v8
	s_nop 3
	v_cvt_f16_f32_e32 v83, v14
	v_cvt_f16_f32_e32 v84, v15
	v_mfma_f32_16x16x16_f16 v[14:17], v[4:5], v[30:31], v[24:27]
	v_cvt_f16_f32_e32 v28, v9
	v_cvt_f16_f32_e32 v80, v10
	;; [unrolled: 1-line block ×5, first 2 shown]
	s_nop 2
	v_cvt_f16_f32_e32 v4, v14
	v_cvt_f16_f32_e32 v5, v15
	;; [unrolled: 1-line block ×4, first 2 shown]
	v_cvt_f32_f16_e32 v14, v4
	v_cvt_f32_f16_e32 v15, v5
	v_perm_b32 v5, v102, v91, s93
	s_waitcnt lgkmcnt(0)
	v_perm_b32 v4, v199, v200, s93
	v_cvt_f32_f16_e32 v16, v16
	v_cvt_f32_f16_e32 v17, v17
	v_readlane_b32 s40, v215, 38
	s_cselect_b64 s[34:35], -1, 0
	v_mfma_f32_16x16x16_f16 v[14:17], v[4:5], v[32:33], v[14:17]
	ds_bpermute_b32 v4, v21, v82
	v_readlane_b32 s41, v215, 39
	v_perm_b32 v24, v84, v83, s93
	s_and_b64 s[36:37], s[40:41], s[34:35]
	s_nop 3
	v_cvt_f16_f32_e32 v5, v14
	s_waitcnt lgkmcnt(0)
	v_add_f32_e32 v4, v82, v4
	ds_bpermute_b32 v21, v22, v4
	v_cvt_f16_f32_e32 v16, v16
	v_cvt_f16_f32_e32 v17, v17
	;; [unrolled: 1-line block ×3, first 2 shown]
	v_perm_b32 v25, v28, v79, s93
	s_waitcnt lgkmcnt(0)
	v_add_f32_e32 v21, v4, v21
	v_perm_b32 v16, v17, v16, s93
	v_perm_b32 v17, v81, v80, s93
	;; [unrolled: 1-line block ×6, first 2 shown]
	s_barrier
	s_and_saveexec_b64 s[34:35], s[36:37]
	s_cbranch_execz .LBB14_73
; %bb.72:                               ;   in Loop: Header=BB14_14 Depth=1
	v_cvt_pk_f16_f32 v5, v8, v9
	global_load_dword v9, v41, s[94:95]
	v_cvt_pk_f16_f32 v3, v2, v3
	v_cvt_pk_f16_f32 v4, v6, v7
	;; [unrolled: 1-line block ×3, first 2 shown]
	v_max_f32_e32 v10, v20, v20
	v_cvt_pk_f16_f32 v7, v12, v13
	v_cvt_pk_f16_f32 v8, v14, v15
	s_waitcnt vmcnt(0)
	v_max_f32_e32 v2, v9, v9
	v_max_f32_e32 v2, v10, v2
	v_sub_f32_e32 v10, v20, v2
	v_mul_f32_e32 v11, 0x3fb8aa3b, v10
	v_fma_f32 v12, v10, s98, -v11
	v_rndne_f32_e32 v13, v11
	v_fmac_f32_e32 v12, 0x32a5705f, v10
	v_sub_f32_e32 v11, v11, v13
	v_add_f32_e32 v11, v11, v12
	v_exp_f32_e32 v11, v11
	v_cvt_i32_f32_e32 v12, v13
	v_cmp_ngt_f32_e32 vcc, s97, v10
	v_sub_f32_e32 v9, v9, v2
	v_ldexp_f32 v11, v11, v12
	v_cndmask_b32_e32 v11, 0, v11, vcc
	v_cmp_nlt_f32_e32 vcc, s73, v10
	s_nop 1
	v_cndmask_b32_e32 v11, v195, v11, vcc
	v_cmp_le_f32_e32 vcc, s92, v10
	s_nop 1
	v_cndmask_b32_e32 v10, 0, v11, vcc
	v_cvt_f16_f32_e32 v11, v10
	v_cmp_ngt_f32_e32 vcc, s97, v9
	v_mul_u32_u24_e32 v11, 0x10001, v11
	v_pk_mul_f16 v27, v3, v11
	v_mul_f32_e32 v3, 0x3fb8aa3b, v9
	v_pk_mul_f16 v26, v4, v11
	v_pk_mul_f16 v25, v5, v11
	v_fma_f32 v4, v9, s98, -v3
	v_rndne_f32_e32 v5, v3
	v_fmac_f32_e32 v4, 0x32a5705f, v9
	v_sub_f32_e32 v3, v3, v5
	v_add_f32_e32 v3, v3, v4
	v_exp_f32_e32 v3, v3
	v_cvt_i32_f32_e32 v4, v5
	v_pk_mul_f16 v1, v1, v11
	v_pk_mul_f16 v18, v18, v11
	;; [unrolled: 1-line block ×3, first 2 shown]
	v_ldexp_f32 v3, v3, v4
	v_cndmask_b32_e32 v3, 0, v3, vcc
	v_cmp_nlt_f32_e32 vcc, s73, v9
	v_pk_mul_f16 v17, v6, v11
	v_pk_mul_f16 v23, v23, v11
	v_cndmask_b32_e32 v3, v195, v3, vcc
	v_fmac_f32_e32 v3, v21, v10
	v_pk_mul_f16 v28, v7, v11
	v_pk_mul_f16 v24, v24, v11
	;; [unrolled: 1-line block ×4, first 2 shown]
	v_mov_b64_e32 v[20:21], v[2:3]
.LBB14_73:                              ;   in Loop: Header=BB14_14 Depth=1
	s_or_b64 exec, exec, s[34:35]
	s_mov_b64 s[34:35], exec
	v_readlane_b32 s36, v215, 57
	v_readlane_b32 s37, v215, 58
	s_and_b64 s[36:37], s[34:35], s[36:37]
	v_readlane_b32 s48, v214, 1
	s_movk_i32 s53, 0x47
	s_mov_b64 exec, s[36:37]
; %bb.74:                               ;   in Loop: Header=BB14_14 Depth=1
	v_add_u32_e32 v2, 0, v146
	ds_write2_b32 v2, v20, v21 offset0:48 offset1:49
; %bb.75:                               ;   in Loop: Header=BB14_14 Depth=1
	s_or_b64 exec, exec, s[34:35]
	s_waitcnt lgkmcnt(0)
	s_barrier
	s_mov_b64 s[34:35], exec
	v_readlane_b32 s36, v215, 40
	v_readlane_b32 s37, v215, 41
	s_and_b64 s[36:37], s[34:35], s[36:37]
	s_xor_b64 s[34:35], s[36:37], s[34:35]
	s_mov_b64 exec, s[36:37]
	s_cbranch_execz .LBB14_77
; %bb.76:                               ;   in Loop: Header=BB14_14 Depth=1
	s_barrier
                                        ; implicit-def: $vgpr22
.LBB14_77:                              ;   in Loop: Header=BB14_14 Depth=1
	s_andn2_saveexec_b64 s[34:35], s[34:35]
	s_cbranch_execz .LBB14_83
; %bb.78:                               ;   in Loop: Header=BB14_14 Depth=1
	v_add_u32_e32 v3, 0, v147
	ds_read_b64 v[6:7], v3 offset:192
	s_waitcnt lgkmcnt(0)
	s_barrier
	ds_bpermute_b32 v2, v22, v6
	v_max_f32_e32 v4, v6, v6
	s_waitcnt lgkmcnt(0)
	v_max_f32_e32 v2, v2, v2
	v_max_f32_e32 v2, v4, v2
	v_sub_f32_e32 v4, v6, v2
	v_mul_f32_e32 v5, 0x3fb8aa3b, v4
	v_fma_f32 v6, v4, s98, -v5
	v_rndne_f32_e32 v8, v5
	v_fmac_f32_e32 v6, 0x32a5705f, v4
	v_sub_f32_e32 v5, v5, v8
	v_add_f32_e32 v5, v5, v6
	v_cvt_i32_f32_e32 v8, v8
	v_exp_f32_e32 v5, v5
	v_cmp_ngt_f32_e32 vcc, s97, v4
	v_ldexp_f32 v5, v5, v8
	s_nop 0
	v_cndmask_b32_e32 v5, 0, v5, vcc
	v_cmp_nlt_f32_e32 vcc, s73, v4
	s_nop 1
	v_cndmask_b32_e32 v4, v195, v5, vcc
	v_mul_f32_e32 v5, v7, v4
	ds_bpermute_b32 v5, v22, v5
	s_waitcnt lgkmcnt(0)
	v_fmac_f32_e32 v5, v7, v4
	s_mov_b64 s[36:37], exec
	v_readlane_b32 s38, v215, 59
	v_readlane_b32 s39, v215, 60
	s_and_b64 s[38:39], s[36:37], s[38:39]
	s_mov_b64 exec, s[38:39]
; %bb.79:                               ;   in Loop: Header=BB14_14 Depth=1
	ds_write_b64 v3, v[4:5] offset:192
; %bb.80:                               ;   in Loop: Header=BB14_14 Depth=1
	s_or_b64 exec, exec, s[36:37]
	s_mov_b64 s[36:37], exec
	v_readlane_b32 s38, v215, 57
	v_readlane_b32 s39, v215, 58
	s_and_b64 s[38:39], s[36:37], s[38:39]
	s_mov_b64 exec, s[38:39]
	s_cbranch_execz .LBB14_82
; %bb.81:                               ;   in Loop: Header=BB14_14 Depth=1
	v_mov_b32_e32 v3, v5
	global_store_dwordx2 v[46:47], v[2:3], off
.LBB14_82:                              ;   in Loop: Header=BB14_14 Depth=1
	s_or_b64 exec, exec, s[36:37]
.LBB14_83:                              ;   in Loop: Header=BB14_14 Depth=1
	s_or_b64 exec, exec, s[34:35]
	ds_write2_b32 v124, v27, v1 offset1:1
	ds_write2_b32 v124, v26, v18 offset0:8 offset1:9
	ds_write2_b32 v124, v25, v19 offset0:16 offset1:17
	;; [unrolled: 1-line block ×5, first 2 shown]
	s_waitcnt lgkmcnt(0)
	s_barrier
	s_and_saveexec_b64 s[34:35], s[40:41]
	s_cbranch_execz .LBB14_138
; %bb.84:                               ;   in Loop: Header=BB14_14 Depth=1
	v_add_u32_e32 v1, s77, v125
	v_cmp_gt_i32_e32 vcc, s72, v1
	v_mov_b32_e32 v2, 0x47
	s_and_saveexec_b64 s[36:37], vcc
	s_cbranch_execz .LBB14_86
; %bb.85:                               ;   in Loop: Header=BB14_14 Depth=1
	v_add_u32_e32 v4, v162, v148
	ds_read2st64_b32 v[4:5], v4 offset1:13
	v_add_u32_e32 v2, 0, v148
	v_add_u32_e32 v2, 0xc0, v2
	ds_read2st64_b32 v[2:3], v2 offset1:13
	v_readlane_b32 s38, v215, 45
	s_waitcnt lgkmcnt(1)
	v_cvt_f32_f16_e32 v8, v4
	v_cvt_f32_f16_sdwa v9, v4 dst_sel:DWORD dst_unused:UNUSED_PAD src0_sel:WORD_1
	v_cvt_f32_f16_e32 v4, v5
	v_cvt_f32_f16_sdwa v5, v5 dst_sel:DWORD dst_unused:UNUSED_PAD src0_sel:WORD_1
	v_mad_u64_u32 v[6:7], s[38:39], v1, s38, v[34:35]
	v_readlane_b32 s38, v214, 3
	v_ashrrev_i32_e32 v7, 31, v6
	v_readlane_b32 s39, v214, 4
	s_waitcnt lgkmcnt(0)
	v_pk_fma_f32 v[8:9], v[2:3], v[8:9], 0 op_sel_hi:[0,1,0]
	v_mov_b32_e32 v2, v3
	v_lshl_add_u64 v[6:7], v[6:7], 3, s[38:39]
	v_pk_fma_f32 v[2:3], v[2:3], v[4:5], v[8:9] op_sel_hi:[0,1,1]
	global_store_dwordx2 v[6:7], v[2:3], off
	v_mov_b32_e32 v2, 0
.LBB14_86:                              ;   in Loop: Header=BB14_14 Depth=1
	s_or_b64 exec, exec, s[36:37]
	v_cmp_gt_i32_e32 vcc, s53, v2
	s_mov_b64 s[38:39], -1
	s_and_saveexec_b64 s[36:37], vcc
; %bb.87:                               ;   in Loop: Header=BB14_14 Depth=1
	v_cmp_eq_u32_e32 vcc, 0, v2
	s_orn2_b64 s[38:39], vcc, exec
; %bb.88:                               ;   in Loop: Header=BB14_14 Depth=1
	s_or_b64 exec, exec, s[36:37]
	s_and_saveexec_b64 s[36:37], s[38:39]
	s_cbranch_execz .LBB14_121
; %bb.89:                               ;   in Loop: Header=BB14_14 Depth=1
	v_add_u32_e32 v1, s77, v127
	v_cmp_gt_i32_e32 vcc, s72, v1
	v_mov_b32_e32 v2, 0x47
	s_and_saveexec_b64 s[38:39], vcc
	s_cbranch_execz .LBB14_91
; %bb.90:                               ;   in Loop: Header=BB14_14 Depth=1
	v_add_u32_e32 v4, v162, v149
	ds_read2st64_b32 v[4:5], v4 offset1:13
	v_add_u32_e32 v2, 0, v149
	v_add_u32_e32 v2, 0xc0, v2
	ds_read2st64_b32 v[2:3], v2 offset1:13
	v_readlane_b32 s40, v215, 45
	s_waitcnt lgkmcnt(1)
	v_cvt_f32_f16_e32 v8, v4
	v_cvt_f32_f16_sdwa v9, v4 dst_sel:DWORD dst_unused:UNUSED_PAD src0_sel:WORD_1
	v_cvt_f32_f16_e32 v4, v5
	v_cvt_f32_f16_sdwa v5, v5 dst_sel:DWORD dst_unused:UNUSED_PAD src0_sel:WORD_1
	v_mad_u64_u32 v[6:7], s[40:41], v1, s40, v[34:35]
	v_readlane_b32 s40, v214, 3
	v_ashrrev_i32_e32 v7, 31, v6
	v_readlane_b32 s41, v214, 4
	s_waitcnt lgkmcnt(0)
	v_pk_fma_f32 v[8:9], v[2:3], v[8:9], 0 op_sel_hi:[0,1,0]
	v_mov_b32_e32 v2, v3
	v_lshl_add_u64 v[6:7], v[6:7], 3, s[40:41]
	v_pk_fma_f32 v[2:3], v[2:3], v[4:5], v[8:9] op_sel_hi:[0,1,1]
	global_store_dwordx2 v[6:7], v[2:3], off
	v_mov_b32_e32 v2, 0
.LBB14_91:                              ;   in Loop: Header=BB14_14 Depth=1
	s_or_b64 exec, exec, s[38:39]
	v_cmp_gt_i32_e32 vcc, s53, v2
	s_mov_b64 s[38:39], -1
	s_and_saveexec_b64 s[40:41], vcc
; %bb.92:                               ;   in Loop: Header=BB14_14 Depth=1
	v_cmp_eq_u32_e32 vcc, 0, v2
	s_orn2_b64 s[38:39], vcc, exec
; %bb.93:                               ;   in Loop: Header=BB14_14 Depth=1
	s_or_b64 exec, exec, s[40:41]
	s_and_b64 exec, exec, s[38:39]
	s_cbranch_execz .LBB14_121
; %bb.94:                               ;   in Loop: Header=BB14_14 Depth=1
	v_add_u32_e32 v1, s77, v128
	v_cmp_gt_i32_e32 vcc, s72, v1
	v_mov_b32_e32 v2, 0x47
	s_and_saveexec_b64 s[38:39], vcc
	s_cbranch_execz .LBB14_96
; %bb.95:                               ;   in Loop: Header=BB14_14 Depth=1
	v_add_u32_e32 v4, v162, v150
	ds_read2st64_b32 v[4:5], v4 offset1:13
	v_add_u32_e32 v2, 0, v150
	v_add_u32_e32 v2, 0xc0, v2
	ds_read2st64_b32 v[2:3], v2 offset1:13
	v_readlane_b32 s40, v215, 45
	s_waitcnt lgkmcnt(1)
	v_cvt_f32_f16_e32 v8, v4
	v_cvt_f32_f16_sdwa v9, v4 dst_sel:DWORD dst_unused:UNUSED_PAD src0_sel:WORD_1
	v_cvt_f32_f16_e32 v4, v5
	v_cvt_f32_f16_sdwa v5, v5 dst_sel:DWORD dst_unused:UNUSED_PAD src0_sel:WORD_1
	v_mad_u64_u32 v[6:7], s[40:41], v1, s40, v[34:35]
	v_readlane_b32 s40, v214, 3
	v_ashrrev_i32_e32 v7, 31, v6
	v_readlane_b32 s41, v214, 4
	s_waitcnt lgkmcnt(0)
	v_pk_fma_f32 v[8:9], v[2:3], v[8:9], 0 op_sel_hi:[0,1,0]
	v_mov_b32_e32 v2, v3
	v_lshl_add_u64 v[6:7], v[6:7], 3, s[40:41]
	v_pk_fma_f32 v[2:3], v[2:3], v[4:5], v[8:9] op_sel_hi:[0,1,1]
	global_store_dwordx2 v[6:7], v[2:3], off
	v_mov_b32_e32 v2, 0
.LBB14_96:                              ;   in Loop: Header=BB14_14 Depth=1
	s_or_b64 exec, exec, s[38:39]
	v_cmp_gt_i32_e32 vcc, s53, v2
	s_mov_b64 s[38:39], -1
	s_and_saveexec_b64 s[40:41], vcc
; %bb.97:                               ;   in Loop: Header=BB14_14 Depth=1
	v_cmp_eq_u32_e32 vcc, 0, v2
	s_orn2_b64 s[38:39], vcc, exec
; %bb.98:                               ;   in Loop: Header=BB14_14 Depth=1
	s_or_b64 exec, exec, s[40:41]
	s_and_b64 exec, exec, s[38:39]
	s_cbranch_execz .LBB14_121
; %bb.99:                               ;   in Loop: Header=BB14_14 Depth=1
	v_add_u32_e32 v1, s77, v129
	v_cmp_gt_i32_e32 vcc, s72, v1
	v_mov_b32_e32 v2, 0x47
	s_and_saveexec_b64 s[38:39], vcc
	s_cbranch_execz .LBB14_101
; %bb.100:                              ;   in Loop: Header=BB14_14 Depth=1
	v_add_u32_e32 v4, v162, v151
	ds_read2st64_b32 v[4:5], v4 offset1:13
	v_add_u32_e32 v2, 0, v151
	v_add_u32_e32 v2, 0xc0, v2
	ds_read2st64_b32 v[2:3], v2 offset1:13
	v_readlane_b32 s40, v215, 45
	s_waitcnt lgkmcnt(1)
	v_cvt_f32_f16_e32 v8, v4
	v_cvt_f32_f16_sdwa v9, v4 dst_sel:DWORD dst_unused:UNUSED_PAD src0_sel:WORD_1
	v_cvt_f32_f16_e32 v4, v5
	v_cvt_f32_f16_sdwa v5, v5 dst_sel:DWORD dst_unused:UNUSED_PAD src0_sel:WORD_1
	v_mad_u64_u32 v[6:7], s[40:41], v1, s40, v[34:35]
	v_readlane_b32 s40, v214, 3
	v_ashrrev_i32_e32 v7, 31, v6
	v_readlane_b32 s41, v214, 4
	s_waitcnt lgkmcnt(0)
	v_pk_fma_f32 v[8:9], v[2:3], v[8:9], 0 op_sel_hi:[0,1,0]
	v_mov_b32_e32 v2, v3
	v_lshl_add_u64 v[6:7], v[6:7], 3, s[40:41]
	v_pk_fma_f32 v[2:3], v[2:3], v[4:5], v[8:9] op_sel_hi:[0,1,1]
	global_store_dwordx2 v[6:7], v[2:3], off
	v_mov_b32_e32 v2, 0
.LBB14_101:                             ;   in Loop: Header=BB14_14 Depth=1
	s_or_b64 exec, exec, s[38:39]
	v_cmp_gt_i32_e32 vcc, s53, v2
	s_mov_b64 s[38:39], -1
	s_and_saveexec_b64 s[40:41], vcc
; %bb.102:                              ;   in Loop: Header=BB14_14 Depth=1
	v_cmp_eq_u32_e32 vcc, 0, v2
	s_orn2_b64 s[38:39], vcc, exec
; %bb.103:                              ;   in Loop: Header=BB14_14 Depth=1
	s_or_b64 exec, exec, s[40:41]
	s_and_b64 exec, exec, s[38:39]
	s_cbranch_execz .LBB14_121
; %bb.104:                              ;   in Loop: Header=BB14_14 Depth=1
	v_add_u32_e32 v1, s77, v130
	v_cmp_gt_i32_e32 vcc, s72, v1
	v_mov_b32_e32 v2, 0x47
	s_and_saveexec_b64 s[38:39], vcc
	s_cbranch_execz .LBB14_106
; %bb.105:                              ;   in Loop: Header=BB14_14 Depth=1
	v_add_u32_e32 v4, v162, v152
	ds_read2st64_b32 v[4:5], v4 offset1:13
	v_add_u32_e32 v2, 0, v152
	v_add_u32_e32 v2, 0xc0, v2
	ds_read2st64_b32 v[2:3], v2 offset1:13
	v_readlane_b32 s40, v215, 45
	s_waitcnt lgkmcnt(1)
	v_cvt_f32_f16_e32 v8, v4
	v_cvt_f32_f16_sdwa v9, v4 dst_sel:DWORD dst_unused:UNUSED_PAD src0_sel:WORD_1
	v_cvt_f32_f16_e32 v4, v5
	v_cvt_f32_f16_sdwa v5, v5 dst_sel:DWORD dst_unused:UNUSED_PAD src0_sel:WORD_1
	v_mad_u64_u32 v[6:7], s[40:41], v1, s40, v[34:35]
	v_readlane_b32 s40, v214, 3
	v_ashrrev_i32_e32 v7, 31, v6
	v_readlane_b32 s41, v214, 4
	s_waitcnt lgkmcnt(0)
	v_pk_fma_f32 v[8:9], v[2:3], v[8:9], 0 op_sel_hi:[0,1,0]
	v_mov_b32_e32 v2, v3
	v_lshl_add_u64 v[6:7], v[6:7], 3, s[40:41]
	v_pk_fma_f32 v[2:3], v[2:3], v[4:5], v[8:9] op_sel_hi:[0,1,1]
	global_store_dwordx2 v[6:7], v[2:3], off
	v_mov_b32_e32 v2, 0
.LBB14_106:                             ;   in Loop: Header=BB14_14 Depth=1
	s_or_b64 exec, exec, s[38:39]
	v_cmp_gt_i32_e32 vcc, s53, v2
	s_mov_b64 s[38:39], -1
	s_and_saveexec_b64 s[40:41], vcc
; %bb.107:                              ;   in Loop: Header=BB14_14 Depth=1
	v_cmp_eq_u32_e32 vcc, 0, v2
	s_orn2_b64 s[38:39], vcc, exec
; %bb.108:                              ;   in Loop: Header=BB14_14 Depth=1
	s_or_b64 exec, exec, s[40:41]
	s_and_b64 exec, exec, s[38:39]
	s_cbranch_execz .LBB14_121
; %bb.109:                              ;   in Loop: Header=BB14_14 Depth=1
	;; [unrolled: 41-line block ×4, first 2 shown]
	v_add_u32_e32 v1, s77, v133
	v_cmp_gt_i32_e32 vcc, s72, v1
	s_and_b64 exec, exec, vcc
	s_cbranch_execz .LBB14_121
; %bb.120:                              ;   in Loop: Header=BB14_14 Depth=1
	v_add_u32_e32 v4, v162, v155
	ds_read2st64_b32 v[4:5], v4 offset1:13
	v_add_u32_e32 v2, 0, v155
	v_add_u32_e32 v2, 0xc0, v2
	ds_read2st64_b32 v[2:3], v2 offset1:13
	v_readlane_b32 s38, v215, 45
	s_waitcnt lgkmcnt(1)
	v_cvt_f32_f16_e32 v8, v4
	v_cvt_f32_f16_sdwa v9, v4 dst_sel:DWORD dst_unused:UNUSED_PAD src0_sel:WORD_1
	v_cvt_f32_f16_e32 v4, v5
	v_cvt_f32_f16_sdwa v5, v5 dst_sel:DWORD dst_unused:UNUSED_PAD src0_sel:WORD_1
	v_mad_u64_u32 v[6:7], s[38:39], v1, s38, v[34:35]
	v_readlane_b32 s38, v214, 3
	v_ashrrev_i32_e32 v7, 31, v6
	v_readlane_b32 s39, v214, 4
	s_waitcnt lgkmcnt(0)
	v_pk_fma_f32 v[8:9], v[2:3], v[8:9], 0 op_sel_hi:[0,1,0]
	v_mov_b32_e32 v2, v3
	v_lshl_add_u64 v[6:7], v[6:7], 3, s[38:39]
	v_pk_fma_f32 v[2:3], v[2:3], v[4:5], v[8:9] op_sel_hi:[0,1,1]
	global_store_dwordx2 v[6:7], v[2:3], off
.LBB14_121:                             ;   in Loop: Header=BB14_14 Depth=1
	s_or_b64 exec, exec, s[36:37]
	v_add_u32_e32 v2, s77, v126
	v_cmp_gt_i32_e32 vcc, s72, v2
	v_mov_b32_e32 v1, 0x47
	s_and_saveexec_b64 s[36:37], vcc
	s_cbranch_execz .LBB14_123
; %bb.122:                              ;   in Loop: Header=BB14_14 Depth=1
	v_add_u32_e32 v1, 0, v156
	v_add_u32_e32 v1, 0xc0, v1
	ds_read2st64_b32 v[4:5], v1 offset1:13
	v_add_u32_e32 v1, v163, v156
	v_add_u32_e32 v1, 0x80, v1
	ds_read2st64_b32 v[6:7], v1 offset1:13
	v_readlane_b32 s38, v215, 45
	v_mov_b32_e32 v1, 0
	s_waitcnt lgkmcnt(0)
	v_cvt_f32_f16_e32 v8, v6
	v_cvt_f32_f16_sdwa v9, v6 dst_sel:DWORD dst_unused:UNUSED_PAD src0_sel:WORD_1
	v_cvt_f32_f16_e32 v6, v7
	v_cvt_f32_f16_sdwa v7, v7 dst_sel:DWORD dst_unused:UNUSED_PAD src0_sel:WORD_1
	v_mul_lo_u32 v2, v2, s38
	v_ashrrev_i32_e32 v3, 31, v2
	v_readlane_b32 s38, v214, 3
	v_lshl_add_u64 v[2:3], v[2:3], 0, v[36:37]
	v_readlane_b32 s39, v214, 4
	v_pk_fma_f32 v[8:9], v[4:5], v[8:9], 0 op_sel_hi:[0,1,0]
	v_mov_b32_e32 v4, v5
	v_lshl_add_u64 v[2:3], v[2:3], 3, s[38:39]
	v_pk_fma_f32 v[4:5], v[4:5], v[6:7], v[8:9] op_sel_hi:[0,1,1]
	global_store_dwordx2 v[2:3], v[4:5], off offset:256
.LBB14_123:                             ;   in Loop: Header=BB14_14 Depth=1
	s_or_b64 exec, exec, s[36:37]
	v_cmp_gt_i32_e32 vcc, s53, v1
	s_mov_b64 s[36:37], -1
	s_and_saveexec_b64 s[38:39], vcc
; %bb.124:                              ;   in Loop: Header=BB14_14 Depth=1
	v_cmp_eq_u32_e32 vcc, 0, v1
	s_orn2_b64 s[36:37], vcc, exec
; %bb.125:                              ;   in Loop: Header=BB14_14 Depth=1
	s_or_b64 exec, exec, s[38:39]
	s_and_b64 exec, exec, s[36:37]
	s_cbranch_execz .LBB14_138
; %bb.126:                              ;   in Loop: Header=BB14_14 Depth=1
	v_add_u32_e32 v2, s77, v134
	v_cmp_gt_i32_e32 vcc, s72, v2
	v_mov_b32_e32 v1, 0x47
	s_and_saveexec_b64 s[36:37], vcc
	s_cbranch_execz .LBB14_128
; %bb.127:                              ;   in Loop: Header=BB14_14 Depth=1
	v_add_u32_e32 v1, 0, v157
	v_add_u32_e32 v1, 0xc0, v1
	ds_read2st64_b32 v[4:5], v1 offset1:13
	v_add_u32_e32 v1, v163, v157
	v_add_u32_e32 v1, 0x80, v1
	ds_read2st64_b32 v[6:7], v1 offset1:13
	v_readlane_b32 s38, v215, 45
	v_mov_b32_e32 v1, 0
	s_waitcnt lgkmcnt(0)
	v_cvt_f32_f16_e32 v8, v6
	v_cvt_f32_f16_sdwa v9, v6 dst_sel:DWORD dst_unused:UNUSED_PAD src0_sel:WORD_1
	v_cvt_f32_f16_e32 v6, v7
	v_cvt_f32_f16_sdwa v7, v7 dst_sel:DWORD dst_unused:UNUSED_PAD src0_sel:WORD_1
	v_mul_lo_u32 v2, v2, s38
	v_ashrrev_i32_e32 v3, 31, v2
	v_readlane_b32 s38, v214, 3
	v_lshl_add_u64 v[2:3], v[2:3], 0, v[36:37]
	v_readlane_b32 s39, v214, 4
	v_pk_fma_f32 v[8:9], v[4:5], v[8:9], 0 op_sel_hi:[0,1,0]
	v_mov_b32_e32 v4, v5
	v_lshl_add_u64 v[2:3], v[2:3], 3, s[38:39]
	v_pk_fma_f32 v[4:5], v[4:5], v[6:7], v[8:9] op_sel_hi:[0,1,1]
	global_store_dwordx2 v[2:3], v[4:5], off offset:256
.LBB14_128:                             ;   in Loop: Header=BB14_14 Depth=1
	s_or_b64 exec, exec, s[36:37]
	v_cmp_gt_i32_e32 vcc, s53, v1
	s_mov_b64 s[36:37], -1
	s_and_saveexec_b64 s[38:39], vcc
; %bb.129:                              ;   in Loop: Header=BB14_14 Depth=1
	v_cmp_eq_u32_e32 vcc, 0, v1
	s_orn2_b64 s[36:37], vcc, exec
; %bb.130:                              ;   in Loop: Header=BB14_14 Depth=1
	s_or_b64 exec, exec, s[38:39]
	s_and_b64 exec, exec, s[36:37]
	s_cbranch_execz .LBB14_138
; %bb.131:                              ;   in Loop: Header=BB14_14 Depth=1
	;; [unrolled: 42-line block ×3, first 2 shown]
	v_add_u32_e32 v1, s77, v136
	v_cmp_gt_i32_e32 vcc, s72, v1
	s_and_b64 exec, exec, vcc
	s_cbranch_execz .LBB14_138
; %bb.137:                              ;   in Loop: Header=BB14_14 Depth=1
	v_readlane_b32 s36, v215, 45
	s_nop 1
	v_mul_lo_u32 v2, v1, s36
	v_add_u32_e32 v1, 0, v159
	v_add_u32_e32 v1, 0xc0, v1
	ds_read2st64_b32 v[4:5], v1 offset1:13
	v_add_u32_e32 v1, v163, v159
	v_add_u32_e32 v1, 0x80, v1
	ds_read2st64_b32 v[6:7], v1 offset1:13
	v_ashrrev_i32_e32 v3, 31, v2
	v_readlane_b32 s36, v214, 3
	v_lshl_add_u64 v[2:3], v[2:3], 0, v[36:37]
	v_readlane_b32 s37, v214, 4
	s_waitcnt lgkmcnt(0)
	v_cvt_f32_f16_e32 v8, v6
	v_cvt_f32_f16_sdwa v9, v6 dst_sel:DWORD dst_unused:UNUSED_PAD src0_sel:WORD_1
	v_cvt_f32_f16_e32 v6, v7
	v_cvt_f32_f16_sdwa v7, v7 dst_sel:DWORD dst_unused:UNUSED_PAD src0_sel:WORD_1
	v_lshl_add_u64 v[2:3], v[2:3], 3, s[36:37]
	v_pk_fma_f32 v[8:9], v[4:5], v[8:9], 0 op_sel_hi:[0,1,0]
	v_mov_b32_e32 v4, v5
	v_pk_fma_f32 v[4:5], v[4:5], v[6:7], v[8:9] op_sel_hi:[0,1,1]
	global_store_dwordx2 v[2:3], v[4:5], off offset:256
.LBB14_138:                             ;   in Loop: Header=BB14_14 Depth=1
	s_or_b64 exec, exec, s[34:35]
	s_barrier
	s_branch .LBB14_13
.LBB14_139:                             ;   in Loop: Header=BB14_14 Depth=1
	s_lshl_b32 s52, s76, 5
	v_add_u32_e32 v1, s52, v161
	v_cmp_le_i32_e32 vcc, s72, v1
	s_and_saveexec_b64 s[34:35], vcc
	s_xor_b64 s[34:35], exec, s[34:35]
; %bb.140:                              ;   in Loop: Header=BB14_14 Depth=1
	v_add_u32_e32 v1, v162, v185
	ds_write_b32 v1, v41
                                        ; implicit-def: $vgpr1
; %bb.141:                              ;   in Loop: Header=BB14_14 Depth=1
	s_andn2_saveexec_b64 s[34:35], s[34:35]
	s_cbranch_execz .LBB14_143
; %bb.142:                              ;   in Loop: Header=BB14_14 Depth=1
	v_mad_u64_u32 v[2:3], s[36:37], v1, s48, v[34:35]
	v_ashrrev_i32_e32 v3, 31, v2
	v_lshl_add_u64 v[2:3], v[2:3], 3, s[30:31]
	global_load_dwordx2 v[2:3], v[2:3], off
	s_waitcnt vmcnt(0)
	v_cvt_pk_f16_f32 v1, v2, v3
	v_pk_mul_f16 v1, v1, v160
	v_add_u32_e32 v2, v162, v185
	ds_write_b32 v2, v1
.LBB14_143:                             ;   in Loop: Header=BB14_14 Depth=1
	s_or_b64 exec, exec, s[34:35]
	v_add_u32_e32 v1, s52, v186
	v_cmp_le_i32_e32 vcc, s72, v1
	s_and_saveexec_b64 s[34:35], vcc
	s_xor_b64 s[34:35], exec, s[34:35]
; %bb.144:                              ;   in Loop: Header=BB14_14 Depth=1
	v_add_u32_e32 v1, v162, v185
	ds_write_b32 v1, v41 offset:1664
                                        ; implicit-def: $vgpr1
; %bb.145:                              ;   in Loop: Header=BB14_14 Depth=1
	s_andn2_saveexec_b64 s[34:35], s[34:35]
	s_cbranch_execz .LBB14_147
; %bb.146:                              ;   in Loop: Header=BB14_14 Depth=1
	v_mad_u64_u32 v[2:3], s[36:37], v1, s48, v[34:35]
	v_ashrrev_i32_e32 v3, 31, v2
	v_lshl_add_u64 v[2:3], v[2:3], 3, s[30:31]
	global_load_dwordx2 v[2:3], v[2:3], off
	s_waitcnt vmcnt(0)
	v_cvt_pk_f16_f32 v1, v2, v3
	v_pk_mul_f16 v1, v1, v160
	v_add_u32_e32 v2, v162, v185
	ds_write_b32 v2, v1 offset:1664
.LBB14_147:                             ;   in Loop: Header=BB14_14 Depth=1
	s_or_b64 exec, exec, s[34:35]
	v_add_u32_e32 v1, s52, v187
	v_cmp_le_i32_e32 vcc, s72, v1
	s_and_saveexec_b64 s[34:35], vcc
	s_xor_b64 s[34:35], exec, s[34:35]
; %bb.148:                              ;   in Loop: Header=BB14_14 Depth=1
	v_add_u32_e32 v1, v162, v185
	ds_write_b32 v1, v41 offset:3328
                                        ; implicit-def: $vgpr1
; %bb.149:                              ;   in Loop: Header=BB14_14 Depth=1
	s_andn2_saveexec_b64 s[34:35], s[34:35]
	s_cbranch_execz .LBB14_151
; %bb.150:                              ;   in Loop: Header=BB14_14 Depth=1
	v_mad_u64_u32 v[2:3], s[36:37], v1, s48, v[34:35]
	v_ashrrev_i32_e32 v3, 31, v2
	v_lshl_add_u64 v[2:3], v[2:3], 3, s[30:31]
	global_load_dwordx2 v[2:3], v[2:3], off
	s_waitcnt vmcnt(0)
	v_cvt_pk_f16_f32 v1, v2, v3
	v_pk_mul_f16 v1, v1, v160
	v_add_u32_e32 v2, v162, v185
	ds_write_b32 v2, v1 offset:3328
.LBB14_151:                             ;   in Loop: Header=BB14_14 Depth=1
	s_or_b64 exec, exec, s[34:35]
	v_add_u32_e32 v1, s52, v188
	v_cmp_le_i32_e32 vcc, s72, v1
	s_and_saveexec_b64 s[34:35], vcc
	s_xor_b64 s[34:35], exec, s[34:35]
; %bb.152:                              ;   in Loop: Header=BB14_14 Depth=1
	v_add_u32_e32 v1, v162, v185
	ds_write_b32 v1, v41 offset:4992
                                        ; implicit-def: $vgpr1
; %bb.153:                              ;   in Loop: Header=BB14_14 Depth=1
	s_andn2_saveexec_b64 s[34:35], s[34:35]
	s_cbranch_execz .LBB14_155
; %bb.154:                              ;   in Loop: Header=BB14_14 Depth=1
	v_mad_u64_u32 v[2:3], s[36:37], v1, s48, v[34:35]
	v_ashrrev_i32_e32 v3, 31, v2
	v_lshl_add_u64 v[2:3], v[2:3], 3, s[30:31]
	global_load_dwordx2 v[2:3], v[2:3], off
	s_waitcnt vmcnt(0)
	v_cvt_pk_f16_f32 v1, v2, v3
	v_pk_mul_f16 v1, v1, v160
	v_add_u32_e32 v2, v162, v185
	ds_write_b32 v2, v1 offset:4992
.LBB14_155:                             ;   in Loop: Header=BB14_14 Depth=1
	s_or_b64 exec, exec, s[34:35]
	v_add_u32_e32 v1, s52, v43
	v_cmp_le_i32_e32 vcc, s72, v1
	s_and_saveexec_b64 s[34:35], vcc
	s_xor_b64 s[34:35], exec, s[34:35]
; %bb.156:                              ;   in Loop: Header=BB14_14 Depth=1
	ds_write_b32 v190, v41 offset:128
                                        ; implicit-def: $vgpr1
; %bb.157:                              ;   in Loop: Header=BB14_14 Depth=1
	s_andn2_saveexec_b64 s[34:35], s[34:35]
	s_cbranch_execz .LBB14_159
; %bb.158:                              ;   in Loop: Header=BB14_14 Depth=1
	v_mul_lo_u32 v2, v1, s48
	v_ashrrev_i32_e32 v3, 31, v2
	v_lshl_add_u64 v[2:3], v[2:3], 0, v[36:37]
	v_lshl_add_u64 v[2:3], v[2:3], 3, s[30:31]
	global_load_dwordx2 v[2:3], v[2:3], off offset:256
	s_waitcnt vmcnt(0)
	v_cvt_pk_f16_f32 v1, v2, v3
	v_pk_mul_f16 v1, v1, v160
	v_add_u32_e32 v2, v163, v189
	ds_write_b32 v2, v1 offset:128
.LBB14_159:                             ;   in Loop: Header=BB14_14 Depth=1
	s_or_b64 exec, exec, s[34:35]
	v_add_u32_e32 v1, s52, v191
	v_cmp_le_i32_e32 vcc, s72, v1
	s_and_saveexec_b64 s[34:35], vcc
	s_xor_b64 s[34:35], exec, s[34:35]
; %bb.160:                              ;   in Loop: Header=BB14_14 Depth=1
	ds_write_b32 v192, v41 offset:128
                                        ; implicit-def: $vgpr1
; %bb.161:                              ;   in Loop: Header=BB14_14 Depth=1
	s_andn2_saveexec_b64 s[34:35], s[34:35]
	s_cbranch_execz .LBB14_163
; %bb.162:                              ;   in Loop: Header=BB14_14 Depth=1
	v_mul_lo_u32 v2, v1, s48
	v_ashrrev_i32_e32 v3, 31, v2
	v_lshl_add_u64 v[2:3], v[2:3], 0, v[36:37]
	v_lshl_add_u64 v[2:3], v[2:3], 3, s[30:31]
	global_load_dwordx2 v[2:3], v[2:3], off offset:256
	s_waitcnt vmcnt(0)
	v_cvt_pk_f16_f32 v1, v2, v3
	v_pk_mul_f16 v1, v1, v160
	v_add_u32_e32 v2, v163, v189
	ds_write_b32 v2, v1 offset:3456
.LBB14_163:                             ;   in Loop: Header=BB14_14 Depth=1
	s_or_b64 exec, exec, s[34:35]
	s_waitcnt lgkmcnt(0)
	s_barrier
	ds_read2_b64 v[10:13], v140 offset1:4
	ds_read2_b64 v[6:9], v140 offset0:8 offset1:12
	ds_read2_b64 v[2:5], v140 offset0:16 offset1:20
	s_cmp_lt_i32 s88, 2
	s_waitcnt lgkmcnt(0)
	s_barrier
	s_cbranch_scc1 .LBB14_174
; %bb.164:                              ;   in Loop: Header=BB14_14 Depth=1
	v_add_u32_e32 v1, s52, v112
	v_mul_hi_u32 v14, s86, v1
	v_add_u32_e32 v14, v1, v14
	v_lshrrev_b32_e32 v14, s87, v14
	v_mul_lo_u32 v14, v14, s72
	v_sub_u32_e32 v1, v1, v14
	v_add_u32_e32 v14, s52, v164
	v_mul_hi_u32 v15, s86, v14
	v_add_u32_e32 v15, v14, v15
	v_lshrrev_b32_e32 v15, s87, v15
	v_mul_lo_u32 v15, v15, s72
	v_sub_u32_e32 v16, v14, v15
	;; [unrolled: 6-line block ×8, first 2 shown]
	v_and_b32_e32 v14, 64, v197
	v_add_u32_e32 v14, 64, v14
	v_xor_b32_e32 v15, 32, v197
	v_cmp_lt_i32_e32 vcc, v15, v14
	v_readlane_b32 s34, v215, 63
	v_readlane_b32 s35, v214, 0
	v_cndmask_b32_e32 v15, v197, v15, vcc
	v_lshlrev_b32_e32 v40, 2, v15
	v_xor_b32_e32 v15, 16, v197
	v_cmp_lt_i32_e32 vcc, v15, v14
	s_mov_b32 s36, s34
	s_add_i32 s38, s88, -1
	v_cndmask_b32_e32 v14, v197, v15, vcc
	v_lshlrev_b32_e32 v200, 2, v14
	v_mov_b64_e32 v[14:15], s[80:81]
	v_mad_i64_i32 v[80:81], s[34:35], s36, v1, v[14:15]
	v_mad_i64_i32 v[82:83], s[34:35], s36, v16, v[14:15]
	;; [unrolled: 1-line block ×8, first 2 shown]
	s_cmp_lg_u64 s[80:81], 0
	v_readlane_b32 s34, v214, 5
	s_cselect_b64 s[30:31], -1, 0
	s_add_u32 s34, s34, s29
	v_readlane_b32 s29, v214, 6
	v_readlane_b32 s35, v214, 7
	s_addc_u32 s35, s29, s35
	v_readlane_b32 s29, v214, 8
	s_add_u32 s28, s29, s28
	s_addc_u32 s29, s79, s2
	v_mov_b32_e32 v78, v76
	v_mov_b32_e32 v79, v76
	v_lshl_add_u64 v[96:97], v[62:63], 0, s[34:35]
	v_lshl_add_u64 v[98:99], v[68:69], 0, s[34:35]
	v_lshl_add_u64 v[100:101], v[70:71], 0, s[34:35]
	v_lshl_add_u64 v[102:103], v[66:67], 0, s[28:29]
	v_lshl_add_u64 v[104:105], v[72:73], 0, s[28:29]
	v_lshl_add_u64 v[106:107], v[74:75], 0, s[28:29]
	v_mov_b32_e32 v26, 0
	v_mov_b32_e32 v31, 0xfeffffff
	;; [unrolled: 1-line block ×3, first 2 shown]
	s_mov_b32 s2, s38
	v_mov_b32_e32 v27, 0
	v_mov_b32_e32 v29, 0
	;; [unrolled: 1-line block ×11, first 2 shown]
	v_cndmask_b32_e64 v1, 0, 1, s[30:31]
	v_cmp_ne_u32_e64 s[34:35], 1, v1
	s_andn2_b64 vcc, exec, s[30:31]
	s_cbranch_vccnz .LBB14_170
.LBB14_165:                             ;   in Loop: Header=BB14_14 Depth=1
	s_and_saveexec_b64 s[28:29], s[0:1]
	s_xor_b64 s[36:37], exec, s[28:29]
	s_cbranch_execz .LBB14_167
; %bb.166:                              ;   in Loop: Header=BB14_14 Depth=1
	ds_write_b16 v137, v41 offset:13312
	ds_write_b16 v165, v41 offset:13312
	;; [unrolled: 1-line block ×4, first 2 shown]
.LBB14_167:                             ;   in Loop: Header=BB14_14 Depth=1
	s_or_saveexec_b64 s[36:37], s[36:37]
	v_mov_b32_e32 v1, 0
	v_mov_b32_e32 v14, 0
	;; [unrolled: 1-line block ×4, first 2 shown]
	s_xor_b64 exec, exec, s[36:37]
	s_cbranch_execz .LBB14_169
; %bb.168:                              ;   in Loop: Header=BB14_14 Depth=1
	v_lshl_add_u64 v[14:15], v[80:81], 0, v[48:49]
	global_load_ushort v1, v[14:15], off
	v_lshl_add_u64 v[14:15], v[82:83], 0, v[48:49]
	global_load_ushort v16, v[14:15], off
	;; [unrolled: 2-line block ×4, first 2 shown]
	s_waitcnt vmcnt(3)
	ds_write_b16 v137, v1 offset:13312
	s_waitcnt vmcnt(2)
	ds_write_b16 v165, v16 offset:13312
	;; [unrolled: 2-line block ×4, first 2 shown]
	v_lshl_add_u64 v[14:15], v[88:89], 0, v[48:49]
	global_load_ushort v1, v[14:15], off
	v_lshl_add_u64 v[14:15], v[90:91], 0, v[48:49]
	v_lshl_add_u64 v[16:17], v[92:93], 0, v[48:49]
	global_load_ushort v14, v[14:15], off
	s_nop 0
	global_load_ushort v15, v[16:17], off
	v_lshl_add_u64 v[16:17], v[94:95], 0, v[48:49]
	global_load_ushort v16, v[16:17], off
.LBB14_169:                             ;   in Loop: Header=BB14_14 Depth=1
	s_or_b64 exec, exec, s[36:37]
	s_waitcnt vmcnt(3)
	ds_write_b16 v171, v1 offset:13312
	s_waitcnt vmcnt(2)
	ds_write_b16 v173, v14 offset:13312
	;; [unrolled: 2-line block ×4, first 2 shown]
.LBB14_170:                             ;   Parent Loop BB14_14 Depth=1
                                        ; =>  This Inner Loop Header: Depth=2
	v_mov_b32_e32 v1, s91
	v_lshl_add_u64 v[16:17], v[104:105], 0, v[64:65]
	v_cndmask_b32_e64 v15, v1, v103, s[6:7]
	v_cndmask_b32_e64 v14, v198, v102, s[6:7]
	;; [unrolled: 1-line block ×4, first 2 shown]
	v_lshl_add_u64 v[16:17], v[106:107], 0, v[64:65]
	scratch_store_dwordx4 off, v[204:207], off
	v_cndmask_b32_e64 v21, v1, v17, s[10:11]
	v_cndmask_b32_e64 v20, v198, v16, s[10:11]
	flat_load_dwordx4 v[14:17], v[14:15]
	v_add_u32_e32 v1, v45, v139
	s_and_b64 vcc, exec, s[34:35]
	s_waitcnt vmcnt(0) lgkmcnt(0)
	ds_write_b128 v118, v[14:17]
	flat_load_dwordx4 v[14:17], v[18:19]
	s_waitcnt vmcnt(0) lgkmcnt(0)
	ds_write_b128 v120, v[14:17]
	flat_load_dwordx4 v[14:17], v[20:21]
	s_waitcnt vmcnt(0) lgkmcnt(0)
	ds_write_b128 v179, v[14:17]
	s_waitcnt lgkmcnt(0)
	s_barrier
	ds_read2_b64 v[14:17], v1 offset1:4
	s_waitcnt lgkmcnt(0)
	v_mfma_f32_16x16x16_f16 v[18:21], v[14:15], v[10:11], 0
	v_mfma_f32_16x16x16_f16 v[14:17], v[16:17], v[12:13], v[18:21]
	s_nop 6
	ds_read2_b64 v[18:21], v1 offset0:8 offset1:12
	s_waitcnt lgkmcnt(0)
	v_mfma_f32_16x16x16_f16 v[14:17], v[18:19], v[6:7], v[14:17]
	v_mfma_f32_16x16x16_f16 v[14:17], v[20:21], v[8:9], v[14:17]
	ds_read2_b64 v[18:21], v1 offset0:16 offset1:20
	v_add_u32_e32 v1, 0x1800, v1
	s_waitcnt lgkmcnt(0)
	v_mfma_f32_16x16x16_f16 v[14:17], v[18:19], v[2:3], v[14:17]
	v_mfma_f32_16x16x16_f16 v[14:17], v[20:21], v[4:5], v[14:17]
	ds_read2_b64 v[18:21], v1 offset0:64 offset1:68
	s_waitcnt lgkmcnt(0)
	v_mfma_f32_16x16x16_f16 v[208:211], v[18:19], v[10:11], 0
	v_mfma_f32_16x16x16_f16 v[18:21], v[20:21], v[12:13], v[208:211]
	s_nop 6
	ds_read2_b64 v[208:211], v1 offset0:72 offset1:76
	s_waitcnt lgkmcnt(0)
	v_mfma_f32_16x16x16_f16 v[18:21], v[208:209], v[6:7], v[18:21]
	v_mfma_f32_16x16x16_f16 v[18:21], v[210:211], v[8:9], v[18:21]
	ds_read2_b64 v[208:211], v1 offset0:80 offset1:84
	s_waitcnt lgkmcnt(0)
	s_barrier
	v_mfma_f32_16x16x16_f16 v[18:21], v[208:209], v[2:3], v[18:21]
	v_mfma_f32_16x16x16_f16 v[18:21], v[210:211], v[4:5], v[18:21]
	s_cbranch_vccnz .LBB14_172
; %bb.171:                              ;   in Loop: Header=BB14_170 Depth=2
	v_add_u32_e32 v1, 0x3400, v141
	ds_read2_b32 v[32:33], v1 offset1:1
	ds_read_b32 v1, v143 offset:13312
	v_mov_b32_e32 v77, v76
	s_waitcnt lgkmcnt(1)
	v_cvt_f32_f16_e32 v202, v32
	v_cvt_f32_f16_sdwa v203, v32 dst_sel:DWORD dst_unused:UNUSED_PAD src0_sel:WORD_1
	v_cvt_f32_f16_e32 v32, v33
	v_cvt_f32_f16_sdwa v33, v33 dst_sel:DWORD dst_unused:UNUSED_PAD src0_sel:WORD_1
	v_pk_fma_f32 v[14:15], v[78:79], v[202:203], v[14:15]
	v_pk_fma_f32 v[16:17], v[76:77], v[32:33], v[16:17]
	s_waitcnt lgkmcnt(0)
	v_cvt_f32_f16_sdwa v33, v1 dst_sel:DWORD dst_unused:UNUSED_PAD src0_sel:WORD_1
	v_cvt_f32_f16_e32 v32, v1
	ds_read_b32 v1, v145 offset:13312
	v_pk_fma_f32 v[18:19], v[78:79], v[32:33], v[18:19]
	s_waitcnt lgkmcnt(0)
	v_cvt_f32_f16_sdwa v203, v1 dst_sel:DWORD dst_unused:UNUSED_PAD src0_sel:WORD_1
	v_cvt_f32_f16_e32 v202, v1
	v_pk_fma_f32 v[20:21], v[76:77], v[202:203], v[20:21]
.LBB14_172:                             ;   in Loop: Header=BB14_170 Depth=2
	v_add_f32_e32 v1, 0x40051340, v14
	v_max_f32_e32 v32, v31, v31
	v_max_f32_e32 v1, v32, v1
	v_cndmask_b32_e64 v1, v31, v1, s[12:13]
	v_add_f32_e32 v32, 0x40051340, v15
	v_max_f32_e32 v33, v1, v1
	v_max_f32_e32 v32, v33, v32
	v_cndmask_b32_e64 v1, v1, v32, s[14:15]
	;; [unrolled: 4-line block ×8, first 2 shown]
	ds_bpermute_b32 v32, v40, v1
	v_max_f32_e32 v1, v1, v1
	scratch_store_dwordx4 off, v[204:207], off
	s_add_i32 s2, s2, -1
	v_lshl_add_u64 v[80:81], v[80:81], 0, s[4:5]
	s_waitcnt lgkmcnt(0)
	v_max_f32_e32 v32, v32, v32
	v_max_f32_e32 v1, v1, v32
	ds_bpermute_b32 v32, v200, v1
	v_lshl_add_u64 v[82:83], v[82:83], 0, s[4:5]
	v_lshl_add_u64 v[84:85], v[84:85], 0, s[4:5]
	;; [unrolled: 1-line block ×4, first 2 shown]
	s_waitcnt lgkmcnt(0)
	v_max_f32_e32 v32, v32, v32
	v_max_f32_e32 v199, v1, v32
	v_sub_f32_e32 v1, v14, v199
	v_mul_f32_e32 v14, 0x3fb8aa3b, v1
	v_fma_f32 v32, v1, s98, -v14
	v_rndne_f32_e32 v33, v14
	v_fmac_f32_e32 v32, 0x32a5705f, v1
	v_sub_f32_e32 v14, v14, v33
	v_add_f32_e32 v14, v14, v32
	v_exp_f32_e32 v14, v14
	v_cvt_i32_f32_e32 v32, v33
	v_cmp_ngt_f32_e32 vcc, s97, v1
	v_sub_f32_e32 v16, v16, v199
	v_sub_f32_e32 v18, v18, v199
	v_ldexp_f32 v14, v14, v32
	v_cndmask_b32_e32 v14, 0, v14, vcc
	v_cmp_nlt_f32_e32 vcc, s73, v1
	v_sub_f32_e32 v20, v20, v199
	v_lshl_add_u64 v[90:91], v[90:91], 0, s[4:5]
	v_cndmask_b32_e32 v1, v195, v14, vcc
	v_cndmask_b32_e64 v14, 0, v1, s[12:13]
	v_sub_f32_e32 v1, v15, v199
	v_mul_f32_e32 v15, 0x3fb8aa3b, v1
	v_fma_f32 v32, v1, s98, -v15
	v_rndne_f32_e32 v33, v15
	v_fmac_f32_e32 v32, 0x32a5705f, v1
	v_sub_f32_e32 v15, v15, v33
	v_add_f32_e32 v15, v15, v32
	v_exp_f32_e32 v15, v15
	v_cvt_i32_f32_e32 v32, v33
	v_cmp_ngt_f32_e32 vcc, s97, v1
	v_lshl_add_u64 v[92:93], v[92:93], 0, s[4:5]
	v_lshl_add_u64 v[94:95], v[94:95], 0, s[4:5]
	v_ldexp_f32 v15, v15, v32
	v_cndmask_b32_e32 v15, 0, v15, vcc
	v_cmp_nlt_f32_e32 vcc, s73, v1
	v_mov_b32_e32 v1, s3
	v_lshl_add_u64 v[102:103], v[102:103], 0, s[84:85]
	v_cndmask_b32_e32 v15, v195, v15, vcc
	v_add_f32_e32 v32, v15, v14
	v_cndmask_b32_e64 v1, v1, v15, s[14:15]
	v_cndmask_b32_e64 v15, v14, v32, s[14:15]
	v_mul_f32_e32 v32, 0x3fb8aa3b, v16
	v_fma_f32 v33, v16, s98, -v32
	v_rndne_f32_e32 v77, v32
	v_fmac_f32_e32 v33, 0x32a5705f, v16
	v_sub_f32_e32 v32, v32, v77
	v_add_f32_e32 v32, v32, v33
	v_exp_f32_e32 v32, v32
	v_cvt_i32_f32_e32 v33, v77
	v_cmp_ngt_f32_e32 vcc, s97, v16
	v_lshl_add_u64 v[104:105], v[104:105], 0, s[84:85]
	v_lshl_add_u64 v[106:107], v[106:107], 0, s[84:85]
	v_ldexp_f32 v32, v32, v33
	v_cndmask_b32_e32 v32, 0, v32, vcc
	v_cmp_nlt_f32_e32 vcc, s73, v16
	v_mov_b32_e32 v16, s3
	s_cmp_lg_u32 s2, 0
	v_cndmask_b32_e32 v32, v195, v32, vcc
	v_add_f32_e32 v33, v15, v32
	v_cndmask_b32_e64 v16, v16, v32, s[16:17]
	v_cndmask_b32_e64 v32, v15, v33, s[16:17]
	v_sub_f32_e32 v15, v17, v199
	v_mul_f32_e32 v17, 0x3fb8aa3b, v15
	v_fma_f32 v33, v15, s98, -v17
	v_rndne_f32_e32 v77, v17
	v_fmac_f32_e32 v33, 0x32a5705f, v15
	v_sub_f32_e32 v17, v17, v77
	v_add_f32_e32 v17, v17, v33
	v_exp_f32_e32 v17, v17
	v_cvt_i32_f32_e32 v33, v77
	v_cmp_ngt_f32_e32 vcc, s97, v15
	v_ldexp_f32 v17, v17, v33
	s_nop 0
	v_cndmask_b32_e32 v17, 0, v17, vcc
	v_cmp_nlt_f32_e32 vcc, s73, v15
	v_mov_b32_e32 v15, s3
	s_nop 0
	v_cndmask_b32_e32 v17, v195, v17, vcc
	v_add_f32_e32 v33, v32, v17
	v_cndmask_b32_e64 v17, v15, v17, s[18:19]
	v_cndmask_b32_e64 v15, v32, v33, s[18:19]
	v_mul_f32_e32 v32, 0x3fb8aa3b, v18
	v_fma_f32 v33, v18, s98, -v32
	v_rndne_f32_e32 v77, v32
	v_fmac_f32_e32 v33, 0x32a5705f, v18
	v_sub_f32_e32 v32, v32, v77
	v_add_f32_e32 v32, v32, v33
	v_exp_f32_e32 v32, v32
	v_cvt_i32_f32_e32 v33, v77
	v_cmp_ngt_f32_e32 vcc, s97, v18
	v_ldexp_f32 v32, v32, v33
	s_nop 0
	v_cndmask_b32_e32 v32, 0, v32, vcc
	v_cmp_nlt_f32_e32 vcc, s73, v18
	v_mov_b32_e32 v18, s3
	s_nop 0
	v_cndmask_b32_e32 v32, v195, v32, vcc
	v_add_f32_e32 v33, v32, v15
	v_cndmask_b32_e64 v18, v18, v32, s[20:21]
	v_cndmask_b32_e64 v32, v15, v33, s[20:21]
	v_sub_f32_e32 v15, v19, v199
	v_mul_f32_e32 v19, 0x3fb8aa3b, v15
	v_fma_f32 v33, v15, s98, -v19
	v_rndne_f32_e32 v77, v19
	v_fmac_f32_e32 v33, 0x32a5705f, v15
	v_sub_f32_e32 v19, v19, v77
	v_add_f32_e32 v19, v19, v33
	v_exp_f32_e32 v19, v19
	v_cvt_i32_f32_e32 v33, v77
	v_cmp_ngt_f32_e32 vcc, s97, v15
	v_ldexp_f32 v19, v19, v33
	s_nop 0
	v_cndmask_b32_e32 v19, 0, v19, vcc
	v_cmp_nlt_f32_e32 vcc, s73, v15
	v_mov_b32_e32 v15, s3
	s_nop 0
	v_cndmask_b32_e32 v19, v195, v19, vcc
	v_add_f32_e32 v33, v19, v32
	v_cndmask_b32_e64 v15, v15, v19, s[22:23]
	v_cndmask_b32_e64 v19, v32, v33, s[22:23]
	v_mul_f32_e32 v32, 0x3fb8aa3b, v20
	v_fma_f32 v33, v20, s98, -v32
	v_rndne_f32_e32 v77, v32
	v_fmac_f32_e32 v33, 0x32a5705f, v20
	v_sub_f32_e32 v32, v32, v77
	v_add_f32_e32 v32, v32, v33
	v_exp_f32_e32 v32, v32
	v_cvt_i32_f32_e32 v33, v77
	v_cmp_ngt_f32_e32 vcc, s97, v20
	v_ldexp_f32 v32, v32, v33
	s_nop 0
	v_cndmask_b32_e32 v32, 0, v32, vcc
	v_cmp_nlt_f32_e32 vcc, s73, v20
	v_mov_b32_e32 v20, s3
	s_nop 0
	v_cndmask_b32_e32 v32, v195, v32, vcc
	v_add_f32_e32 v33, v32, v19
	v_cndmask_b32_e64 v20, v20, v32, s[24:25]
	v_cndmask_b32_e64 v32, v19, v33, s[24:25]
	v_sub_f32_e32 v19, v21, v199
	v_mul_f32_e32 v21, 0x3fb8aa3b, v19
	v_fma_f32 v33, v19, s98, -v21
	v_rndne_f32_e32 v77, v21
	v_fmac_f32_e32 v33, 0x32a5705f, v19
	v_sub_f32_e32 v21, v21, v77
	v_add_f32_e32 v21, v21, v33
	v_exp_f32_e32 v21, v21
	v_cvt_i32_f32_e32 v33, v77
	v_cmp_ngt_f32_e32 vcc, s97, v19
	v_ldexp_f32 v21, v21, v33
	s_nop 0
	v_cndmask_b32_e32 v21, 0, v21, vcc
	v_cmp_nlt_f32_e32 vcc, s73, v19
	v_mov_b32_e32 v19, s3
	s_nop 0
	v_cndmask_b32_e32 v21, v195, v21, vcc
	v_cndmask_b32_e64 v203, v19, v21, s[26:27]
	v_sub_f32_e32 v19, v31, v199
	v_add_f32_e32 v33, v21, v32
	v_mul_f32_e32 v21, 0x3fb8aa3b, v19
	v_cndmask_b32_e64 v77, v32, v33, s[26:27]
	v_fma_f32 v31, v19, s98, -v21
	v_rndne_f32_e32 v32, v21
	v_fmac_f32_e32 v31, 0x32a5705f, v19
	v_sub_f32_e32 v21, v21, v32
	v_add_f32_e32 v21, v21, v31
	v_exp_f32_e32 v21, v21
	v_cvt_i32_f32_e32 v31, v32
	v_cmp_ngt_f32_e32 vcc, s97, v19
	v_ldexp_f32 v21, v21, v31
	s_nop 0
	v_cndmask_b32_e32 v21, 0, v21, vcc
	v_cmp_nlt_f32_e32 vcc, s73, v19
	s_nop 1
	v_cndmask_b32_e32 v21, v195, v21, vcc
	v_cmp_le_f32_e32 vcc, s92, v19
	s_nop 1
	v_cndmask_b32_e32 v19, 0, v21, vcc
	v_fmac_f32_e32 v77, v30, v19
	v_cvt_f16_f32_e32 v19, v19
	v_mul_u32_u24_e32 v201, 0x10001, v19
	v_pk_mul_f16 v33, v29, v201
	v_pk_mul_f16 v29, v26, v201
	v_mov_b32_e32 v26, s91
	v_pk_mul_f16 v111, v111, v201
	v_pk_mul_f16 v110, v110, v201
	;; [unrolled: 1-line block ×10, first 2 shown]
	v_cndmask_b32_e64 v23, v26, v97, s[6:7]
	v_cndmask_b32_e64 v22, v198, v96, s[6:7]
	flat_load_dwordx4 v[22:25], v[22:23]
	v_cvt_f32_f16_sdwa v211, v28 dst_sel:DWORD dst_unused:UNUSED_PAD src0_sel:WORD_1
	v_lshl_add_u64 v[96:97], v[96:97], 0, s[82:83]
	s_waitcnt vmcnt(0) lgkmcnt(0)
	ds_write_b128 v118, v[22:25]
	v_lshl_add_u64 v[22:23], v[98:99], 0, v[64:65]
	v_cndmask_b32_e64 v23, v26, v23, s[8:9]
	v_cndmask_b32_e64 v22, v198, v22, s[8:9]
	flat_load_dwordx4 v[22:25], v[22:23]
	v_lshl_add_u64 v[98:99], v[98:99], 0, s[82:83]
	s_waitcnt vmcnt(0) lgkmcnt(0)
	ds_write_b128 v120, v[22:25]
	v_lshl_add_u64 v[22:23], v[100:101], 0, v[64:65]
	v_cndmask_b32_e64 v23, v26, v23, s[10:11]
	v_cndmask_b32_e64 v22, v198, v22, s[10:11]
	flat_load_dwordx4 v[22:25], v[22:23]
	v_lshl_add_u64 v[100:101], v[100:101], 0, s[82:83]
	s_waitcnt vmcnt(0) lgkmcnt(0)
	ds_write_b128 v179, v[22:25]
	s_waitcnt lgkmcnt(0)
	s_barrier
	ds_read_u16 v26, v121 offset:208
	ds_read_u16 v27, v122
	ds_read_u16 v208, v122 offset:32
	ds_read_u16 v108, v123
	ds_read_u16 v209, v123 offset:32
	v_cvt_f32_f16_e32 v22, v111
	v_cvt_f32_f16_sdwa v23, v111 dst_sel:DWORD dst_unused:UNUSED_PAD src0_sel:WORD_1
	v_cvt_f32_f16_e32 v24, v110
	s_waitcnt lgkmcnt(1)
	v_perm_b32 v27, v108, v27, s93
	ds_read_u16 v108, v121
	ds_read_u16 v210, v121 offset:32
	v_cvt_f32_f16_sdwa v25, v110 dst_sel:DWORD dst_unused:UNUSED_PAD src0_sel:WORD_1
	v_cvt_pk_f16_f32 v111, v16, v17
	v_cvt_pk_f16_f32 v110, v14, v1
	s_waitcnt lgkmcnt(1)
	v_perm_b32 v26, v26, v108, s93
	s_nop 1
	v_mfma_f32_16x16x16_f16 v[22:25], v[26:27], v[110:111], v[22:25]
	ds_read_u16 v26, v121 offset:6656
	ds_read_u16 v27, v121 offset:6864
	;; [unrolled: 1-line block ×4, first 2 shown]
	s_nop 3
	v_cvt_f16_f32_e32 v1, v22
	v_cvt_f16_f32_e32 v16, v24
	v_cvt_f16_f32_e32 v17, v25
	v_cvt_f16_f32_e32 v14, v23
	v_cvt_f32_f16_e32 v22, v1
	v_cvt_f32_f16_e32 v24, v16
	;; [unrolled: 1-line block ×3, first 2 shown]
	s_waitcnt lgkmcnt(0)
	v_perm_b32 v17, v109, v108, s93
	v_perm_b32 v16, v27, v26, s93
	ds_read_u16 v1, v121 offset:240
	v_cvt_f32_f16_e32 v23, v14
	v_cvt_pk_f16_f32 v109, v20, v203
	v_cvt_pk_f16_f32 v108, v18, v15
	v_cvt_f32_f16_e32 v20, v21
	s_waitcnt lgkmcnt(0)
	v_perm_b32 v18, v1, v210, s93
	v_mfma_f32_16x16x16_f16 v[14:17], v[16:17], v[108:109], v[22:25]
	v_cvt_f32_f16_sdwa v21, v21 dst_sel:DWORD dst_unused:UNUSED_PAD src0_sel:WORD_1
	v_cvt_f32_f16_e32 v210, v28
	s_nop 0
	v_cvt_f32_f16_e32 v22, v19
	v_cvt_f32_f16_sdwa v23, v19 dst_sel:DWORD dst_unused:UNUSED_PAD src0_sel:WORD_1
	v_perm_b32 v19, v209, v208, s93
	v_cvt_f32_f16_e32 v208, v29
	v_cvt_f32_f16_sdwa v209, v29 dst_sel:DWORD dst_unused:UNUSED_PAD src0_sel:WORD_1
	v_mfma_f32_16x16x16_f16 v[18:21], v[18:19], v[110:111], v[20:23]
	s_nop 2
	ds_read_u16 v22, v121 offset:6688
	ds_read_u16 v24, v121 offset:6896
	;; [unrolled: 1-line block ×4, first 2 shown]
	s_nop 0
	v_cvt_f16_f32_e32 v1, v18
	v_cvt_f16_f32_e32 v19, v19
	;; [unrolled: 1-line block ×4, first 2 shown]
	v_cvt_f32_f16_e32 v18, v1
	ds_read_u16 v1, v121 offset:64
	ds_read_u16 v26, v121 offset:272
	;; [unrolled: 1-line block ×4, first 2 shown]
	s_waitcnt lgkmcnt(4)
	v_perm_b32 v23, v25, v23, s93
	v_perm_b32 v22, v24, v22, s93
	v_cvt_f32_f16_e32 v19, v19
	v_cvt_f32_f16_e32 v20, v20
	;; [unrolled: 1-line block ×3, first 2 shown]
	s_waitcnt lgkmcnt(0)
	v_perm_b32 v27, v203, v27, s93
	v_perm_b32 v26, v26, v1, s93
	v_mfma_f32_16x16x16_f16 v[18:21], v[22:23], v[108:109], v[18:21]
	v_cvt_f32_f16_e32 v22, v33
	v_cvt_f32_f16_sdwa v23, v33 dst_sel:DWORD dst_unused:UNUSED_PAD src0_sel:WORD_1
	v_cvt_f32_f16_e32 v24, v32
	v_cvt_f32_f16_sdwa v25, v32 dst_sel:DWORD dst_unused:UNUSED_PAD src0_sel:WORD_1
	s_nop 1
	v_mfma_f32_16x16x16_f16 v[22:25], v[26:27], v[110:111], v[22:25]
	ds_read_u16 v26, v121 offset:6720
	ds_read_u16 v32, v121 offset:6928
	ds_read_u16 v27, v122 offset:6720
	ds_read_u16 v33, v123 offset:6720
	s_nop 3
	v_cvt_f16_f32_e32 v1, v22
	v_cvt_f16_f32_e32 v23, v23
	;; [unrolled: 1-line block ×4, first 2 shown]
	s_waitcnt lgkmcnt(0)
	v_perm_b32 v27, v33, v27, s93
	v_perm_b32 v26, v32, v26, s93
	v_cvt_f32_f16_e32 v22, v1
	v_cvt_f32_f16_e32 v23, v23
	;; [unrolled: 1-line block ×4, first 2 shown]
	s_nop 1
	v_mfma_f32_16x16x16_f16 v[22:25], v[26:27], v[108:109], v[22:25]
	ds_read_u16 v1, v121 offset:96
	ds_read_u16 v26, v121 offset:304
	;; [unrolled: 1-line block ×4, first 2 shown]
	s_waitcnt lgkmcnt(2)
	v_perm_b32 v26, v26, v1, s93
	s_waitcnt lgkmcnt(0)
	v_perm_b32 v27, v32, v27, s93
	s_nop 1
	v_mfma_f32_16x16x16_f16 v[26:29], v[26:27], v[110:111], v[208:211]
	ds_read_u16 v32, v121 offset:6752
	ds_read_u16 v203, v121 offset:6960
	;; [unrolled: 1-line block ×4, first 2 shown]
	v_cvt_f32_f16_sdwa v209, v31 dst_sel:DWORD dst_unused:UNUSED_PAD src0_sel:WORD_1
	v_cvt_f32_f16_e32 v210, v30
	s_nop 1
	v_cvt_f16_f32_e32 v1, v26
	v_cvt_f16_f32_e32 v27, v27
	;; [unrolled: 1-line block ×4, first 2 shown]
	s_waitcnt lgkmcnt(0)
	v_perm_b32 v33, v208, v33, s93
	v_perm_b32 v32, v203, v32, s93
	v_cvt_f32_f16_e32 v26, v1
	v_cvt_f32_f16_e32 v27, v27
	;; [unrolled: 1-line block ×5, first 2 shown]
	v_cvt_f32_f16_sdwa v211, v30 dst_sel:DWORD dst_unused:UNUSED_PAD src0_sel:WORD_1
	v_mfma_f32_16x16x16_f16 v[26:29], v[32:33], v[108:109], v[26:29]
	ds_read_u16 v1, v121 offset:128
	ds_read_u16 v32, v121 offset:336
	;; [unrolled: 1-line block ×4, first 2 shown]
	s_waitcnt lgkmcnt(2)
	v_perm_b32 v30, v32, v1, s93
	s_nop 1
	v_cvt_pk_f16_f32 v26, v26, v27
	s_waitcnt lgkmcnt(0)
	v_perm_b32 v31, v203, v33, s93
	v_cvt_pk_f16_f32 v27, v28, v29
	v_cvt_pk_f16_f32 v29, v22, v23
	v_mfma_f32_16x16x16_f16 v[30:33], v[30:31], v[110:111], v[208:211]
	ds_read_u16 v203, v121 offset:6784
	s_nop 1
	ds_read_u16 v208, v121 offset:6992
	ds_read_u16 v209, v122 offset:6784
	;; [unrolled: 1-line block ×3, first 2 shown]
	v_cvt_f32_f16_sdwa v211, v201 dst_sel:DWORD dst_unused:UNUSED_PAD src0_sel:WORD_1
	v_cvt_pk_f16_f32 v28, v24, v25
	v_cvt_f16_f32_e32 v1, v30
	v_cvt_f16_f32_e32 v31, v31
	;; [unrolled: 1-line block ×4, first 2 shown]
	v_cvt_f32_f16_e32 v30, v1
	s_waitcnt lgkmcnt(0)
	v_perm_b32 v209, v210, v209, s93
	v_perm_b32 v208, v208, v203, s93
	ds_read_u16 v1, v121 offset:160
	ds_read_u16 v212, v121 offset:368
	;; [unrolled: 1-line block ×4, first 2 shown]
	v_cvt_f32_f16_e32 v31, v31
	v_cvt_f32_f16_e32 v32, v32
	;; [unrolled: 1-line block ×4, first 2 shown]
	s_waitcnt lgkmcnt(0)
	v_perm_b32 v203, v213, v203, s93
	v_mfma_f32_16x16x16_f16 v[30:33], v[208:209], v[108:109], v[30:33]
	v_cvt_f32_f16_e32 v208, v202
	v_cvt_f32_f16_sdwa v209, v202 dst_sel:DWORD dst_unused:UNUSED_PAD src0_sel:WORD_1
	v_perm_b32 v202, v212, v1, s93
	s_nop 1
	v_mfma_f32_16x16x16_f16 v[208:211], v[202:203], v[110:111], v[208:211]
	ds_read_u16 v1, v121 offset:6816
	ds_read_u16 v110, v121 offset:7024
	;; [unrolled: 1-line block ×4, first 2 shown]
	v_cvt_pk_f16_f32 v25, v30, v31
	v_cvt_pk_f16_f32 v24, v32, v33
	s_nop 1
	v_cvt_f16_f32_e32 v201, v208
	v_cvt_f16_f32_e32 v202, v209
	;; [unrolled: 1-line block ×4, first 2 shown]
	s_waitcnt lgkmcnt(0)
	v_perm_b32 v111, v212, v111, s93
	v_perm_b32 v110, v110, v1, s93
	v_cvt_f32_f16_e32 v208, v201
	v_cvt_f32_f16_e32 v209, v202
	;; [unrolled: 1-line block ×4, first 2 shown]
	s_barrier
	s_nop 0
	v_mfma_f32_16x16x16_f16 v[208:211], v[110:111], v[108:109], v[208:211]
	v_cvt_pk_f16_f32 v109, v18, v19
	v_cvt_pk_f16_f32 v108, v20, v21
	;; [unrolled: 1-line block ×4, first 2 shown]
	s_nop 3
	v_cvt_pk_f16_f32 v23, v208, v209
	v_cvt_pk_f16_f32 v22, v210, v211
	s_cbranch_scc0 .LBB14_175
; %bb.173:                              ;   in Loop: Header=BB14_170 Depth=2
	v_mov_b32_e32 v30, v77
	v_mov_b32_e32 v31, v199
	v_cndmask_b32_e64 v1, 0, 1, s[30:31]
	v_cmp_ne_u32_e64 s[34:35], 1, v1
	s_andn2_b64 vcc, exec, s[30:31]
	s_cbranch_vccz .LBB14_165
	s_branch .LBB14_170
.LBB14_174:                             ;   in Loop: Header=BB14_14 Depth=1
	v_mov_b32_e32 v199, 0xfeffffff
	s_mov_b32 s2, 0
	v_mov_b32_e32 v77, 0
	v_mov_b32_e32 v22, 0
	v_mov_b32_e32 v23, 0
	v_mov_b32_e32 v24, 0
	v_mov_b32_e32 v25, 0
	v_mov_b32_e32 v110, 0
	v_mov_b32_e32 v111, 0
	v_mov_b32_e32 v108, 0
	v_mov_b32_e32 v109, 0
	v_mov_b32_e32 v28, 0
	v_mov_b32_e32 v29, 0
	v_mov_b32_e32 v27, 0
	v_mov_b32_e32 v26, 0
	s_branch .LBB14_176
.LBB14_175:                             ;   in Loop: Header=BB14_14 Depth=1
	s_lshl_b32 s2, s38, 6
.LBB14_176:                             ;   in Loop: Header=BB14_14 Depth=1
	v_readlane_b32 s28, v215, 4
	s_sub_i32 s28, s28, s2
	s_cmp_lg_u64 s[80:81], 0
	s_cselect_b64 s[30:31], -1, 0
	s_cmp_eq_u64 s[80:81], 0
	v_readlane_b32 s29, v215, 5
	s_cbranch_scc1 .LBB14_186
; %bb.177:                              ;   in Loop: Header=BB14_14 Depth=1
	s_lshl_b64 s[34:35], s[2:3], 1
	s_add_u32 s36, s80, s34
	s_addc_u32 s37, s81, s35
	v_cmp_le_i32_e32 vcc, s28, v38
	s_and_saveexec_b64 s[34:35], vcc
	s_xor_b64 s[34:35], exec, s[34:35]
	s_cbranch_execz .LBB14_179
; %bb.178:                              ;   in Loop: Header=BB14_14 Depth=1
	ds_write_b16 v137, v41 offset:13312
	ds_write_b16 v165, v41 offset:13312
.LBB14_179:                             ;   in Loop: Header=BB14_14 Depth=1
	s_or_saveexec_b64 s[34:35], s[34:35]
	v_lshlrev_b32_e32 v40, 1, v38
	v_lshl_add_u64 v[14:15], s[36:37], 0, v[40:41]
	v_mov_b32_e32 v1, 0
	v_mov_b32_e32 v16, 0
	s_xor_b64 exec, exec, s[34:35]
	s_cbranch_execz .LBB14_181
; %bb.180:                              ;   in Loop: Header=BB14_14 Depth=1
	v_add_u32_e32 v1, s52, v112
	v_mul_hi_u32 v16, s86, v1
	v_add_u32_e32 v16, v1, v16
	v_lshrrev_b32_e32 v16, s87, v16
	v_mul_lo_u32 v16, v16, s72
	v_readlane_b32 s36, v215, 61
	v_sub_u32_e32 v1, v1, v16
	v_readlane_b32 s37, v215, 62
	s_mov_b32 s38, s36
	v_mad_i64_i32 v[16:17], s[36:37], v1, s38, 0
	v_lshl_add_u64 v[16:17], v[16:17], 1, v[14:15]
	global_load_ushort v1, v[16:17], off
	v_add_u32_e32 v16, s52, v164
	v_mul_hi_u32 v17, s86, v16
	v_add_u32_e32 v17, v16, v17
	v_lshrrev_b32_e32 v17, s87, v17
	v_mul_lo_u32 v17, v17, s72
	v_sub_u32_e32 v16, v16, v17
	v_mad_i64_i32 v[16:17], s[36:37], v16, s38, 0
	v_lshl_add_u64 v[16:17], v[16:17], 1, v[14:15]
	global_load_ushort v16, v[16:17], off
	s_waitcnt vmcnt(1)
	ds_write_b16 v137, v1 offset:13312
	s_waitcnt vmcnt(0)
	ds_write_b16 v165, v16 offset:13312
	v_add_u32_e32 v1, s52, v166
	v_mul_hi_u32 v16, s86, v1
	v_add_u32_e32 v16, v1, v16
	v_lshrrev_b32_e32 v16, s87, v16
	v_mul_lo_u32 v16, v16, s72
	v_sub_u32_e32 v1, v1, v16
	v_mad_i64_i32 v[16:17], s[36:37], v1, s38, 0
	v_lshl_add_u64 v[16:17], v[16:17], 1, v[14:15]
	global_load_ushort v1, v[16:17], off
	v_add_u32_e32 v16, s52, v168
	v_mul_hi_u32 v17, s86, v16
	v_add_u32_e32 v17, v16, v17
	v_lshrrev_b32_e32 v17, s87, v17
	v_mul_lo_u32 v17, v17, s72
	v_sub_u32_e32 v16, v16, v17
	v_mad_i64_i32 v[16:17], s[36:37], v16, s38, 0
	v_lshl_add_u64 v[16:17], v[16:17], 1, v[14:15]
	global_load_ushort v16, v[16:17], off
.LBB14_181:                             ;   in Loop: Header=BB14_14 Depth=1
	s_or_b64 exec, exec, s[34:35]
	s_waitcnt vmcnt(1)
	ds_write_b16 v167, v1 offset:13312
	s_waitcnt vmcnt(0)
	ds_write_b16 v169, v16 offset:13312
	s_and_saveexec_b64 s[34:35], vcc
	s_xor_b64 s[34:35], exec, s[34:35]
	s_cbranch_execz .LBB14_183
; %bb.182:                              ;   in Loop: Header=BB14_14 Depth=1
	ds_write_b16 v171, v41 offset:13312
	ds_write_b16 v173, v41 offset:13312
                                        ; implicit-def: $vgpr14_vgpr15
.LBB14_183:                             ;   in Loop: Header=BB14_14 Depth=1
	s_or_saveexec_b64 s[34:35], s[34:35]
	v_mov_b32_e32 v1, 0
	v_mov_b32_e32 v16, 0
	s_xor_b64 exec, exec, s[34:35]
	s_cbranch_execz .LBB14_185
; %bb.184:                              ;   in Loop: Header=BB14_14 Depth=1
	v_add_u32_e32 v1, s52, v170
	v_mul_hi_u32 v16, s86, v1
	v_add_u32_e32 v16, v1, v16
	v_lshrrev_b32_e32 v16, s87, v16
	v_mul_lo_u32 v16, v16, s72
	v_readlane_b32 s36, v215, 61
	v_sub_u32_e32 v1, v1, v16
	v_readlane_b32 s37, v215, 62
	s_mov_b32 s38, s36
	v_mad_i64_i32 v[16:17], s[36:37], v1, s38, 0
	v_lshl_add_u64 v[16:17], v[16:17], 1, v[14:15]
	global_load_ushort v1, v[16:17], off
	v_add_u32_e32 v16, s52, v172
	v_mul_hi_u32 v17, s86, v16
	v_add_u32_e32 v17, v16, v17
	v_lshrrev_b32_e32 v17, s87, v17
	v_mul_lo_u32 v17, v17, s72
	v_sub_u32_e32 v16, v16, v17
	v_mad_i64_i32 v[16:17], s[36:37], v16, s38, 0
	v_lshl_add_u64 v[16:17], v[16:17], 1, v[14:15]
	global_load_ushort v16, v[16:17], off
	s_waitcnt vmcnt(1)
	ds_write_b16 v171, v1 offset:13312
	s_waitcnt vmcnt(0)
	ds_write_b16 v173, v16 offset:13312
	v_add_u32_e32 v1, s52, v174
	v_mul_hi_u32 v16, s86, v1
	v_add_u32_e32 v16, v1, v16
	v_lshrrev_b32_e32 v16, s87, v16
	v_mul_lo_u32 v16, v16, s72
	v_sub_u32_e32 v1, v1, v16
	v_mad_i64_i32 v[16:17], s[36:37], v1, s38, 0
	v_lshl_add_u64 v[16:17], v[16:17], 1, v[14:15]
	global_load_ushort v1, v[16:17], off
	v_add_u32_e32 v16, s52, v176
	v_mul_hi_u32 v17, s86, v16
	v_add_u32_e32 v17, v16, v17
	v_lshrrev_b32_e32 v17, s87, v17
	v_mul_lo_u32 v17, v17, s72
	v_sub_u32_e32 v16, v16, v17
	v_mad_i64_i32 v[16:17], s[36:37], v16, s38, 0
	v_lshl_add_u64 v[14:15], v[16:17], 1, v[14:15]
	global_load_ushort v16, v[14:15], off
.LBB14_185:                             ;   in Loop: Header=BB14_14 Depth=1
	s_or_b64 exec, exec, s[34:35]
	s_waitcnt vmcnt(1)
	ds_write_b16 v175, v1 offset:13312
	s_waitcnt vmcnt(0)
	ds_write_b16 v177, v16 offset:13312
.LBB14_186:                             ;   in Loop: Header=BB14_14 Depth=1
	s_mul_i32 s29, s2, s75
	s_mul_hi_u32 s34, s2, s74
	s_add_i32 s35, s34, s29
	s_mul_i32 s34, s2, s74
	s_lshl_b64 s[34:35], s[34:35], 2
	s_add_u32 s36, s78, s34
	s_addc_u32 s37, s99, s35
	v_lshl_add_u64 v[14:15], v[50:51], 2, s[36:37]
	v_lshlrev_b32_e32 v40, 2, v42
	v_lshl_add_u64 v[14:15], v[14:15], 0, v[40:41]
	v_lshl_add_u64 v[14:15], v[14:15], 0, s[4:5]
	v_mov_b32_e32 v1, s91
	v_cmp_gt_i32_e64 s[38:39], s28, v117
	scratch_store_dwordx4 off, v[204:207], off
	v_lshlrev_b32_e32 v16, 2, v44
	v_cndmask_b32_e64 v15, v1, v15, s[38:39]
	v_cndmask_b32_e64 v14, v198, v14, s[38:39]
	flat_load_dwordx4 v[18:21], v[14:15]
	v_mov_b32_e32 v17, v41
	v_lshl_add_u64 v[14:15], v[52:53], 2, s[36:37]
	v_lshl_add_u64 v[14:15], v[14:15], 0, v[16:17]
	v_cmp_gt_i32_e64 s[34:35], s28, v119
	s_andn2_b64 vcc, exec, s[30:31]
	s_waitcnt vmcnt(0) lgkmcnt(0)
	ds_write_b128 v118, v[18:21]
	v_cndmask_b32_e64 v15, v1, v15, s[34:35]
	v_cndmask_b32_e64 v14, v198, v14, s[34:35]
	flat_load_dwordx4 v[18:21], v[14:15]
	v_lshl_add_u64 v[14:15], v[54:55], 2, s[36:37]
	v_lshl_add_u64 v[14:15], v[14:15], 0, v[16:17]
	v_cmp_gt_i32_e64 s[36:37], s28, v178
	s_waitcnt vmcnt(0) lgkmcnt(0)
	ds_write_b128 v120, v[18:21]
	v_cndmask_b32_e64 v15, v1, v15, s[36:37]
	v_cndmask_b32_e64 v14, v198, v14, s[36:37]
	flat_load_dwordx4 v[18:21], v[14:15]
	v_add_u32_e32 v1, v45, v139
	v_add_u32_e32 v14, 0x1800, v1
	s_waitcnt vmcnt(0) lgkmcnt(0)
	ds_write_b128 v179, v[18:21]
	s_waitcnt lgkmcnt(0)
	s_barrier
	ds_read2_b64 v[18:21], v1 offset1:4
	ds_read2_b64 v[78:81], v14 offset0:64 offset1:68
	s_waitcnt lgkmcnt(1)
	v_mfma_f32_16x16x16_f16 v[30:33], v[18:19], v[10:11], 0
	s_waitcnt lgkmcnt(0)
	v_mfma_f32_16x16x16_f16 v[82:85], v[78:79], v[10:11], 0
	v_mfma_f32_16x16x16_f16 v[18:21], v[20:21], v[12:13], v[30:33]
	;; [unrolled: 1-line block ×3, first 2 shown]
	s_nop 3
	ds_read2_b64 v[30:33], v1 offset0:8 offset1:12
	ds_read2_b64 v[78:81], v14 offset0:72 offset1:76
	s_waitcnt lgkmcnt(1)
	v_mfma_f32_16x16x16_f16 v[18:21], v[30:31], v[6:7], v[18:21]
	s_waitcnt lgkmcnt(0)
	v_mfma_f32_16x16x16_f16 v[10:13], v[78:79], v[6:7], v[10:13]
	v_mfma_f32_16x16x16_f16 v[18:21], v[32:33], v[8:9], v[18:21]
	ds_read2_b64 v[30:33], v14 offset0:80 offset1:84
	v_mfma_f32_16x16x16_f16 v[6:9], v[80:81], v[8:9], v[10:13]
	s_nop 4
	ds_read2_b64 v[10:13], v1 offset0:16 offset1:20
	s_waitcnt lgkmcnt(0)
	v_mfma_f32_16x16x16_f16 v[18:21], v[10:11], v[2:3], v[18:21]
	s_barrier
	v_mfma_f32_16x16x16_f16 v[78:81], v[30:31], v[2:3], v[6:9]
	v_mfma_f32_16x16x16_f16 v[6:9], v[12:13], v[4:5], v[18:21]
	;; [unrolled: 1-line block ×3, first 2 shown]
	s_cbranch_vccnz .LBB14_188
; %bb.187:                              ;   in Loop: Header=BB14_14 Depth=1
	v_add_u32_e32 v1, 0x3400, v141
	ds_read2_b32 v[10:11], v1 offset1:1
	ds_read_b32 v1, v143 offset:13312
	s_waitcnt lgkmcnt(1)
	v_cvt_f32_f16_e32 v12, v10
	v_cvt_f32_f16_sdwa v13, v10 dst_sel:DWORD dst_unused:UNUSED_PAD src0_sel:WORD_1
	v_cvt_f32_f16_e32 v10, v11
	v_cvt_f32_f16_sdwa v11, v11 dst_sel:DWORD dst_unused:UNUSED_PAD src0_sel:WORD_1
	v_pk_fma_f32 v[6:7], v[76:77], v[12:13], v[6:7] op_sel_hi:[0,1,1]
	v_pk_fma_f32 v[8:9], v[76:77], v[10:11], v[8:9] op_sel_hi:[0,1,1]
	s_waitcnt lgkmcnt(0)
	v_cvt_f32_f16_sdwa v11, v1 dst_sel:DWORD dst_unused:UNUSED_PAD src0_sel:WORD_1
	v_cvt_f32_f16_e32 v10, v1
	ds_read_b32 v1, v145 offset:13312
	v_pk_fma_f32 v[2:3], v[76:77], v[10:11], v[2:3] op_sel_hi:[0,1,1]
	s_waitcnt lgkmcnt(0)
	v_cvt_f32_f16_sdwa v13, v1 dst_sel:DWORD dst_unused:UNUSED_PAD src0_sel:WORD_1
	v_cvt_f32_f16_e32 v12, v1
	v_pk_fma_f32 v[4:5], v[76:77], v[12:13], v[4:5] op_sel_hi:[0,1,1]
.LBB14_188:                             ;   in Loop: Header=BB14_14 Depth=1
	s_mul_i32 s29, s2, s55
	s_mul_hi_u32 s30, s2, s54
	s_add_i32 s31, s30, s29
	s_mul_i32 s30, s2, s54
	s_lshl_b64 s[30:31], s[30:31], 2
	s_add_u32 s30, s89, s30
	s_addc_u32 s31, s90, s31
	v_lshl_add_u64 v[10:11], v[56:57], 2, s[30:31]
	v_lshl_add_u64 v[10:11], v[10:11], 0, v[40:41]
	;; [unrolled: 1-line block ×3, first 2 shown]
	v_mov_b32_e32 v20, s91
	scratch_store_dwordx4 off, v[204:207], off
	v_cndmask_b32_e64 v11, v20, v11, s[38:39]
	v_cndmask_b32_e64 v10, v198, v10, s[38:39]
	flat_load_dwordx4 v[78:81], v[10:11]
	v_add_f32_e32 v18, 0x40051340, v6
	v_max_f32_e32 v19, v199, v199
	v_and_b32_e32 v21, 64, v197
	v_xor_b32_e32 v30, 32, v197
	v_max_f32_e32 v18, v19, v18
	v_add_u32_e32 v19, 64, v21
	v_xor_b32_e32 v84, 16, v197
	v_cmp_gt_u32_e64 s[50:51], s28, v138
	v_cmp_lt_i32_e32 vcc, v30, v19
	v_add_f32_e32 v31, 0x40051340, v7
	v_cndmask_b32_e64 v18, v199, v18, s[50:51]
	v_cndmask_b32_e32 v21, v197, v30, vcc
	v_cmp_lt_i32_e32 vcc, v84, v19
	v_add_f32_e32 v32, 0x40051340, v8
	v_cmp_gt_u32_e64 s[38:39], s28, v181
	v_cndmask_b32_e32 v19, v197, v84, vcc
	v_max_f32_e32 v84, v18, v18
	v_lshlrev_b32_e32 v30, 2, v19
	v_max_f32_e32 v19, v84, v31
	v_cmp_gt_u32_e32 vcc, s28, v180
	v_add_f32_e32 v33, 0x40051340, v9
	v_cmp_gt_u32_e64 s[40:41], s28, v182
	v_cndmask_b32_e32 v31, v18, v19, vcc
	v_max_f32_e32 v84, v31, v31
	v_max_f32_e32 v32, v84, v32
	v_cndmask_b32_e64 v31, v31, v32, s[38:39]
	v_max_f32_e32 v32, v31, v31
	v_max_f32_e32 v32, v32, v33
	v_cndmask_b32_e64 v31, v31, v32, s[40:41]
	v_add_f32_e32 v40, 0x40051340, v2
	v_max_f32_e32 v32, v31, v31
	v_max_f32_e32 v32, v32, v40
	v_cmp_gt_u32_e64 s[42:43], s28, v142
	v_add_f32_e32 v76, 0x40051340, v3
	v_cmp_gt_u32_e64 s[44:45], s28, v183
	v_cndmask_b32_e64 v31, v31, v32, s[42:43]
	v_max_f32_e32 v32, v31, v31
	v_max_f32_e32 v32, v32, v76
	v_cndmask_b32_e64 v31, v31, v32, s[44:45]
	v_add_f32_e32 v82, 0x40051340, v4
	v_max_f32_e32 v32, v31, v31
	v_max_f32_e32 v32, v32, v82
	v_cmp_gt_u32_e64 s[46:47], s28, v144
	v_add_f32_e32 v83, 0x40051340, v5
	v_cmp_gt_u32_e64 s[48:49], s28, v184
	v_cndmask_b32_e64 v31, v31, v32, s[46:47]
	v_max_f32_e32 v32, v31, v31
	v_max_f32_e32 v32, v32, v83
	v_lshlrev_b32_e32 v21, 2, v21
	v_cndmask_b32_e64 v31, v31, v32, s[48:49]
	ds_bpermute_b32 v40, v21, v31
	v_lshl_add_u64 v[18:19], v[58:59], 2, s[30:31]
	v_lshl_add_u64 v[32:33], v[60:61], 2, s[30:31]
	;; [unrolled: 1-line block ×4, first 2 shown]
	v_max_f32_e32 v31, v31, v31
	s_waitcnt lgkmcnt(0)
	v_max_f32_e32 v32, v40, v40
	v_max_f32_e32 v31, v31, v32
	ds_bpermute_b32 v40, v30, v31
	v_cndmask_b32_e64 v19, v20, v19, s[34:35]
	v_cndmask_b32_e64 v18, v198, v18, s[34:35]
	;; [unrolled: 1-line block ×4, first 2 shown]
	s_waitcnt lgkmcnt(0)
	v_max_f32_e32 v16, v40, v40
	v_max_f32_e32 v20, v31, v16
	v_sub_f32_e32 v6, v6, v20
	v_sub_f32_e32 v7, v7, v20
	v_mul_f32_e32 v40, 0x3fb8aa3b, v6
	v_sub_f32_e32 v8, v8, v20
	v_mul_f32_e32 v76, 0x3fb8aa3b, v7
	v_fma_f32 v85, v6, s98, -v40
	v_rndne_f32_e32 v86, v40
	v_sub_f32_e32 v9, v9, v20
	v_fma_f32 v87, v7, s98, -v76
	v_rndne_f32_e32 v88, v76
	v_fmac_f32_e32 v85, 0x32a5705f, v6
	v_sub_f32_e32 v40, v40, v86
	v_sub_f32_e32 v2, v2, v20
	v_fmac_f32_e32 v87, 0x32a5705f, v7
	s_waitcnt vmcnt(0)
	ds_write_b128 v118, v[78:81]
	flat_load_dwordx4 v[16:19], v[18:19]
	v_mul_f32_e32 v78, 0x3fb8aa3b, v8
	v_mul_f32_e32 v79, 0x3fb8aa3b, v9
	v_fma_f32 v89, v8, s98, -v78
	v_rndne_f32_e32 v90, v78
	v_sub_f32_e32 v76, v76, v88
	v_add_f32_e32 v40, v40, v85
	v_sub_f32_e32 v3, v3, v20
	v_mul_f32_e32 v80, 0x3fb8aa3b, v2
	v_fma_f32 v91, v9, s98, -v79
	v_rndne_f32_e32 v92, v79
	v_cvt_i32_f32_e32 v86, v86
	v_fmac_f32_e32 v89, 0x32a5705f, v8
	v_sub_f32_e32 v78, v78, v90
	v_add_f32_e32 v76, v76, v87
	v_exp_f32_e32 v40, v40
	v_sub_f32_e32 v4, v4, v20
	v_mul_f32_e32 v81, 0x3fb8aa3b, v3
	v_fma_f32 v93, v2, s98, -v80
	v_rndne_f32_e32 v94, v80
	v_cvt_i32_f32_e32 v88, v88
	v_fmac_f32_e32 v91, 0x32a5705f, v9
	v_sub_f32_e32 v79, v79, v92
	v_add_f32_e32 v78, v78, v89
	v_exp_f32_e32 v76, v76
	;; [unrolled: 9-line block ×4, first 2 shown]
	v_mul_f32_e32 v84, 0x3fb8aa3b, v31
	v_fma_f32 v99, v5, s98, -v83
	v_rndne_f32_e32 v100, v83
	v_cvt_i32_f32_e32 v94, v94
	v_fmac_f32_e32 v97, 0x32a5705f, v4
	v_sub_f32_e32 v82, v82, v98
	v_add_f32_e32 v81, v81, v95
	v_exp_f32_e32 v80, v80
	v_ldexp_f32 v40, v40, v86
	v_cmp_ngt_f32_e64 s[34:35], s97, v6
	v_fma_f32 v101, v31, s98, -v84
	v_rndne_f32_e32 v102, v84
	v_cvt_i32_f32_e32 v96, v96
	v_fmac_f32_e32 v99, 0x32a5705f, v5
	v_sub_f32_e32 v83, v83, v100
	v_add_f32_e32 v82, v82, v97
	v_exp_f32_e32 v81, v81
	v_ldexp_f32 v76, v76, v88
	v_cndmask_b32_e64 v40, 0, v40, s[34:35]
	v_cmp_ngt_f32_e64 s[34:35], s97, v7
	v_cvt_i32_f32_e32 v98, v98
	v_fmac_f32_e32 v101, 0x32a5705f, v31
	v_sub_f32_e32 v84, v84, v102
	v_add_f32_e32 v83, v83, v99
	v_exp_f32_e32 v82, v82
	v_ldexp_f32 v78, v78, v90
	v_cndmask_b32_e64 v76, 0, v76, s[34:35]
	v_cmp_ngt_f32_e64 s[34:35], s97, v8
	v_cvt_i32_f32_e32 v100, v100
	v_add_f32_e32 v84, v84, v101
	v_ldexp_f32 v79, v79, v92
	v_cndmask_b32_e64 v78, 0, v78, s[34:35]
	v_cmp_ngt_f32_e64 s[34:35], s97, v9
	v_cvt_i32_f32_e32 v102, v102
	v_ldexp_f32 v80, v80, v94
	v_cndmask_b32_e64 v79, 0, v79, s[34:35]
	v_cmp_ngt_f32_e64 s[34:35], s97, v2
	s_waitcnt vmcnt(0) lgkmcnt(0)
	ds_write_b128 v120, v[16:19]
	flat_load_dwordx4 v[16:19], v[32:33]
	v_exp_f32_e32 v32, v83
	v_exp_f32_e32 v33, v84
	v_ldexp_f32 v81, v81, v96
	v_cndmask_b32_e64 v80, 0, v80, s[34:35]
	v_cmp_ngt_f32_e64 s[34:35], s97, v3
	v_ldexp_f32 v82, v82, v98
	v_ldexp_f32 v32, v32, v100
	v_cndmask_b32_e64 v81, 0, v81, s[34:35]
	v_cmp_ngt_f32_e64 s[34:35], s97, v4
	v_ldexp_f32 v33, v33, v102
	v_mov_b32_e32 v1, s3
	v_cndmask_b32_e64 v82, 0, v82, s[34:35]
	v_cmp_ngt_f32_e64 s[34:35], s97, v5
	v_mov_b32_e32 v10, s3
	v_mov_b32_e32 v11, s3
	v_cndmask_b32_e64 v32, 0, v32, s[34:35]
	v_cmp_ngt_f32_e64 s[34:35], s97, v31
	v_mov_b32_e32 v12, s3
	v_mov_b32_e32 v15, s3
	v_cndmask_b32_e64 v33, 0, v33, s[34:35]
	v_cmp_nlt_f32_e64 s[34:35], s73, v6
	v_mov_b32_e32 v13, s3
	v_mov_b32_e32 v14, s3
	v_cndmask_b32_e64 v6, v195, v40, s[34:35]
	v_cmp_nlt_f32_e64 s[34:35], s73, v7
	v_cndmask_b32_e64 v6, 0, v6, s[50:51]
	s_cmp_lg_u64 s[94:95], 0
	v_cndmask_b32_e64 v7, v195, v76, s[34:35]
	v_cmp_nlt_f32_e64 s[34:35], s73, v8
	v_readlane_b32 s36, v215, 38
	s_cselect_b64 s[28:29], -1, 0
	v_cndmask_b32_e64 v40, v195, v78, s[34:35]
	v_cmp_nlt_f32_e64 s[34:35], s73, v9
	v_cndmask_b32_e64 v8, v10, v40, s[38:39]
	v_readlane_b32 s37, v215, 39
	v_cndmask_b32_e64 v9, v195, v79, s[34:35]
	v_cmp_nlt_f32_e64 s[34:35], s73, v2
	s_and_b64 s[28:29], s[36:37], s[28:29]
	s_waitcnt vmcnt(0) lgkmcnt(0)
	ds_write_b128 v179, v[16:19]
	v_cndmask_b32_e64 v76, v195, v80, s[34:35]
	v_cmp_nlt_f32_e64 s[34:35], s73, v3
	v_cndmask_b32_e32 v3, v1, v7, vcc
	v_add_f32_e32 v7, v7, v6
	v_cndmask_b32_e64 v78, v195, v81, s[34:35]
	v_cmp_nlt_f32_e64 s[34:35], s73, v4
	v_cndmask_b32_e32 v7, v6, v7, vcc
	v_cndmask_b32_e64 v2, v12, v76, s[42:43]
	v_cndmask_b32_e64 v79, v195, v82, s[34:35]
	v_cmp_nlt_f32_e64 s[34:35], s73, v5
	v_add_f32_e32 v12, v7, v40
	v_cndmask_b32_e64 v7, v7, v12, s[38:39]
	v_cndmask_b32_e64 v5, v195, v32, s[34:35]
	v_cmp_nlt_f32_e64 s[34:35], s73, v31
	v_cndmask_b32_e64 v80, v15, v5, s[48:49]
	v_cndmask_b32_e64 v1, v13, v78, s[44:45]
	;; [unrolled: 1-line block ×3, first 2 shown]
	v_cmp_le_f32_e64 s[34:35], s92, v31
	v_cndmask_b32_e64 v33, v11, v9, s[40:41]
	v_add_f32_e32 v9, v7, v9
	v_cndmask_b32_e64 v10, 0, v32, s[34:35]
	v_cvt_f16_f32_e32 v11, v10
	v_cndmask_b32_e64 v7, v7, v9, s[40:41]
	v_cndmask_b32_e64 v4, v14, v79, s[46:47]
	s_waitcnt lgkmcnt(0)
	v_mul_u32_u24_e32 v31, 0x10001, v11
	v_add_f32_e32 v11, v76, v7
	v_cndmask_b32_e64 v7, v7, v11, s[42:43]
	v_add_f32_e32 v11, v78, v7
	v_cndmask_b32_e64 v7, v7, v11, s[44:45]
	;; [unrolled: 2-line block ×4, first 2 shown]
	v_fmac_f32_e32 v76, v77, v10
	s_barrier
	ds_read_u16 v5, v122
	ds_read_u16 v16, v122 offset:32
	ds_read_u16 v17, v122 offset:6656
	;; [unrolled: 1-line block ×7, first 2 shown]
	ds_read_u16 v7, v123
	ds_read_u16 v83, v123 offset:32
	ds_read_u16 v84, v123 offset:64
	;; [unrolled: 1-line block ×7, first 2 shown]
	v_pk_mul_f16 v9, v111, v31
	v_pk_mul_f16 v13, v110, v31
	s_waitcnt lgkmcnt(7)
	v_perm_b32 v15, v7, v5, s93
	ds_read_u16 v5, v121 offset:208
	ds_read_u16 v7, v121
	ds_read_u16 v90, v121 offset:32
	ds_read_u16 v91, v121 offset:240
	;; [unrolled: 1-line block ×6, first 2 shown]
	s_waitcnt lgkmcnt(6)
	v_perm_b32 v14, v5, v7, s93
	v_cvt_f32_f16_e32 v10, v9
	v_cvt_f32_f16_sdwa v11, v9 dst_sel:DWORD dst_unused:UNUSED_PAD src0_sel:WORD_1
	v_cvt_f32_f16_e32 v12, v13
	v_cvt_f32_f16_sdwa v13, v13 dst_sel:DWORD dst_unused:UNUSED_PAD src0_sel:WORD_1
	v_pk_mul_f16 v82, v29, v31
	v_pk_mul_f16 v96, v28, v31
	v_cvt_pk_f16_f32 v29, v8, v33
	v_cvt_pk_f16_f32 v28, v6, v3
	v_pk_mul_f16 v40, v109, v31
	v_pk_mul_f16 v81, v108, v31
	v_mfma_f32_16x16x16_f16 v[6:9], v[14:15], v[28:29], v[10:13]
	v_cvt_pk_f16_f32 v33, v4, v80
	v_cvt_pk_f16_f32 v32, v2, v1
	v_pk_mul_f16 v26, v26, v31
	v_pk_mul_f16 v27, v27, v31
	;; [unrolled: 1-line block ×3, first 2 shown]
	s_nop 2
	v_cvt_f16_f32_e32 v3, v6
	v_cvt_f16_f32_e32 v5, v7
	;; [unrolled: 1-line block ×4, first 2 shown]
	v_cvt_f32_f16_e32 v6, v3
	ds_read_u16 v3, v123 offset:6656
	ds_read_u16 v12, v123 offset:6688
	;; [unrolled: 1-line block ×8, first 2 shown]
	v_cvt_f32_f16_e32 v7, v5
	s_waitcnt lgkmcnt(7)
	v_perm_b32 v11, v3, v17, s93
	ds_read_u16 v3, v121 offset:6656
	ds_read_u16 v13, v121 offset:6688
	;; [unrolled: 1-line block ×16, first 2 shown]
	s_waitcnt lgkmcnt(7)
	v_perm_b32 v10, v5, v3, s93
	v_cvt_f32_f16_e32 v8, v8
	v_cvt_f32_f16_e32 v9, v9
	v_perm_b32 v14, v14, v92, s93
	v_pk_mul_f16 v24, v24, v31
	v_mfma_f32_16x16x16_f16 v[2:5], v[10:11], v[32:33], v[6:9]
	v_perm_b32 v11, v83, v16, s93
	v_perm_b32 v10, v91, v90, s93
	s_nop 0
	v_cvt_f32_f16_e32 v6, v40
	v_cvt_f32_f16_sdwa v7, v40 dst_sel:DWORD dst_unused:UNUSED_PAD src0_sel:WORD_1
	v_cvt_f32_f16_e32 v8, v81
	v_cvt_f32_f16_sdwa v9, v81 dst_sel:DWORD dst_unused:UNUSED_PAD src0_sel:WORD_1
	s_nop 0
	v_cvt_f16_f32_e32 v16, v5
	v_pk_mul_f16 v23, v23, v31
	v_mfma_f32_16x16x16_f16 v[6:9], v[10:11], v[28:29], v[6:9]
	v_perm_b32 v11, v12, v18, s93
	s_waitcnt lgkmcnt(6)
	v_perm_b32 v10, v15, v13, s93
	v_perm_b32 v15, v84, v19, s93
	v_cvt_f32_f16_e32 v12, v96
	s_nop 2
	v_cvt_f16_f32_e32 v1, v6
	v_cvt_f16_f32_e32 v7, v7
	;; [unrolled: 1-line block ×4, first 2 shown]
	v_cvt_f32_f16_e32 v6, v1
	v_cvt_f32_f16_e32 v7, v7
	;; [unrolled: 1-line block ×4, first 2 shown]
	v_cvt_f32_f16_sdwa v13, v96 dst_sel:DWORD dst_unused:UNUSED_PAD src0_sel:WORD_1
	v_cvt_f16_f32_e32 v1, v4
	v_mfma_f32_16x16x16_f16 v[6:9], v[10:11], v[32:33], v[6:9]
	v_cvt_f32_f16_e32 v10, v82
	v_cvt_f32_f16_sdwa v11, v82 dst_sel:DWORD dst_unused:UNUSED_PAD src0_sel:WORD_1
	v_perm_b32 v1, v16, v1, s93
	v_perm_b32 v16, v103, v93, s93
	v_mfma_f32_16x16x16_f16 v[10:13], v[14:15], v[28:29], v[10:13]
	s_nop 2
	v_cvt_f16_f32_e32 v18, v8
	v_cvt_f16_f32_e32 v19, v9
	v_cvt_f32_f16_e32 v14, v27
	v_cvt_f32_f16_sdwa v15, v27 dst_sel:DWORD dst_unused:UNUSED_PAD src0_sel:WORD_1
	s_nop 0
	v_cvt_f16_f32_e32 v4, v10
	v_cvt_f16_f32_e32 v5, v11
	;; [unrolled: 1-line block ×4, first 2 shown]
	v_cvt_f32_f16_e32 v10, v4
	v_cvt_f32_f16_e32 v11, v5
	v_perm_b32 v5, v97, v85, s93
	s_waitcnt lgkmcnt(5)
	v_perm_b32 v4, v107, v17, s93
	v_cvt_f32_f16_e32 v12, v12
	v_cvt_f32_f16_e32 v13, v13
	v_perm_b32 v17, v86, v77, s93
	v_pk_mul_f16 v31, v22, v31
	v_mfma_f32_16x16x16_f16 v[8:11], v[4:5], v[32:33], v[10:13]
	v_perm_b32 v4, v19, v18, s93
	v_perm_b32 v19, v99, v78, s93
	s_nop 0
	v_cvt_f32_f16_e32 v12, v26
	v_cvt_f32_f16_sdwa v13, v26 dst_sel:DWORD dst_unused:UNUSED_PAD src0_sel:WORD_1
	v_perm_b32 v18, v105, v94, s93
	s_nop 1
	v_cvt_f16_f32_e32 v22, v11
	v_mfma_f32_16x16x16_f16 v[12:15], v[16:17], v[28:29], v[12:15]
	v_perm_b32 v17, v98, v87, s93
	s_waitcnt lgkmcnt(4)
	v_perm_b32 v16, v108, v104, s93
	ds_bpermute_b32 v21, v21, v76
	v_cvt_f16_f32_e32 v40, v2
	s_nop 2
	v_cvt_f16_f32_e32 v5, v12
	v_cvt_f16_f32_e32 v13, v13
	;; [unrolled: 1-line block ×4, first 2 shown]
	v_cvt_f32_f16_e32 v12, v5
	v_cvt_f32_f16_e32 v13, v13
	;; [unrolled: 1-line block ×4, first 2 shown]
	v_cvt_f16_f32_e32 v5, v10
	s_waitcnt lgkmcnt(0)
	v_add_f32_e32 v21, v76, v21
	v_mfma_f32_16x16x16_f16 v[10:13], v[16:17], v[32:33], v[12:15]
	v_cvt_f32_f16_e32 v16, v24
	v_cvt_f32_f16_sdwa v17, v24 dst_sel:DWORD dst_unused:UNUSED_PAD src0_sel:WORD_1
	s_nop 0
	v_cvt_f32_f16_e32 v14, v25
	v_cvt_f32_f16_sdwa v15, v25 dst_sel:DWORD dst_unused:UNUSED_PAD src0_sel:WORD_1
	s_nop 2
	v_cvt_f16_f32_e32 v83, v12
	v_cvt_f16_f32_e32 v84, v13
	v_mfma_f32_16x16x16_f16 v[14:17], v[18:19], v[28:29], v[14:17]
	v_perm_b32 v19, v100, v88, s93
	v_perm_b32 v18, v110, v109, s93
	;; [unrolled: 1-line block ×3, first 2 shown]
	v_cvt_f32_f16_e32 v22, v23
	s_nop 3
	v_cvt_f16_f32_e32 v14, v14
	v_cvt_f16_f32_e32 v15, v15
	;; [unrolled: 1-line block ×4, first 2 shown]
	v_cvt_f32_f16_e32 v14, v14
	v_cvt_f32_f16_e32 v15, v15
	;; [unrolled: 1-line block ×4, first 2 shown]
	v_cvt_f32_f16_sdwa v23, v23 dst_sel:DWORD dst_unused:UNUSED_PAD src0_sel:WORD_1
	v_cvt_f32_f16_e32 v24, v31
	v_mfma_f32_16x16x16_f16 v[12:15], v[18:19], v[32:33], v[14:17]
	v_cvt_f32_f16_sdwa v25, v31 dst_sel:DWORD dst_unused:UNUSED_PAD src0_sel:WORD_1
	v_cvt_f16_f32_e32 v80, v3
	s_nop 0
	v_perm_b32 v17, v102, v79, s93
	v_perm_b32 v16, v106, v95, s93
	s_nop 2
	v_cvt_f16_f32_e32 v19, v14
	v_cvt_f16_f32_e32 v31, v15
	v_mfma_f32_16x16x16_f16 v[14:17], v[16:17], v[28:29], v[22:25]
	v_cvt_f16_f32_e32 v26, v6
	s_nop 1
	v_perm_b32 v23, v101, v89, s93
	v_perm_b32 v22, v111, v199, s93
	s_nop 2
	v_cvt_f16_f32_e32 v14, v14
	v_cvt_f16_f32_e32 v15, v15
	;; [unrolled: 1-line block ×4, first 2 shown]
	v_cvt_f32_f16_e32 v14, v14
	v_cvt_f32_f16_e32 v15, v15
	;; [unrolled: 1-line block ×4, first 2 shown]
	v_cvt_f16_f32_e32 v27, v7
	v_cvt_f16_f32_e32 v77, v8
	v_mfma_f32_16x16x16_f16 v[14:17], v[22:23], v[32:33], v[14:17]
	ds_bpermute_b32 v22, v30, v21
	v_cvt_f16_f32_e32 v78, v9
	v_cvt_f16_f32_e32 v81, v10
	;; [unrolled: 1-line block ×5, first 2 shown]
	v_perm_b32 v19, v31, v19, s93
	s_nop 0
	v_cvt_f16_f32_e32 v29, v14
	v_cvt_f16_f32_e32 v16, v16
	;; [unrolled: 1-line block ×4, first 2 shown]
	v_perm_b32 v18, v84, v83, s93
	s_waitcnt lgkmcnt(0)
	v_add_f32_e32 v21, v21, v22
	v_perm_b32 v16, v17, v16, s93
	v_perm_b32 v17, v82, v81, s93
	;; [unrolled: 1-line block ×7, first 2 shown]
	s_barrier
	s_and_saveexec_b64 s[30:31], s[28:29]
	s_cbranch_execz .LBB14_190
; %bb.189:                              ;   in Loop: Header=BB14_14 Depth=1
	v_cvt_pk_f16_f32 v6, v6, v7
	v_cvt_pk_f16_f32 v7, v8, v9
	;; [unrolled: 1-line block ×3, first 2 shown]
	global_load_dword v11, v41, s[94:95]
	v_cvt_pk_f16_f32 v3, v2, v3
	v_cvt_pk_f16_f32 v9, v12, v13
	v_max_f32_e32 v12, v20, v20
	v_cvt_pk_f16_f32 v10, v14, v15
	s_waitcnt vmcnt(0)
	v_max_f32_e32 v2, v11, v11
	v_max_f32_e32 v2, v12, v2
	v_sub_f32_e32 v12, v20, v2
	v_mul_f32_e32 v13, 0x3fb8aa3b, v12
	v_fma_f32 v14, v12, s98, -v13
	v_rndne_f32_e32 v15, v13
	v_fmac_f32_e32 v14, 0x32a5705f, v12
	v_sub_f32_e32 v13, v13, v15
	v_add_f32_e32 v13, v13, v14
	v_exp_f32_e32 v13, v13
	v_cvt_i32_f32_e32 v14, v15
	v_cmp_ngt_f32_e32 vcc, s97, v12
	v_sub_f32_e32 v11, v11, v2
	v_ldexp_f32 v13, v13, v14
	v_cndmask_b32_e32 v13, 0, v13, vcc
	v_cmp_nlt_f32_e32 vcc, s73, v12
	s_nop 1
	v_cndmask_b32_e32 v13, v195, v13, vcc
	v_cmp_le_f32_e32 vcc, s92, v12
	s_nop 1
	v_cndmask_b32_e32 v12, 0, v13, vcc
	v_cvt_f16_f32_e32 v13, v12
	v_cmp_ngt_f32_e32 vcc, s97, v11
	v_mul_u32_u24_e32 v13, 0x10001, v13
	v_pk_mul_f16 v24, v3, v13
	v_mul_f32_e32 v3, 0x3fb8aa3b, v11
	v_pk_mul_f16 v23, v6, v13
	v_pk_mul_f16 v22, v7, v13
	v_fma_f32 v6, v11, s98, -v3
	v_rndne_f32_e32 v7, v3
	v_fmac_f32_e32 v6, 0x32a5705f, v11
	v_sub_f32_e32 v3, v3, v7
	v_add_f32_e32 v3, v3, v6
	v_exp_f32_e32 v3, v3
	v_cvt_i32_f32_e32 v6, v7
	v_pk_mul_f16 v1, v1, v13
	v_pk_mul_f16 v4, v4, v13
	;; [unrolled: 1-line block ×3, first 2 shown]
	v_ldexp_f32 v3, v3, v6
	v_cndmask_b32_e32 v3, 0, v3, vcc
	v_cmp_nlt_f32_e32 vcc, s73, v11
	v_pk_mul_f16 v17, v8, v13
	v_pk_mul_f16 v18, v18, v13
	v_cndmask_b32_e32 v3, v195, v3, vcc
	v_fmac_f32_e32 v3, v21, v12
	v_pk_mul_f16 v25, v9, v13
	v_pk_mul_f16 v19, v19, v13
	;; [unrolled: 1-line block ×4, first 2 shown]
	v_mov_b64_e32 v[20:21], v[2:3]
.LBB14_190:                             ;   in Loop: Header=BB14_14 Depth=1
	s_or_b64 exec, exec, s[30:31]
	s_mov_b64 s[30:31], exec
	v_readlane_b32 s28, v215, 57
	v_readlane_b32 s29, v215, 58
	s_and_b64 s[28:29], s[30:31], s[28:29]
	s_mov_b64 exec, s[28:29]
; %bb.191:                              ;   in Loop: Header=BB14_14 Depth=1
	v_add_u32_e32 v2, 0, v146
	ds_write2_b32 v2, v20, v21 offset0:48 offset1:49
; %bb.192:                              ;   in Loop: Header=BB14_14 Depth=1
	s_or_b64 exec, exec, s[30:31]
	v_readlane_b32 s30, v215, 40
	v_readlane_b32 s31, v215, 41
	s_waitcnt lgkmcnt(0)
	s_barrier
	s_and_saveexec_b64 s[28:29], s[30:31]
	s_xor_b64 s[30:31], exec, s[28:29]
	v_readlane_b32 s48, v214, 1
	s_cbranch_execz .LBB14_194
; %bb.193:                              ;   in Loop: Header=BB14_14 Depth=1
	s_barrier
                                        ; implicit-def: $vgpr30
.LBB14_194:                             ;   in Loop: Header=BB14_14 Depth=1
	s_andn2_saveexec_b64 s[30:31], s[30:31]
	s_cbranch_execz .LBB14_198
; %bb.195:                              ;   in Loop: Header=BB14_14 Depth=1
	v_add_u32_e32 v6, 0, v147
	ds_read_b64 v[2:3], v6 offset:192
	s_waitcnt lgkmcnt(0)
	s_barrier
	ds_bpermute_b32 v7, v30, v2
	v_max_f32_e32 v8, v2, v2
	s_waitcnt lgkmcnt(0)
	v_max_f32_e32 v7, v7, v7
	v_max_f32_e32 v7, v8, v7
	v_sub_f32_e32 v2, v2, v7
	v_mul_f32_e32 v7, 0x3fb8aa3b, v2
	v_fma_f32 v8, v2, s98, -v7
	v_rndne_f32_e32 v9, v7
	v_fmac_f32_e32 v8, 0x32a5705f, v2
	v_sub_f32_e32 v7, v7, v9
	v_add_f32_e32 v7, v7, v8
	v_cvt_i32_f32_e32 v9, v9
	v_exp_f32_e32 v7, v7
	v_cmp_ngt_f32_e32 vcc, s97, v2
	v_ldexp_f32 v7, v7, v9
	s_nop 0
	v_cndmask_b32_e32 v7, 0, v7, vcc
	v_cmp_nlt_f32_e32 vcc, s73, v2
	s_nop 1
	v_cndmask_b32_e32 v2, v195, v7, vcc
	v_mul_f32_e32 v3, v3, v2
	ds_bpermute_b32 v7, v30, v3
	s_mov_b64 s[34:35], exec
	v_readlane_b32 s28, v215, 59
	v_readlane_b32 s29, v215, 60
	s_and_b64 s[28:29], s[34:35], s[28:29]
	s_mov_b64 exec, s[28:29]
	s_cbranch_execz .LBB14_197
; %bb.196:                              ;   in Loop: Header=BB14_14 Depth=1
	s_waitcnt lgkmcnt(0)
	v_add_f32_e32 v3, v3, v7
	ds_write_b64 v6, v[2:3] offset:192
.LBB14_197:                             ;   in Loop: Header=BB14_14 Depth=1
	s_or_b64 exec, exec, s[34:35]
.LBB14_198:                             ;   in Loop: Header=BB14_14 Depth=1
	s_or_b64 exec, exec, s[30:31]
	ds_write2_b32 v124, v24, v1 offset1:1
	ds_write2_b32 v124, v23, v4 offset0:8 offset1:9
	ds_write2_b32 v124, v22, v5 offset0:16 offset1:17
	;; [unrolled: 1-line block ×5, first 2 shown]
	s_waitcnt lgkmcnt(0)
	s_barrier
	s_and_saveexec_b64 s[30:31], s[36:37]
	s_cbranch_execz .LBB14_12
; %bb.199:                              ;   in Loop: Header=BB14_14 Depth=1
	v_add_u32_e32 v1, s52, v125
	v_cmp_gt_i32_e32 vcc, s72, v1
	v_mov_b32_e32 v2, 0x47
	s_and_saveexec_b64 s[34:35], vcc
	s_cbranch_execz .LBB14_201
; %bb.200:                              ;   in Loop: Header=BB14_14 Depth=1
	v_add_u32_e32 v6, 0, v148
	v_add_u32_e32 v4, v162, v148
	ds_read2_b32 v[2:3], v6 offset0:48 offset1:49
	ds_read2st64_b32 v[4:5], v4 offset1:13
	ds_read_b32 v6, v6 offset:3520
	v_readlane_b32 s2, v215, 45
	s_waitcnt lgkmcnt(1)
	v_cvt_f32_f16_e32 v10, v4
	v_cvt_f32_f16_sdwa v11, v4 dst_sel:DWORD dst_unused:UNUSED_PAD src0_sel:WORD_1
	v_cvt_f32_f16_e32 v4, v5
	v_cvt_f32_f16_sdwa v5, v5 dst_sel:DWORD dst_unused:UNUSED_PAD src0_sel:WORD_1
	v_mad_u64_u32 v[8:9], s[28:29], v1, s2, v[34:35]
	v_readlane_b32 s28, v214, 3
	v_pk_fma_f32 v[10:11], v[2:3], v[10:11], 0 op_sel_hi:[0,1,0]
	v_ashrrev_i32_e32 v9, 31, v8
	v_readlane_b32 s29, v214, 4
	s_waitcnt lgkmcnt(0)
	v_pk_fma_f32 v[4:5], v[6:7], v[4:5], v[10:11] op_sel_hi:[0,1,1]
	v_lshl_add_u64 v[8:9], v[8:9], 3, s[28:29]
	v_div_scale_f32 v1, s[28:29], v3, v3, v5
	v_rcp_f32_e32 v2, v1
	s_nop 0
	v_fma_f32 v6, -v1, v2, 1.0
	v_fmac_f32_e32 v2, v6, v2
	v_div_scale_f32 v6, vcc, v5, v3, v5
	v_mul_f32_e32 v7, v6, v2
	v_fma_f32 v10, -v1, v7, v6
	v_fmac_f32_e32 v7, v10, v2
	v_fma_f32 v1, -v1, v7, v6
	v_div_fmas_f32 v1, v1, v2, v7
	v_div_fixup_f32 v5, v1, v3, v5
	v_div_scale_f32 v1, s[28:29], v3, v3, v4
	v_rcp_f32_e32 v2, v1
	s_nop 0
	v_fma_f32 v6, -v1, v2, 1.0
	v_fmac_f32_e32 v2, v6, v2
	v_div_scale_f32 v6, vcc, v4, v3, v4
	v_mul_f32_e32 v7, v6, v2
	v_fma_f32 v10, -v1, v7, v6
	v_fmac_f32_e32 v7, v10, v2
	v_fma_f32 v1, -v1, v7, v6
	v_div_fmas_f32 v1, v1, v2, v7
	v_div_fixup_f32 v4, v1, v3, v4
	v_mov_b32_e32 v2, 0
	global_store_dwordx2 v[8:9], v[4:5], off
.LBB14_201:                             ;   in Loop: Header=BB14_14 Depth=1
	s_or_b64 exec, exec, s[34:35]
	v_cmp_gt_i32_e32 vcc, s53, v2
	s_mov_b64 s[36:37], -1
	s_and_saveexec_b64 s[34:35], vcc
; %bb.202:                              ;   in Loop: Header=BB14_14 Depth=1
	v_cmp_eq_u32_e32 vcc, 0, v2
	s_orn2_b64 s[36:37], vcc, exec
; %bb.203:                              ;   in Loop: Header=BB14_14 Depth=1
	s_or_b64 exec, exec, s[34:35]
	s_and_saveexec_b64 s[34:35], s[36:37]
	s_cbranch_execz .LBB14_236
; %bb.204:                              ;   in Loop: Header=BB14_14 Depth=1
	v_add_u32_e32 v1, s52, v127
	v_cmp_gt_i32_e32 vcc, s72, v1
	v_mov_b32_e32 v2, 0x47
	s_and_saveexec_b64 s[36:37], vcc
	s_cbranch_execz .LBB14_206
; %bb.205:                              ;   in Loop: Header=BB14_14 Depth=1
	v_add_u32_e32 v6, 0, v149
	v_add_u32_e32 v4, v162, v149
	ds_read2_b32 v[2:3], v6 offset0:48 offset1:49
	ds_read2st64_b32 v[4:5], v4 offset1:13
	ds_read_b32 v6, v6 offset:3520
	v_readlane_b32 s2, v215, 45
	s_waitcnt lgkmcnt(1)
	v_cvt_f32_f16_e32 v10, v4
	v_cvt_f32_f16_sdwa v11, v4 dst_sel:DWORD dst_unused:UNUSED_PAD src0_sel:WORD_1
	v_cvt_f32_f16_e32 v4, v5
	v_cvt_f32_f16_sdwa v5, v5 dst_sel:DWORD dst_unused:UNUSED_PAD src0_sel:WORD_1
	v_mad_u64_u32 v[8:9], s[28:29], v1, s2, v[34:35]
	v_readlane_b32 s28, v214, 3
	v_pk_fma_f32 v[10:11], v[2:3], v[10:11], 0 op_sel_hi:[0,1,0]
	v_ashrrev_i32_e32 v9, 31, v8
	v_readlane_b32 s29, v214, 4
	s_waitcnt lgkmcnt(0)
	v_pk_fma_f32 v[4:5], v[6:7], v[4:5], v[10:11] op_sel_hi:[0,1,1]
	v_lshl_add_u64 v[8:9], v[8:9], 3, s[28:29]
	v_div_scale_f32 v1, s[28:29], v3, v3, v5
	v_rcp_f32_e32 v2, v1
	s_nop 0
	v_fma_f32 v6, -v1, v2, 1.0
	v_fmac_f32_e32 v2, v6, v2
	v_div_scale_f32 v6, vcc, v5, v3, v5
	v_mul_f32_e32 v7, v6, v2
	v_fma_f32 v10, -v1, v7, v6
	v_fmac_f32_e32 v7, v10, v2
	v_fma_f32 v1, -v1, v7, v6
	v_div_fmas_f32 v1, v1, v2, v7
	v_div_fixup_f32 v5, v1, v3, v5
	v_div_scale_f32 v1, s[28:29], v3, v3, v4
	v_rcp_f32_e32 v2, v1
	s_nop 0
	v_fma_f32 v6, -v1, v2, 1.0
	v_fmac_f32_e32 v2, v6, v2
	v_div_scale_f32 v6, vcc, v4, v3, v4
	v_mul_f32_e32 v7, v6, v2
	v_fma_f32 v10, -v1, v7, v6
	v_fmac_f32_e32 v7, v10, v2
	v_fma_f32 v1, -v1, v7, v6
	v_div_fmas_f32 v1, v1, v2, v7
	v_div_fixup_f32 v4, v1, v3, v4
	v_mov_b32_e32 v2, 0
	global_store_dwordx2 v[8:9], v[4:5], off
.LBB14_206:                             ;   in Loop: Header=BB14_14 Depth=1
	s_or_b64 exec, exec, s[36:37]
	v_cmp_gt_i32_e32 vcc, s53, v2
	s_mov_b64 s[36:37], -1
	s_and_saveexec_b64 s[38:39], vcc
; %bb.207:                              ;   in Loop: Header=BB14_14 Depth=1
	v_cmp_eq_u32_e32 vcc, 0, v2
	s_orn2_b64 s[36:37], vcc, exec
; %bb.208:                              ;   in Loop: Header=BB14_14 Depth=1
	s_or_b64 exec, exec, s[38:39]
	s_and_b64 exec, exec, s[36:37]
	s_cbranch_execz .LBB14_236
; %bb.209:                              ;   in Loop: Header=BB14_14 Depth=1
	v_add_u32_e32 v1, s52, v128
	v_cmp_gt_i32_e32 vcc, s72, v1
	v_mov_b32_e32 v2, 0x47
	s_and_saveexec_b64 s[36:37], vcc
	s_cbranch_execz .LBB14_211
; %bb.210:                              ;   in Loop: Header=BB14_14 Depth=1
	v_add_u32_e32 v6, 0, v150
	v_add_u32_e32 v4, v162, v150
	ds_read2_b32 v[2:3], v6 offset0:48 offset1:49
	ds_read2st64_b32 v[4:5], v4 offset1:13
	ds_read_b32 v6, v6 offset:3520
	v_readlane_b32 s2, v215, 45
	s_waitcnt lgkmcnt(1)
	v_cvt_f32_f16_e32 v10, v4
	v_cvt_f32_f16_sdwa v11, v4 dst_sel:DWORD dst_unused:UNUSED_PAD src0_sel:WORD_1
	v_cvt_f32_f16_e32 v4, v5
	v_cvt_f32_f16_sdwa v5, v5 dst_sel:DWORD dst_unused:UNUSED_PAD src0_sel:WORD_1
	v_mad_u64_u32 v[8:9], s[28:29], v1, s2, v[34:35]
	v_readlane_b32 s28, v214, 3
	v_pk_fma_f32 v[10:11], v[2:3], v[10:11], 0 op_sel_hi:[0,1,0]
	v_ashrrev_i32_e32 v9, 31, v8
	v_readlane_b32 s29, v214, 4
	s_waitcnt lgkmcnt(0)
	v_pk_fma_f32 v[4:5], v[6:7], v[4:5], v[10:11] op_sel_hi:[0,1,1]
	v_lshl_add_u64 v[8:9], v[8:9], 3, s[28:29]
	v_div_scale_f32 v1, s[28:29], v3, v3, v5
	v_rcp_f32_e32 v2, v1
	s_nop 0
	v_fma_f32 v6, -v1, v2, 1.0
	v_fmac_f32_e32 v2, v6, v2
	v_div_scale_f32 v6, vcc, v5, v3, v5
	v_mul_f32_e32 v7, v6, v2
	v_fma_f32 v10, -v1, v7, v6
	v_fmac_f32_e32 v7, v10, v2
	v_fma_f32 v1, -v1, v7, v6
	v_div_fmas_f32 v1, v1, v2, v7
	v_div_fixup_f32 v5, v1, v3, v5
	v_div_scale_f32 v1, s[28:29], v3, v3, v4
	v_rcp_f32_e32 v2, v1
	s_nop 0
	v_fma_f32 v6, -v1, v2, 1.0
	v_fmac_f32_e32 v2, v6, v2
	v_div_scale_f32 v6, vcc, v4, v3, v4
	v_mul_f32_e32 v7, v6, v2
	v_fma_f32 v10, -v1, v7, v6
	v_fmac_f32_e32 v7, v10, v2
	v_fma_f32 v1, -v1, v7, v6
	v_div_fmas_f32 v1, v1, v2, v7
	v_div_fixup_f32 v4, v1, v3, v4
	v_mov_b32_e32 v2, 0
	global_store_dwordx2 v[8:9], v[4:5], off
.LBB14_211:                             ;   in Loop: Header=BB14_14 Depth=1
	s_or_b64 exec, exec, s[36:37]
	v_cmp_gt_i32_e32 vcc, s53, v2
	s_mov_b64 s[36:37], -1
	s_and_saveexec_b64 s[38:39], vcc
; %bb.212:                              ;   in Loop: Header=BB14_14 Depth=1
	v_cmp_eq_u32_e32 vcc, 0, v2
	s_orn2_b64 s[36:37], vcc, exec
; %bb.213:                              ;   in Loop: Header=BB14_14 Depth=1
	s_or_b64 exec, exec, s[38:39]
	s_and_b64 exec, exec, s[36:37]
	;; [unrolled: 64-line block ×6, first 2 shown]
	s_cbranch_execz .LBB14_236
; %bb.234:                              ;   in Loop: Header=BB14_14 Depth=1
	v_add_u32_e32 v1, s52, v133
	v_cmp_gt_i32_e32 vcc, s72, v1
	s_and_b64 exec, exec, vcc
	s_cbranch_execz .LBB14_236
; %bb.235:                              ;   in Loop: Header=BB14_14 Depth=1
	v_add_u32_e32 v6, 0, v155
	v_add_u32_e32 v4, v162, v155
	ds_read2_b32 v[2:3], v6 offset0:48 offset1:49
	ds_read2st64_b32 v[4:5], v4 offset1:13
	ds_read_b32 v6, v6 offset:3520
	v_readlane_b32 s2, v215, 45
	s_waitcnt lgkmcnt(1)
	v_cvt_f32_f16_e32 v10, v4
	v_cvt_f32_f16_sdwa v11, v4 dst_sel:DWORD dst_unused:UNUSED_PAD src0_sel:WORD_1
	v_cvt_f32_f16_e32 v4, v5
	v_cvt_f32_f16_sdwa v5, v5 dst_sel:DWORD dst_unused:UNUSED_PAD src0_sel:WORD_1
	v_mad_u64_u32 v[8:9], s[28:29], v1, s2, v[34:35]
	v_readlane_b32 s28, v214, 3
	v_pk_fma_f32 v[10:11], v[2:3], v[10:11], 0 op_sel_hi:[0,1,0]
	v_ashrrev_i32_e32 v9, 31, v8
	v_readlane_b32 s29, v214, 4
	s_waitcnt lgkmcnt(0)
	v_pk_fma_f32 v[4:5], v[6:7], v[4:5], v[10:11] op_sel_hi:[0,1,1]
	v_lshl_add_u64 v[8:9], v[8:9], 3, s[28:29]
	v_div_scale_f32 v1, s[28:29], v3, v3, v5
	v_rcp_f32_e32 v2, v1
	s_nop 0
	v_fma_f32 v6, -v1, v2, 1.0
	v_fmac_f32_e32 v2, v6, v2
	v_div_scale_f32 v6, vcc, v5, v3, v5
	v_mul_f32_e32 v7, v6, v2
	v_fma_f32 v10, -v1, v7, v6
	v_fmac_f32_e32 v7, v10, v2
	v_fma_f32 v1, -v1, v7, v6
	v_div_fmas_f32 v1, v1, v2, v7
	v_div_fixup_f32 v5, v1, v3, v5
	v_div_scale_f32 v1, s[28:29], v3, v3, v4
	v_rcp_f32_e32 v2, v1
	s_nop 0
	v_fma_f32 v6, -v1, v2, 1.0
	v_fmac_f32_e32 v2, v6, v2
	v_div_scale_f32 v6, vcc, v4, v3, v4
	v_mul_f32_e32 v7, v6, v2
	v_fma_f32 v10, -v1, v7, v6
	v_fmac_f32_e32 v7, v10, v2
	v_fma_f32 v1, -v1, v7, v6
	v_div_fmas_f32 v1, v1, v2, v7
	v_div_fixup_f32 v4, v1, v3, v4
	global_store_dwordx2 v[8:9], v[4:5], off
.LBB14_236:                             ;   in Loop: Header=BB14_14 Depth=1
	s_or_b64 exec, exec, s[34:35]
	v_add_u32_e32 v2, s52, v126
	v_cmp_gt_i32_e32 vcc, s72, v2
	v_mov_b32_e32 v1, 0x47
	s_and_saveexec_b64 s[34:35], vcc
	s_cbranch_execz .LBB14_238
; %bb.237:                              ;   in Loop: Header=BB14_14 Depth=1
	v_add_u32_e32 v3, v163, v156
	v_add_u32_e32 v1, 0, v156
	;; [unrolled: 1-line block ×3, first 2 shown]
	ds_read2_b32 v[4:5], v1 offset0:48 offset1:49
	ds_read2st64_b32 v[6:7], v3 offset1:13
	ds_read_b32 v8, v1 offset:3520
	v_readlane_b32 s2, v215, 45
	v_readlane_b32 s28, v214, 3
	;; [unrolled: 1-line block ×3, first 2 shown]
	s_waitcnt lgkmcnt(1)
	v_cvt_f32_f16_e32 v10, v6
	v_cvt_f32_f16_sdwa v11, v6 dst_sel:DWORD dst_unused:UNUSED_PAD src0_sel:WORD_1
	v_cvt_f32_f16_e32 v6, v7
	v_cvt_f32_f16_sdwa v7, v7 dst_sel:DWORD dst_unused:UNUSED_PAD src0_sel:WORD_1
	v_mul_lo_u32 v2, v2, s2
	v_ashrrev_i32_e32 v3, 31, v2
	v_pk_fma_f32 v[10:11], v[4:5], v[10:11], 0 op_sel_hi:[0,1,0]
	v_lshl_add_u64 v[2:3], v[2:3], 0, v[36:37]
	s_waitcnt lgkmcnt(0)
	v_pk_fma_f32 v[6:7], v[8:9], v[6:7], v[10:11] op_sel_hi:[0,1,1]
	v_lshl_add_u64 v[2:3], v[2:3], 3, s[28:29]
	v_div_scale_f32 v1, s[28:29], v5, v5, v7
	v_rcp_f32_e32 v4, v1
	s_nop 0
	v_fma_f32 v8, -v1, v4, 1.0
	v_fmac_f32_e32 v4, v8, v4
	v_div_scale_f32 v8, vcc, v7, v5, v7
	v_mul_f32_e32 v9, v8, v4
	v_fma_f32 v10, -v1, v9, v8
	v_fmac_f32_e32 v9, v10, v4
	v_fma_f32 v1, -v1, v9, v8
	v_div_fmas_f32 v1, v1, v4, v9
	v_div_fixup_f32 v7, v1, v5, v7
	v_div_scale_f32 v1, s[28:29], v5, v5, v6
	v_rcp_f32_e32 v4, v1
	s_nop 0
	v_fma_f32 v8, -v1, v4, 1.0
	v_fmac_f32_e32 v4, v8, v4
	v_div_scale_f32 v8, vcc, v6, v5, v6
	v_mul_f32_e32 v9, v8, v4
	v_fma_f32 v10, -v1, v9, v8
	v_fmac_f32_e32 v9, v10, v4
	v_fma_f32 v1, -v1, v9, v8
	v_div_fmas_f32 v1, v1, v4, v9
	v_div_fixup_f32 v6, v1, v5, v6
	v_mov_b32_e32 v1, 0
	global_store_dwordx2 v[2:3], v[6:7], off offset:256
.LBB14_238:                             ;   in Loop: Header=BB14_14 Depth=1
	s_or_b64 exec, exec, s[34:35]
	v_cmp_gt_i32_e32 vcc, s53, v1
	s_mov_b64 s[34:35], -1
	s_and_saveexec_b64 s[36:37], vcc
; %bb.239:                              ;   in Loop: Header=BB14_14 Depth=1
	v_cmp_eq_u32_e32 vcc, 0, v1
	s_orn2_b64 s[34:35], vcc, exec
; %bb.240:                              ;   in Loop: Header=BB14_14 Depth=1
	s_or_b64 exec, exec, s[36:37]
	s_and_b64 exec, exec, s[34:35]
	s_cbranch_execz .LBB14_12
; %bb.241:                              ;   in Loop: Header=BB14_14 Depth=1
	v_add_u32_e32 v2, s52, v134
	v_cmp_gt_i32_e32 vcc, s72, v2
	v_mov_b32_e32 v1, 0x47
	s_and_saveexec_b64 s[34:35], vcc
	s_cbranch_execz .LBB14_243
; %bb.242:                              ;   in Loop: Header=BB14_14 Depth=1
	v_add_u32_e32 v3, v163, v157
	v_add_u32_e32 v1, 0, v157
	;; [unrolled: 1-line block ×3, first 2 shown]
	ds_read2_b32 v[4:5], v1 offset0:48 offset1:49
	ds_read2st64_b32 v[6:7], v3 offset1:13
	ds_read_b32 v8, v1 offset:3520
	v_readlane_b32 s2, v215, 45
	v_readlane_b32 s28, v214, 3
	;; [unrolled: 1-line block ×3, first 2 shown]
	s_waitcnt lgkmcnt(1)
	v_cvt_f32_f16_e32 v10, v6
	v_cvt_f32_f16_sdwa v11, v6 dst_sel:DWORD dst_unused:UNUSED_PAD src0_sel:WORD_1
	v_cvt_f32_f16_e32 v6, v7
	v_cvt_f32_f16_sdwa v7, v7 dst_sel:DWORD dst_unused:UNUSED_PAD src0_sel:WORD_1
	v_mul_lo_u32 v2, v2, s2
	v_ashrrev_i32_e32 v3, 31, v2
	v_pk_fma_f32 v[10:11], v[4:5], v[10:11], 0 op_sel_hi:[0,1,0]
	v_lshl_add_u64 v[2:3], v[2:3], 0, v[36:37]
	s_waitcnt lgkmcnt(0)
	v_pk_fma_f32 v[6:7], v[8:9], v[6:7], v[10:11] op_sel_hi:[0,1,1]
	v_lshl_add_u64 v[2:3], v[2:3], 3, s[28:29]
	v_div_scale_f32 v1, s[28:29], v5, v5, v7
	v_rcp_f32_e32 v4, v1
	s_nop 0
	v_fma_f32 v8, -v1, v4, 1.0
	v_fmac_f32_e32 v4, v8, v4
	v_div_scale_f32 v8, vcc, v7, v5, v7
	v_mul_f32_e32 v9, v8, v4
	v_fma_f32 v10, -v1, v9, v8
	v_fmac_f32_e32 v9, v10, v4
	v_fma_f32 v1, -v1, v9, v8
	v_div_fmas_f32 v1, v1, v4, v9
	v_div_fixup_f32 v7, v1, v5, v7
	v_div_scale_f32 v1, s[28:29], v5, v5, v6
	v_rcp_f32_e32 v4, v1
	s_nop 0
	v_fma_f32 v8, -v1, v4, 1.0
	v_fmac_f32_e32 v4, v8, v4
	v_div_scale_f32 v8, vcc, v6, v5, v6
	v_mul_f32_e32 v9, v8, v4
	v_fma_f32 v10, -v1, v9, v8
	v_fmac_f32_e32 v9, v10, v4
	v_fma_f32 v1, -v1, v9, v8
	v_div_fmas_f32 v1, v1, v4, v9
	v_div_fixup_f32 v6, v1, v5, v6
	v_mov_b32_e32 v1, 0
	global_store_dwordx2 v[2:3], v[6:7], off offset:256
.LBB14_243:                             ;   in Loop: Header=BB14_14 Depth=1
	s_or_b64 exec, exec, s[34:35]
	v_cmp_gt_i32_e32 vcc, s53, v1
	s_mov_b64 s[34:35], -1
	s_and_saveexec_b64 s[36:37], vcc
; %bb.244:                              ;   in Loop: Header=BB14_14 Depth=1
	v_cmp_eq_u32_e32 vcc, 0, v1
	s_orn2_b64 s[34:35], vcc, exec
; %bb.245:                              ;   in Loop: Header=BB14_14 Depth=1
	s_or_b64 exec, exec, s[36:37]
	s_and_b64 exec, exec, s[34:35]
	s_cbranch_execz .LBB14_12
; %bb.246:                              ;   in Loop: Header=BB14_14 Depth=1
	v_add_u32_e32 v2, s52, v135
	v_cmp_gt_i32_e32 vcc, s72, v2
	v_mov_b32_e32 v1, 0x47
	s_and_saveexec_b64 s[34:35], vcc
	s_cbranch_execz .LBB14_248
; %bb.247:                              ;   in Loop: Header=BB14_14 Depth=1
	v_add_u32_e32 v3, v163, v158
	v_add_u32_e32 v1, 0, v158
	;; [unrolled: 1-line block ×3, first 2 shown]
	ds_read2_b32 v[4:5], v1 offset0:48 offset1:49
	ds_read2st64_b32 v[6:7], v3 offset1:13
	ds_read_b32 v8, v1 offset:3520
	v_readlane_b32 s2, v215, 45
	v_readlane_b32 s28, v214, 3
	;; [unrolled: 1-line block ×3, first 2 shown]
	s_waitcnt lgkmcnt(1)
	v_cvt_f32_f16_e32 v10, v6
	v_cvt_f32_f16_sdwa v11, v6 dst_sel:DWORD dst_unused:UNUSED_PAD src0_sel:WORD_1
	v_cvt_f32_f16_e32 v6, v7
	v_cvt_f32_f16_sdwa v7, v7 dst_sel:DWORD dst_unused:UNUSED_PAD src0_sel:WORD_1
	v_mul_lo_u32 v2, v2, s2
	v_ashrrev_i32_e32 v3, 31, v2
	v_pk_fma_f32 v[10:11], v[4:5], v[10:11], 0 op_sel_hi:[0,1,0]
	v_lshl_add_u64 v[2:3], v[2:3], 0, v[36:37]
	s_waitcnt lgkmcnt(0)
	v_pk_fma_f32 v[6:7], v[8:9], v[6:7], v[10:11] op_sel_hi:[0,1,1]
	v_lshl_add_u64 v[2:3], v[2:3], 3, s[28:29]
	v_div_scale_f32 v1, s[28:29], v5, v5, v7
	v_rcp_f32_e32 v4, v1
	s_nop 0
	v_fma_f32 v8, -v1, v4, 1.0
	v_fmac_f32_e32 v4, v8, v4
	v_div_scale_f32 v8, vcc, v7, v5, v7
	v_mul_f32_e32 v9, v8, v4
	v_fma_f32 v10, -v1, v9, v8
	v_fmac_f32_e32 v9, v10, v4
	v_fma_f32 v1, -v1, v9, v8
	v_div_fmas_f32 v1, v1, v4, v9
	v_div_fixup_f32 v7, v1, v5, v7
	v_div_scale_f32 v1, s[28:29], v5, v5, v6
	v_rcp_f32_e32 v4, v1
	s_nop 0
	v_fma_f32 v8, -v1, v4, 1.0
	v_fmac_f32_e32 v4, v8, v4
	v_div_scale_f32 v8, vcc, v6, v5, v6
	v_mul_f32_e32 v9, v8, v4
	v_fma_f32 v10, -v1, v9, v8
	v_fmac_f32_e32 v9, v10, v4
	v_fma_f32 v1, -v1, v9, v8
	v_div_fmas_f32 v1, v1, v4, v9
	v_div_fixup_f32 v6, v1, v5, v6
	v_mov_b32_e32 v1, 0
	global_store_dwordx2 v[2:3], v[6:7], off offset:256
.LBB14_248:                             ;   in Loop: Header=BB14_14 Depth=1
	s_or_b64 exec, exec, s[34:35]
	v_cmp_gt_i32_e32 vcc, s53, v1
	s_mov_b64 s[34:35], -1
	s_and_saveexec_b64 s[36:37], vcc
; %bb.249:                              ;   in Loop: Header=BB14_14 Depth=1
	v_cmp_eq_u32_e32 vcc, 0, v1
	s_orn2_b64 s[34:35], vcc, exec
; %bb.250:                              ;   in Loop: Header=BB14_14 Depth=1
	s_or_b64 exec, exec, s[36:37]
	s_and_b64 exec, exec, s[34:35]
	s_cbranch_execz .LBB14_12
; %bb.251:                              ;   in Loop: Header=BB14_14 Depth=1
	v_add_u32_e32 v1, s52, v136
	v_cmp_gt_i32_e32 vcc, s72, v1
	s_and_b64 exec, exec, vcc
	s_cbranch_execz .LBB14_12
; %bb.252:                              ;   in Loop: Header=BB14_14 Depth=1
	v_readlane_b32 s2, v215, 45
	v_add_u32_e32 v3, v163, v159
	v_add_u32_e32 v3, 0x80, v3
	v_mul_lo_u32 v2, v1, s2
	v_add_u32_e32 v1, 0, v159
	ds_read2_b32 v[4:5], v1 offset0:48 offset1:49
	ds_read2st64_b32 v[6:7], v3 offset1:13
	ds_read_b32 v8, v1 offset:3520
	v_ashrrev_i32_e32 v3, 31, v2
	v_readlane_b32 s28, v214, 3
	v_lshl_add_u64 v[2:3], v[2:3], 0, v[36:37]
	s_waitcnt lgkmcnt(1)
	v_cvt_f32_f16_e32 v10, v6
	v_cvt_f32_f16_sdwa v11, v6 dst_sel:DWORD dst_unused:UNUSED_PAD src0_sel:WORD_1
	v_cvt_f32_f16_e32 v6, v7
	v_cvt_f32_f16_sdwa v7, v7 dst_sel:DWORD dst_unused:UNUSED_PAD src0_sel:WORD_1
	v_readlane_b32 s29, v214, 4
	v_pk_fma_f32 v[10:11], v[4:5], v[10:11], 0 op_sel_hi:[0,1,0]
	s_waitcnt lgkmcnt(0)
	v_pk_fma_f32 v[6:7], v[8:9], v[6:7], v[10:11] op_sel_hi:[0,1,1]
	v_lshl_add_u64 v[2:3], v[2:3], 3, s[28:29]
	v_div_scale_f32 v1, s[28:29], v5, v5, v7
	v_rcp_f32_e32 v4, v1
	s_nop 0
	v_fma_f32 v8, -v1, v4, 1.0
	v_fmac_f32_e32 v4, v8, v4
	v_div_scale_f32 v8, vcc, v7, v5, v7
	v_mul_f32_e32 v9, v8, v4
	v_fma_f32 v10, -v1, v9, v8
	v_fmac_f32_e32 v9, v10, v4
	v_fma_f32 v1, -v1, v9, v8
	v_div_fmas_f32 v1, v1, v4, v9
	v_div_fixup_f32 v7, v1, v5, v7
	v_div_scale_f32 v1, s[28:29], v5, v5, v6
	v_rcp_f32_e32 v4, v1
	s_nop 0
	v_fma_f32 v8, -v1, v4, 1.0
	v_fmac_f32_e32 v4, v8, v4
	v_div_scale_f32 v8, vcc, v6, v5, v6
	v_mul_f32_e32 v9, v8, v4
	v_fma_f32 v10, -v1, v9, v8
	v_fmac_f32_e32 v9, v10, v4
	v_fma_f32 v1, -v1, v9, v8
	v_div_fmas_f32 v1, v1, v4, v9
	v_div_fixup_f32 v6, v1, v5, v6
	global_store_dwordx2 v[2:3], v[6:7], off offset:256
	s_branch .LBB14_12
.LBB14_253:
	v_readlane_b32 s12, v215, 30
	v_readlane_b32 s52, v215, 24
	;; [unrolled: 1-line block ×10, first 2 shown]
	s_andn2_b64 vcc, exec, s[28:29]
	s_cbranch_vccnz .LBB14_10
.LBB14_254:
	v_readlane_b32 s7, v215, 7
	s_abs_i32 s0, s7
	v_cvt_f32_u32_e32 v1, s0
	s_sub_i32 s3, 0, s0
	s_abs_i32 s2, s96
	s_xor_b32 s1, s96, s7
	v_rcp_iflag_f32_e32 v1, v1
	s_ashr_i32 s1, s1, 31
	v_readlane_b32 s8, v215, 6
	v_readlane_b32 s9, v215, 3
	v_mul_f32_e32 v1, 0x4f7ffffe, v1
	v_cvt_u32_f32_e32 v1, v1
	s_nop 0
	v_readfirstlane_b32 s4, v1
	s_mul_i32 s3, s3, s4
	s_mul_hi_u32 s3, s4, s3
	s_add_i32 s4, s4, s3
	s_mul_hi_u32 s3, s2, s4
	s_mul_i32 s4, s3, s0
	s_sub_i32 s2, s2, s4
	s_add_i32 s5, s3, 1
	s_sub_i32 s4, s2, s0
	s_cmp_ge_u32 s2, s0
	s_cselect_b32 s3, s5, s3
	s_cselect_b32 s2, s4, s2
	s_add_i32 s4, s3, 1
	s_cmp_ge_u32 s2, s0
	s_cselect_b32 s0, s4, s3
	s_abs_i32 s2, s8
	v_cvt_f32_u32_e32 v1, s2
	s_xor_b32 s0, s0, s1
	s_sub_i32 s3, 0, s2
	s_sub_i32 s6, s0, s1
	v_rcp_iflag_f32_e32 v1, v1
	s_mul_i32 s0, s6, s7
	s_sub_i32 s0, s96, s0
	s_abs_i32 s4, s0
	v_mul_f32_e32 v1, 0x4f7ffffe, v1
	v_cvt_u32_f32_e32 v1, v1
	s_xor_b32 s1, s0, s8
	s_ashr_i32 s1, s1, 31
	v_readfirstlane_b32 s5, v1
	s_mul_i32 s3, s3, s5
	s_mul_hi_u32 s3, s5, s3
	s_add_i32 s5, s5, s3
	s_mul_hi_u32 s3, s4, s5
	s_mul_i32 s5, s3, s2
	s_sub_i32 s4, s4, s5
	s_add_i32 s7, s3, 1
	s_sub_i32 s5, s4, s2
	s_cmp_ge_u32 s4, s2
	s_cselect_b32 s3, s7, s3
	s_cselect_b32 s4, s5, s4
	s_add_i32 s5, s3, 1
	s_cmp_ge_u32 s4, s2
	s_cselect_b32 s2, s5, s3
	s_abs_i32 s3, s9
	v_cvt_f32_u32_e32 v1, s3
	s_xor_b32 s2, s2, s1
	s_sub_i32 s4, 0, s3
	s_sub_i32 s7, s2, s1
	v_rcp_iflag_f32_e32 v1, v1
	s_mul_i32 s1, s7, s8
	s_sub_i32 s1, s0, s1
	s_abs_i32 s2, s1
	v_mul_f32_e32 v1, 0x4f7ffffe, v1
	v_cvt_u32_f32_e32 v1, v1
	s_xor_b32 s0, s1, s9
	s_ashr_i32 s0, s0, 31
	v_readfirstlane_b32 s5, v1
	s_mul_i32 s4, s4, s5
	s_mul_hi_u32 s4, s5, s4
	s_add_i32 s5, s5, s4
	s_mul_hi_u32 s4, s2, s5
	s_mul_i32 s5, s4, s3
	s_sub_i32 s2, s2, s5
	s_add_i32 s8, s4, 1
	s_sub_i32 s5, s2, s3
	s_cmp_ge_u32 s2, s3
	s_cselect_b32 s4, s8, s4
	s_cselect_b32 s2, s5, s2
	s_add_i32 s5, s4, 1
	s_cmp_ge_u32 s2, s3
	s_cselect_b32 s2, s5, s4
	s_xor_b32 s2, s2, s0
	s_sub_i32 s0, s2, s0
	s_mul_i32 s2, s0, s9
	s_sub_i32 s1, s1, s2
	s_abs_i32 s10, s1
	s_ashr_i32 s8, s6, 31
	s_mul_hi_u32 s9, s10, s43
	s_cmp_eq_u64 s[62:63], 0
	s_mov_b64 s[2:3], 0
	s_cbranch_scc1 .LBB14_256
; %bb.255:
	s_abs_i32 s2, s16
	v_cvt_f32_u32_e32 v1, s2
	s_sub_i32 s4, 0, s2
	s_abs_i32 s3, s6
	v_readlane_b32 s16, v215, 15
	v_rcp_iflag_f32_e32 v1, v1
	v_readlane_b32 s17, v215, 16
	v_mul_f32_e32 v1, 0x4f7ffffe, v1
	v_cvt_u32_f32_e32 v1, v1
	s_nop 0
	v_readfirstlane_b32 s5, v1
	s_mul_i32 s4, s4, s5
	s_mul_hi_u32 s4, s5, s4
	s_add_i32 s5, s5, s4
	s_mul_hi_u32 s4, s3, s5
	s_mul_i32 s4, s4, s2
	s_sub_i32 s3, s3, s4
	s_sub_i32 s4, s3, s2
	s_cmp_ge_u32 s3, s2
	s_cselect_b32 s3, s4, s3
	s_sub_i32 s4, s3, s2
	s_cmp_ge_u32 s3, s2
	s_cselect_b32 s2, s4, s3
	s_xor_b32 s2, s2, s8
	s_sub_i32 s2, s2, s8
	s_ashr_i32 s3, s2, 31
	s_mul_hi_u32 s4, s16, s2
	s_mul_i32 s3, s16, s3
	s_mul_i32 s5, s17, s2
	s_add_i32 s3, s4, s3
	s_add_i32 s3, s3, s5
	s_mul_i32 s2, s16, s2
	s_add_u32 s2, s62, s2
	s_addc_u32 s3, s63, s3
.LBB14_256:
	s_ashr_i32 s12, s1, 31
	v_readlane_b32 s1, v215, 2
	s_mul_i32 s11, s7, s1
	s_add_i32 s11, s11, s0
	v_cmp_le_f32_e64 s[0:1], s13, 0
	s_and_b64 vcc, exec, s[0:1]
	v_mov_b32_e32 v22, 1.0
	s_cbranch_vccnz .LBB14_258
; %bb.257:
	v_readlane_b32 s0, v215, 12
	v_mov_b32_e32 v2, s15
	v_mov_b32_e32 v3, s14
	;; [unrolled: 1-line block ×3, first 2 shown]
	v_sub_co_u32_e32 v1, vcc, s11, v1
	s_add_i32 s0, s11, 1
	v_lshlrev_b32_e32 v1, 1, v1
	v_cndmask_b32_e32 v2, v2, v3, vcc
	v_or_b32_e32 v1, 1, v1
	v_mov_b32_e32 v3, s0
	v_cndmask_b32_e32 v1, v1, v3, vcc
	v_cvt_f32_i32_e32 v1, v1
	v_cmp_neq_f32_e32 vcc, 1.0, v2
	s_mov_b32 s0, 0x3f2aaaab
	s_movk_i32 s4, 0x204
	v_cndmask_b32_e32 v1, 1.0, v1, vcc
	v_cmp_neq_f32_e32 vcc, 0, v1
	s_mov_b32 s1, 0x42b17218
	s_mov_b32 s5, 0x3fb8aa3b
	v_cndmask_b32_e32 v18, 1.0, v2, vcc
	v_frexp_mant_f32_e64 v2, |v18|
	v_cmp_gt_f32_e32 vcc, s0, v2
	s_mov_b32 s0, 0x3f317218
	s_brev_b32 s13, -2
	v_cndmask_b32_e64 v3, 1.0, 2.0, vcc
	v_mul_f32_e32 v2, v2, v3
	v_add_f32_e32 v5, 1.0, v2
	v_rcp_f32_e32 v10, v5
	v_add_f32_e32 v3, -1.0, v5
	v_sub_f32_e32 v7, v2, v3
	v_add_f32_e32 v3, -1.0, v2
	v_mul_f32_e32 v11, v3, v10
	v_mul_f32_e32 v4, v5, v11
	v_fma_f32 v6, v11, v5, -v4
	v_fmac_f32_e32 v6, v11, v7
	v_add_f32_e32 v2, v4, v6
	v_sub_f32_e32 v5, v3, v2
	v_pk_add_f32 v[8:9], v[2:3], v[4:5] neg_lo:[0,1] neg_hi:[0,1]
	v_mov_b32_e32 v7, v2
	v_pk_add_f32 v[2:3], v[8:9], v[6:7] neg_lo:[0,1] neg_hi:[0,1]
	v_mov_b32_e32 v6, 0x3e91f4c4
	v_add_f32_e32 v2, v2, v3
	v_add_f32_e32 v2, v5, v2
	v_mul_f32_e32 v3, v10, v2
	v_add_f32_e32 v2, v11, v3
	v_sub_f32_e32 v4, v2, v11
	v_sub_f32_e32 v12, v3, v4
	v_mul_f32_e32 v3, v2, v2
	v_fma_f32 v5, v2, v2, -v3
	v_add_f32_e32 v4, v12, v12
	v_fmac_f32_e32 v5, v2, v4
	v_add_f32_e32 v4, v3, v5
	v_fmac_f32_e32 v6, 0x3e76c4e1, v4
	v_fmaak_f32 v6, v4, v6, 0x3ecccdef
	v_sub_f32_e32 v3, v4, v3
	v_sub_f32_e32 v13, v5, v3
	v_mul_f32_e32 v3, v4, v6
	v_fma_f32 v5, v4, v6, -v3
	v_fmac_f32_e32 v5, v13, v6
	v_add_f32_e32 v6, v3, v5
	v_add_f32_e32 v7, 0x3f2aaaaa, v6
	v_sub_f32_e32 v3, v6, v3
	v_sub_f32_e32 v3, v5, v3
	v_add_f32_e32 v5, 0xbf2aaaaa, v7
	v_add_f32_e32 v3, 0x31739010, v3
	v_sub_f32_e32 v5, v6, v5
	v_pk_mul_f32 v[8:9], v[2:3], v[4:5]
	v_pk_add_f32 v[10:11], v[2:3], v[4:5]
	v_fma_f32 v6, v4, v2, -v8
	v_fmac_f32_e32 v6, v4, v12
	v_mov_b32_e32 v9, v11
	v_fmac_f32_e32 v6, v13, v2
	v_pk_add_f32 v[4:5], v[8:9], v[6:7]
	v_ldexp_f32 v14, v12, 1
	v_sub_f32_e32 v3, v4, v8
	v_sub_f32_e32 v3, v6, v3
	;; [unrolled: 1-line block ×3, first 2 shown]
	v_add_f32_e32 v9, v11, v6
	v_pk_mul_f32 v[6:7], v[4:5], v[4:5] op_sel:[0,1] op_sel_hi:[1,0]
	v_cvt_f64_f32_e64 v[10:11], |v18|
	v_frexp_exp_i32_f64_e32 v7, v[10:11]
	v_subbrev_co_u32_e32 v7, vcc, 0, v7, vcc
	v_cvt_f32_i32_e32 v7, v7
	v_fma_f32 v8, v4, v5, -v6
	v_fmac_f32_e32 v8, v4, v9
	v_fmac_f32_e32 v8, v3, v5
	v_mul_f32_e32 v4, 0x3f317218, v7
	v_fma_f32 v3, v7, s0, -v4
	v_fmamk_f32 v10, v7, 0xb102e308, v3
	v_ldexp_f32 v11, v2, 1
	v_add_f32_e32 v5, v6, v8
	v_pk_add_f32 v[2:3], v[4:5], v[10:11]
	v_mov_b32_e32 v12, v5
	v_mov_b32_e32 v13, v3
	;; [unrolled: 1-line block ×3, first 2 shown]
	v_pk_add_f32 v[6:7], v[12:13], v[6:7] neg_lo:[0,1] neg_hi:[0,1]
	v_mov_b32_e32 v9, v5
	v_pk_add_f32 v[6:7], v[8:9], v[6:7] neg_lo:[0,1] neg_hi:[0,1]
	v_mov_b32_e32 v11, v2
	v_add_f32_e32 v5, v14, v6
	v_add_f32_e32 v5, v5, v7
	v_pk_add_f32 v[6:7], v[2:3], v[4:5] neg_lo:[0,1] neg_hi:[0,1]
	v_pk_add_f32 v[8:9], v[2:3], v[4:5]
	v_mov_b32_e32 v16, v3
	v_mov_b32_e32 v7, v9
	v_pk_add_f32 v[12:13], v[10:11], v[6:7] neg_lo:[0,1] neg_hi:[0,1]
	v_pk_add_f32 v[6:7], v[10:11], v[6:7]
	v_mov_b32_e32 v4, v5
	v_pk_add_f32 v[10:11], v[6:7], v[2:3] op_sel:[1,0] op_sel_hi:[0,1] neg_lo:[0,1] neg_hi:[0,1]
	v_pk_add_f32 v[14:15], v[8:9], v[10:11] op_sel_hi:[1,0] neg_lo:[0,1] neg_hi:[0,1]
	v_mov_b32_e32 v8, v9
	v_mov_b32_e32 v9, v7
	;; [unrolled: 1-line block ×3, first 2 shown]
	v_pk_add_f32 v[8:9], v[8:9], v[16:17] neg_lo:[0,1] neg_hi:[0,1]
	v_mov_b32_e32 v5, v2
	v_pk_add_f32 v[2:3], v[4:5], v[8:9] neg_lo:[0,1] neg_hi:[0,1]
	v_mov_b32_e32 v14, v12
	v_pk_add_f32 v[4:5], v[14:15], v[2:3]
	v_mov_b32_e32 v13, v7
	v_pk_add_f32 v[8:9], v[4:5], v[4:5] op_sel:[0,1] op_sel_hi:[1,0]
	s_mov_b32 s0, 0x7f800000
	v_pk_add_f32 v[6:7], v[6:7], v[8:9] op_sel:[1,0] op_sel_hi:[0,1]
	v_mov_b32_e32 v5, v6
	v_pk_add_f32 v[10:11], v[4:5], v[12:13] neg_lo:[0,1] neg_hi:[0,1]
	v_mov_b32_e32 v3, v8
	v_sub_f32_e32 v4, v4, v10
	v_pk_add_f32 v[2:3], v[2:3], v[10:11] neg_lo:[0,1] neg_hi:[0,1]
	v_sub_f32_e32 v4, v12, v4
	v_add_f32_e32 v2, v2, v4
	v_add_f32_e32 v2, v2, v3
	;; [unrolled: 1-line block ×3, first 2 shown]
	v_sub_f32_e32 v4, v3, v6
	v_sub_f32_e32 v2, v2, v4
	v_mul_f32_e32 v4, v1, v3
	v_fma_f32 v3, v1, v3, -v4
	v_fmac_f32_e32 v3, v1, v2
	v_add_f32_e32 v2, v4, v3
	v_cmp_class_f32_e64 vcc, v4, s4
	v_sub_f32_e32 v5, v2, v4
	v_sub_f32_e32 v3, v3, v5
	v_cndmask_b32_e32 v2, v2, v4, vcc
	v_mov_b32_e32 v4, 0x37000000
	v_cmp_eq_f32_e32 vcc, s1, v2
	v_cmp_class_f32_e64 s[14:15], v18, s4
	s_nop 0
	v_cndmask_b32_e32 v4, 0, v4, vcc
	v_sub_f32_e32 v5, v2, v4
	v_mul_f32_e32 v6, 0x3fb8aa3b, v5
	v_fma_f32 v7, v5, s5, -v6
	v_rndne_f32_e32 v8, v6
	v_fmamk_f32 v7, v5, 0x32a5705f, v7
	v_sub_f32_e32 v6, v6, v8
	v_add_f32_e32 v6, v6, v7
	v_exp_f32_e32 v6, v6
	v_cvt_i32_f32_e32 v7, v8
	v_cmp_neq_f32_e64 vcc, |v2|, s0
	s_mov_b32 s0, 0xc2ce8ed0
	s_nop 0
	v_cndmask_b32_e32 v2, 0, v3, vcc
	v_ldexp_f32 v3, v6, v7
	v_cmp_ngt_f32_e32 vcc, s0, v5
	v_add_f32_e32 v2, v4, v2
	v_mov_b32_e32 v4, 0x7f800000
	v_cndmask_b32_e32 v3, 0, v3, vcc
	v_cmp_nlt_f32_e32 vcc, s1, v5
	v_mov_b32_e32 v5, 0x7fc00000
	s_nop 0
	v_cndmask_b32_e32 v3, v4, v3, vcc
	v_fma_f32 v2, v3, v2, v3
	v_cmp_class_f32_e64 vcc, v3, s4
	v_cmp_gt_f32_e64 s[4:5], 0, v1
	s_nop 0
	v_cndmask_b32_e32 v2, v2, v3, vcc
	v_trunc_f32_e32 v3, v1
	v_cmp_eq_f32_e32 vcc, v3, v1
	v_mul_f32_e32 v3, 0.5, v1
	v_trunc_f32_e32 v6, v3
	v_cmp_neq_f32_e64 s[0:1], v6, v3
	s_and_b64 s[0:1], vcc, s[0:1]
	s_nop 0
	v_cndmask_b32_e64 v3, 1.0, v18, s[0:1]
	v_bfi_b32 v2, s13, v2, v3
	v_cndmask_b32_e32 v3, v5, v2, vcc
	v_cmp_gt_f32_e32 vcc, 0, v18
	s_nop 1
	v_cndmask_b32_e32 v2, v2, v3, vcc
	v_cmp_eq_f32_e32 vcc, 0, v18
	s_xor_b64 s[4:5], s[4:5], vcc
	v_cndmask_b32_e64 v1, v4, 0, s[4:5]
	v_cndmask_b32_e64 v3, 0, v18, s[0:1]
	v_bfi_b32 v1, s13, v1, v3
	s_or_b64 vcc, vcc, s[14:15]
	v_cndmask_b32_e32 v1, v2, v1, vcc
	v_cmp_o_f32_e32 vcc, v18, v18
	s_nop 1
	v_cndmask_b32_e32 v22, v5, v1, vcc
.LBB14_258:
	s_mul_i32 s1, s9, s33
	v_readlane_b32 s0, v215, 23
	s_sub_i32 s1, s10, s1
	s_xor_b32 s0, s12, s0
	s_add_i32 s4, s9, 1
	s_sub_i32 s5, s1, s33
	s_cmp_ge_u32 s1, s33
	s_cselect_b32 s4, s4, s9
	s_cselect_b32 s1, s5, s1
	s_add_i32 s5, s4, 1
	s_cmp_ge_u32 s1, s33
	s_cselect_b32 s1, s5, s4
	s_xor_b32 s1, s1, s0
	s_sub_i32 s4, s1, s0
	s_cmp_eq_u64 s[66:67], 0
	v_mov_b32_e32 v12, s88
	s_cbranch_scc1 .LBB14_260
; %bb.259:
	v_readlane_b32 s0, v215, 0
	s_mul_i32 s0, s6, s0
	s_add_i32 s0, s4, s0
	s_ashr_i32 s1, s0, 31
	s_lshl_b64 s[0:1], s[0:1], 2
	s_add_u32 s0, s66, s0
	s_addc_u32 s1, s67, s1
	v_mov_b32_e32 v1, 0
	global_load_dword v1, v1, s[0:1]
	s_waitcnt vmcnt(0)
	v_ashrrev_i32_e32 v2, 31, v1
	v_lshrrev_b32_e32 v2, 26, v2
	v_add_u32_e32 v1, v1, v2
	v_ashrrev_i32_e32 v1, 6, v1
	v_min_i32_e32 v12, s88, v1
.LBB14_260:
	v_readlane_b32 s12, v215, 8
	v_readlane_b32 s13, v215, 9
	s_mul_i32 s0, s6, s13
	s_ashr_i32 s1, s0, 31
	s_add_u32 s0, s56, s0
	s_mul_i32 s11, s11, s12
	s_addc_u32 s1, s57, s1
	s_ashr_i32 s5, s11, 31
	s_add_u32 s0, s0, s11
	s_addc_u32 s1, s1, s5
	s_lshl_b32 s41, s4, 5
	v_add_u32_e32 v2, v35, v113
	v_add_u32_e32 v3, s41, v2
	s_mov_b32 s9, 0x10001
	v_lshl_add_u32 v64, v34, 2, 0
	v_cmp_le_i32_e32 vcc, s72, v3
	s_and_saveexec_b64 s[4:5], vcc
	s_xor_b64 s[4:5], exec, s[4:5]
; %bb.261:
	s_movk_i32 s10, 0xd0
	v_mad_u32_u24 v1, v2, s10, v64
	v_mov_b32_e32 v3, 0
	ds_write_b32 v1, v3
                                        ; implicit-def: $vgpr3
; %bb.262:
	s_or_saveexec_b64 s[4:5], s[4:5]
	v_mul_lo_u32 v1, v39, s9
	s_xor_b64 exec, exec, s[4:5]
	s_cbranch_execz .LBB14_264
; %bb.263:
	v_mad_u64_u32 v[4:5], s[10:11], v3, s48, v[34:35]
	v_ashrrev_i32_e32 v5, 31, v4
	v_lshl_add_u64 v[4:5], v[4:5], 3, s[0:1]
	global_load_dwordx2 v[4:5], v[4:5], off
	s_movk_i32 s9, 0xd0
	s_waitcnt vmcnt(0)
	v_cvt_pk_f16_f32 v3, v4, v5
	v_pk_mul_f16 v3, v3, v1
	v_mad_u32_u24 v4, v2, s9, v64
	ds_write_b32 v4, v3
.LBB14_264:
	s_or_b64 exec, exec, s[4:5]
	v_add_u32_e32 v3, 8, v2
	v_add_u32_e32 v4, s41, v3
	v_cmp_le_i32_e32 vcc, s72, v4
	s_and_saveexec_b64 s[4:5], vcc
	s_xor_b64 s[4:5], exec, s[4:5]
; %bb.265:
	s_movk_i32 s9, 0xd0
	v_mad_u32_u24 v3, v3, s9, v64
	v_mov_b32_e32 v4, 0
	ds_write_b32 v3, v4
                                        ; implicit-def: $vgpr4
                                        ; implicit-def: $vgpr3
; %bb.266:
	s_andn2_saveexec_b64 s[4:5], s[4:5]
	s_cbranch_execz .LBB14_268
; %bb.267:
	v_mad_u64_u32 v[4:5], s[10:11], v4, s48, v[34:35]
	v_ashrrev_i32_e32 v5, 31, v4
	v_lshl_add_u64 v[4:5], v[4:5], 3, s[0:1]
	global_load_dwordx2 v[4:5], v[4:5], off
	s_movk_i32 s9, 0xd0
	v_mad_u32_u24 v3, v3, s9, v64
	s_waitcnt vmcnt(0)
	v_cvt_pk_f16_f32 v4, v4, v5
	v_pk_mul_f16 v4, v4, v1
	ds_write_b32 v3, v4
.LBB14_268:
	s_or_b64 exec, exec, s[4:5]
	v_add_u32_e32 v3, 16, v2
	v_add_u32_e32 v4, s41, v3
	v_cmp_le_i32_e32 vcc, s72, v4
	s_and_saveexec_b64 s[4:5], vcc
	s_xor_b64 s[4:5], exec, s[4:5]
; %bb.269:
	s_movk_i32 s9, 0xd0
	v_mad_u32_u24 v3, v3, s9, v64
	v_mov_b32_e32 v4, 0
	ds_write_b32 v3, v4
                                        ; implicit-def: $vgpr4
                                        ; implicit-def: $vgpr3
; %bb.270:
	s_andn2_saveexec_b64 s[4:5], s[4:5]
	s_cbranch_execz .LBB14_272
; %bb.271:
	v_mad_u64_u32 v[4:5], s[10:11], v4, s48, v[34:35]
	v_ashrrev_i32_e32 v5, 31, v4
	v_lshl_add_u64 v[4:5], v[4:5], 3, s[0:1]
	global_load_dwordx2 v[4:5], v[4:5], off
	s_movk_i32 s9, 0xd0
	v_mad_u32_u24 v3, v3, s9, v64
	s_waitcnt vmcnt(0)
	v_cvt_pk_f16_f32 v4, v4, v5
	v_pk_mul_f16 v4, v4, v1
	ds_write_b32 v3, v4
.LBB14_272:
	s_or_b64 exec, exec, s[4:5]
	v_add_u32_e32 v2, 24, v2
	v_add_u32_e32 v3, s41, v2
	v_cmp_le_i32_e32 vcc, s72, v3
	s_and_saveexec_b64 s[4:5], vcc
	s_xor_b64 s[4:5], exec, s[4:5]
; %bb.273:
	s_movk_i32 s9, 0xd0
	v_mad_u32_u24 v2, v2, s9, v64
	v_mov_b32_e32 v3, 0
	ds_write_b32 v2, v3
                                        ; implicit-def: $vgpr3
                                        ; implicit-def: $vgpr2
; %bb.274:
	s_or_saveexec_b64 s[4:5], s[4:5]
	v_and_b32_e32 v67, 0x3ff, v0
	s_xor_b64 exec, exec, s[4:5]
	s_cbranch_execz .LBB14_276
; %bb.275:
	v_mad_u64_u32 v[4:5], s[10:11], v3, s48, v[34:35]
	v_ashrrev_i32_e32 v5, 31, v4
	v_lshl_add_u64 v[4:5], v[4:5], 3, s[0:1]
	global_load_dwordx2 v[4:5], v[4:5], off
	s_movk_i32 s9, 0xd0
	v_mad_u32_u24 v2, v2, s9, v64
	s_waitcnt vmcnt(0)
	v_cvt_pk_f16_f32 v0, v4, v5
	v_pk_mul_f16 v0, v0, v1
	ds_write_b32 v2, v0
.LBB14_276:
	s_or_b64 exec, exec, s[4:5]
	v_lshrrev_b32_e32 v66, 4, v67
	v_lshl_add_u32 v0, v112, 2, v66
	v_add_u32_e32 v2, s41, v0
	v_and_b32_e32 v26, 15, v67
	v_cmp_le_i32_e32 vcc, s72, v2
	s_and_saveexec_b64 s[4:5], vcc
	s_xor_b64 s[4:5], exec, s[4:5]
; %bb.277:
	v_mul_u32_u24_e32 v2, 0xd0, v0
	v_lshlrev_b32_e32 v3, 2, v26
	v_add3_u32 v2, 0, v2, v3
	v_mov_b32_e32 v3, 0
	ds_write_b32 v2, v3 offset:128
                                        ; implicit-def: $vgpr2
; %bb.278:
	s_or_saveexec_b64 s[4:5], s[4:5]
	v_lshl_add_u32 v65, v26, 2, 0
	s_xor_b64 exec, exec, s[4:5]
	s_cbranch_execz .LBB14_280
; %bb.279:
	v_mul_lo_u32 v2, v2, s48
	v_ashrrev_i32_e32 v3, 31, v2
	v_mov_b32_e32 v27, 0
	v_lshl_add_u64 v[2:3], v[2:3], 0, v[26:27]
	v_lshl_add_u64 v[2:3], v[2:3], 3, s[0:1]
	global_load_dwordx2 v[2:3], v[2:3], off offset:256
	s_movk_i32 s9, 0xd0
	s_waitcnt vmcnt(0)
	v_cvt_pk_f16_f32 v2, v2, v3
	v_pk_mul_f16 v2, v2, v1
	v_mad_u32_u24 v3, v0, s9, v65
	ds_write_b32 v3, v2 offset:128
.LBB14_280:
	s_or_b64 exec, exec, s[4:5]
	v_add_u32_e32 v0, 16, v0
	v_add_u32_e32 v2, s41, v0
	v_cmp_le_i32_e32 vcc, s72, v2
	s_and_saveexec_b64 s[4:5], vcc
	s_xor_b64 s[4:5], exec, s[4:5]
; %bb.281:
	v_mul_u32_u24_e32 v0, 0xd0, v0
	v_lshlrev_b32_e32 v1, 2, v26
	v_add3_u32 v0, 0, v0, v1
	v_mov_b32_e32 v1, 0
	ds_write_b32 v0, v1 offset:128
                                        ; implicit-def: $vgpr2
                                        ; implicit-def: $vgpr1
                                        ; implicit-def: $vgpr0
; %bb.282:
	s_andn2_saveexec_b64 s[4:5], s[4:5]
	s_cbranch_execz .LBB14_284
; %bb.283:
	v_mul_lo_u32 v2, v2, s48
	v_ashrrev_i32_e32 v3, 31, v2
	v_mov_b32_e32 v27, 0
	v_lshl_add_u64 v[2:3], v[2:3], 0, v[26:27]
	v_lshl_add_u64 v[2:3], v[2:3], 3, s[0:1]
	global_load_dwordx2 v[2:3], v[2:3], off offset:256
	s_movk_i32 s0, 0xd0
	v_mad_u32_u24 v0, v0, s0, v65
	s_waitcnt vmcnt(0)
	v_cvt_pk_f16_f32 v2, v2, v3
	v_pk_mul_f16 v1, v2, v1
	ds_write_b32 v0, v1 offset:128
.LBB14_284:
	s_or_b64 exec, exec, s[4:5]
	v_readlane_b32 s4, v215, 13
	v_readlane_b32 s5, v215, 14
	s_mul_i32 s0, s4, s8
	s_mul_hi_u32 s1, s4, s6
	s_add_i32 s0, s1, s0
	s_mul_i32 s1, s5, s6
	v_readlane_b32 s12, v215, 19
	s_add_i32 s0, s0, s1
	s_mul_i32 s1, s4, s6
	v_readlane_b32 s15, v215, 22
	s_add_u32 s1, s60, s1
	s_mul_i32 s4, s7, s15
	s_addc_u32 s0, s61, s0
	s_ashr_i32 s5, s4, 31
	s_add_u32 s33, s1, s4
	v_readlane_b32 s13, v215, 20
	s_addc_u32 s40, s0, s5
	s_mul_i32 s0, s12, s8
	s_mul_hi_u32 s1, s12, s6
	s_add_i32 s0, s1, s0
	s_mul_i32 s1, s13, s6
	v_readlane_b32 s4, v215, 17
	s_add_i32 s0, s0, s1
	s_mul_i32 s1, s12, s6
	v_readlane_b32 s5, v215, 18
	s_add_u32 s1, s58, s1
	s_mul_i32 s7, s7, s5
	s_addc_u32 s0, s59, s0
	s_ashr_i32 s4, s7, 31
	s_add_u32 s43, s1, s7
	v_lshrrev_b32_e32 v14, 3, v67
	s_addc_u32 s44, s0, s4
	v_and_b32_e32 v13, 0x1ff0, v115
	s_movk_i32 s4, 0xd0
	v_and_b32_e32 v1, 0x7e, v14
	v_mad_u32_u24 v0, v13, s4, 0
	v_mul_u32_u24_e32 v85, 0xd0, v26
	v_lshlrev_b32_e32 v27, 2, v1
	v_add3_u32 v0, v0, v85, v27
	s_waitcnt lgkmcnt(0)
	s_barrier
	ds_read2_b64 v[8:11], v0 offset1:4
	ds_read2_b64 v[4:7], v0 offset0:8 offset1:12
	ds_read2_b64 v[0:3], v0 offset0:16 offset1:20
	v_add_u32_e32 v88, -1, v12
	v_cmp_ge_i32_e32 vcc, s42, v88
	v_add_u32_e32 v86, v14, v115
	s_mov_b32 s45, 0
	s_and_b64 vcc, exec, vcc
	v_or_b32_e32 v83, v13, v26
	v_lshlrev_b32_e32 v28, 1, v67
	v_and_b32_e32 v74, 8, v115
	v_lshrrev_b32_e32 v84, 2, v67
	v_lshlrev_b32_e32 v87, 2, v67
	v_mul_lo_u32 v24, s74, v86
	v_mul_lo_u32 v20, s54, v86
	v_lshlrev_b32_e32 v76, 1, v14
	v_lshlrev_b32_e32 v75, 1, v26
	v_readlane_b32 s14, v215, 21
	s_waitcnt lgkmcnt(0)
	s_barrier
	s_cbranch_vccnz .LBB14_297
; %bb.285:
	v_mov_b32_e32 v31, 0
	v_mov_b32_e32 v29, v31
	v_mul_u32_u24_e32 v12, 0x90, v112
	v_lshl_add_u64 v[32:33], s[2:3], 0, v[28:29]
	v_add3_u32 v29, 0, v12, v28
	v_add_u32_e32 v12, s41, v112
	v_mul_hi_u32 v13, s86, v12
	v_add_u32_e32 v13, v12, v13
	v_lshrrev_b32_e32 v13, s87, v13
	v_mul_lo_u32 v13, v13, s72
	v_sub_u32_e32 v13, v12, v13
	v_mad_i64_i32 v[36:37], s[6:7], v13, s76, 0
	v_add_u32_e32 v13, 4, v12
	v_mul_hi_u32 v14, s86, v13
	v_add_u32_e32 v14, v13, v14
	v_lshrrev_b32_e32 v14, s87, v14
	v_mul_lo_u32 v14, v14, s72
	v_sub_u32_e32 v13, v13, v14
	v_mad_i64_i32 v[38:39], s[6:7], v13, s76, 0
	v_add_u32_e32 v13, 8, v12
	v_mul_hi_u32 v14, s86, v13
	v_add_u32_e32 v14, v13, v14
	v_lshrrev_b32_e32 v14, s87, v14
	v_mul_lo_u32 v14, v14, s72
	v_sub_u32_e32 v13, v13, v14
	v_mad_i64_i32 v[40:41], s[6:7], v13, s76, 0
	v_add_u32_e32 v13, 12, v12
	v_mul_hi_u32 v14, s86, v13
	v_add_u32_e32 v14, v13, v14
	v_lshrrev_b32_e32 v14, s87, v14
	v_mul_lo_u32 v14, v14, s72
	v_sub_u32_e32 v13, v13, v14
	v_mad_i64_i32 v[42:43], s[6:7], v13, s76, 0
	v_add_u32_e32 v13, 16, v12
	v_mul_hi_u32 v14, s86, v13
	v_add_u32_e32 v14, v13, v14
	v_lshrrev_b32_e32 v14, s87, v14
	v_mul_lo_u32 v14, v14, s72
	v_sub_u32_e32 v13, v13, v14
	v_mad_i64_i32 v[44:45], s[6:7], v13, s76, 0
	v_add_u32_e32 v13, 20, v12
	v_mul_hi_u32 v14, s86, v13
	v_add_u32_e32 v14, v13, v14
	v_lshrrev_b32_e32 v14, s87, v14
	v_mul_lo_u32 v14, v14, s72
	v_sub_u32_e32 v13, v13, v14
	v_mad_i64_i32 v[46:47], s[6:7], v13, s76, 0
	v_add_u32_e32 v13, 24, v12
	v_mul_hi_u32 v14, s86, v13
	v_add_u32_e32 v14, v13, v14
	v_lshrrev_b32_e32 v14, s87, v14
	v_mul_lo_u32 v14, v14, s72
	v_sub_u32_e32 v13, v13, v14
	v_add_u32_e32 v12, 28, v12
	v_mad_i64_i32 v[48:49], s[6:7], v13, s76, 0
	v_mul_hi_u32 v13, s86, v12
	v_add_u32_e32 v13, v12, v13
	v_lshrrev_b32_e32 v13, s87, v13
	v_mul_lo_u32 v13, v13, s72
	v_sub_u32_e32 v12, v12, v13
	v_mad_i64_i32 v[50:51], s[6:7], v12, s76, 0
	v_mbcnt_hi_u32_b32 v12, -1, v116
	v_and_b32_e32 v14, 64, v12
	v_add_u32_e32 v14, 64, v14
	v_xor_b32_e32 v16, 32, v12
	v_cmp_lt_i32_e32 vcc, v16, v14
	v_add_u32_e32 v17, v84, v114
	s_movk_i32 s8, 0x90
	v_cndmask_b32_e32 v16, v12, v16, vcc
	v_lshlrev_b32_e32 v96, 2, v16
	v_xor_b32_e32 v16, 16, v12
	v_cmp_lt_i32_e32 vcc, v16, v14
	v_mad_u32_u24 v14, v17, s4, 0
	s_movk_i32 s4, 0x80
	v_cndmask_b32_e32 v12, v12, v16, vcc
	v_lshlrev_b32_e32 v97, 2, v12
	v_and_b32_e32 v12, 12, v87
	v_lshlrev_b32_e32 v18, 2, v12
	v_add3_u32 v98, v14, v18, s4
	v_and_b32_e32 v14, 28, v87
	v_mul_u32_u24_e32 v18, 0xd0, v86
	v_lshlrev_b32_e32 v19, 2, v14
	v_and_b32_e32 v13, 16, v114
	v_add3_u32 v99, 0, v18, v19
	v_and_b32_e32 v19, 0xfc, v84
	v_mul_u32_u24_e32 v15, 0xd0, v13
	v_add_u32_e32 v21, v19, v13
	v_mad_u32_u24 v23, v83, s8, 0
	v_add_u16_e32 v13, v19, v13
	v_lshrrev_b16_e32 v13, 1, v13
	v_lshl_add_u32 v19, v21, 1, v23
	s_movk_i32 s5, 0x1a0
	v_cmp_gt_u32_e64 s[26:27], 64, v17
	v_mul_lo_u32 v52, s74, v17
	v_lshl_add_u32 v13, v13, 2, v23
	v_add_u32_e32 v101, 64, v19
	v_add_u32_e32 v102, 0x44, v19
	v_mul_lo_u32 v56, s54, v17
	v_and_b32_e32 v17, 0xfc, v76
	v_or_b32_e32 v19, 2, v76
	v_or_b32_e32 v23, 3, v76
	s_mov_b64 s[28:29], src_private_base
	s_cmp_lg_u64 s[2:3], 0
	v_mad_u32_u24 v16, v74, s5, 0
	v_lshl_add_u32 v54, s74, 5, v24
	v_add3_u32 v18, 0, v85, v27
	v_lshl_add_u32 v58, s54, 5, v20
	v_mul_u32_u24_e32 v17, 0xd0, v17
	v_mul_u32_u24_e32 v19, 0xd0, v19
	;; [unrolled: 1-line block ×3, first 2 shown]
	s_cselect_b64 s[30:31], -1, 0
	v_cmp_lt_u32_e64 s[0:1], 63, v67
	v_add_u32_e32 v89, 0x240, v29
	v_add_u32_e32 v90, 0x480, v29
	;; [unrolled: 1-line block ×7, first 2 shown]
	v_ashrrev_i32_e32 v53, 31, v52
	v_cmp_gt_u32_e64 s[4:5], 64, v86
	v_ashrrev_i32_e32 v25, 31, v24
	v_add_u32_e32 v100, 0x1a00, v99
	v_cmp_gt_u32_e64 s[6:7], 32, v86
	v_ashrrev_i32_e32 v55, 31, v54
	v_cmp_gt_u32_e64 s[8:9], 64, v21
	v_cmp_gt_u32_e64 s[10:11], 63, v21
	;; [unrolled: 1-line block ×8, first 2 shown]
	v_ashrrev_i32_e32 v57, 31, v56
	v_ashrrev_i32_e32 v21, 31, v20
	;; [unrolled: 1-line block ×3, first 2 shown]
	v_add3_u32 v103, v16, v17, v75
	v_add3_u32 v104, v16, v19, v75
	;; [unrolled: 1-line block ×3, first 2 shown]
	v_mov_b32_e32 v60, v22
	v_mov_b32_e32 v61, v22
	s_lshl_b32 s34, s42, 6
	v_mov_b32_e32 v111, 0xfeffffff
	v_lshlrev_b32_e32 v30, 2, v12
	s_mov_b64 s[36:37], 0x80
	v_lshlrev_b32_e32 v62, 2, v14
	v_add_u32_e32 v106, v18, v15
	v_add_u32_e32 v107, 0x3400, v13
	s_mov_b32 s28, 0x3fb8aa3b
	s_mov_b32 s46, 0xc2ce8ed0
	;; [unrolled: 1-line block ×5, first 2 shown]
	v_mov_b32_e32 v108, 0
	v_mov_b32_e32 v118, v31
	;; [unrolled: 1-line block ×19, first 2 shown]
.LBB14_286:                             ; =>This Inner Loop Header: Depth=1
	v_cndmask_b32_e64 v12, 0, 1, s[30:31]
	v_cmp_ne_u32_e64 s[24:25], 1, v12
	s_andn2_b64 vcc, exec, s[30:31]
	s_ashr_i32 s35, s34, 31
	s_cbranch_vccnz .LBB14_292
; %bb.287:                              ;   in Loop: Header=BB14_286 Depth=1
	s_and_saveexec_b64 s[38:39], s[0:1]
	s_xor_b64 s[38:39], exec, s[38:39]
	s_cbranch_execz .LBB14_289
; %bb.288:                              ;   in Loop: Header=BB14_286 Depth=1
	ds_write_b16 v29, v31 offset:13312
	ds_write_b16 v89, v31 offset:13312
	;; [unrolled: 1-line block ×4, first 2 shown]
.LBB14_289:                             ;   in Loop: Header=BB14_286 Depth=1
	s_or_saveexec_b64 s[38:39], s[38:39]
	v_mov_b32_e32 v12, 0
	v_mov_b32_e32 v13, 0
	;; [unrolled: 1-line block ×4, first 2 shown]
	s_xor_b64 exec, exec, s[38:39]
	s_cbranch_execz .LBB14_291
; %bb.290:                              ;   in Loop: Header=BB14_286 Depth=1
	v_lshl_add_u64 v[12:13], s[34:35], 1, v[32:33]
	v_lshl_add_u64 v[14:15], v[36:37], 1, v[12:13]
	;; [unrolled: 1-line block ×9, first 2 shown]
	global_load_ushort v23, v[14:15], off
	s_nop 0
	global_load_ushort v16, v[16:17], off
	s_nop 0
	;; [unrolled: 2-line block ×3, first 2 shown]
	global_load_ushort v18, v[122:123], off
	global_load_ushort v12, v[124:125], off
	;; [unrolled: 1-line block ×5, first 2 shown]
	s_waitcnt vmcnt(7)
	ds_write_b16 v29, v23 offset:13312
	s_waitcnt vmcnt(6)
	ds_write_b16 v89, v16 offset:13312
	;; [unrolled: 2-line block ×4, first 2 shown]
.LBB14_291:                             ;   in Loop: Header=BB14_286 Depth=1
	s_or_b64 exec, exec, s[38:39]
	s_waitcnt vmcnt(3)
	ds_write_b16 v92, v12 offset:13312
	s_waitcnt vmcnt(2)
	ds_write_b16 v93, v13 offset:13312
	;; [unrolled: 2-line block ×4, first 2 shown]
.LBB14_292:                             ;   in Loop: Header=BB14_286 Depth=1
	s_mul_hi_i32 s39, s34, s74
	s_mul_i32 s38, s34, s74
	s_lshl_b64 s[38:39], s[38:39], 2
	s_add_u32 s38, s43, s38
	s_addc_u32 s39, s44, s39
	v_lshl_add_u64 v[12:13], v[52:53], 2, s[38:39]
	v_lshl_add_u64 v[12:13], v[12:13], 0, v[30:31]
	;; [unrolled: 1-line block ×3, first 2 shown]
	v_mov_b32_e32 v18, s29
	v_cndmask_b32_e64 v13, v18, v13, s[26:27]
	v_cndmask_b32_e64 v12, v108, v12, s[26:27]
	scratch_store_dwordx4 off, v[118:121], off
	flat_load_dwordx4 v[12:15], v[12:13]
	v_mov_b32_e32 v63, v31
	v_lshl_add_u64 v[16:17], v[24:25], 2, s[38:39]
	v_lshl_add_u64 v[16:17], v[16:17], 0, v[62:63]
	v_cndmask_b32_e64 v17, v18, v17, s[4:5]
	v_cndmask_b32_e64 v16, v108, v16, s[4:5]
	v_add_u32_e32 v23, 0x1800, v106
	s_and_b64 vcc, exec, s[24:25]
	s_waitcnt vmcnt(0) lgkmcnt(0)
	ds_write_b128 v98, v[12:15]
	flat_load_dwordx4 v[12:15], v[16:17]
	v_lshl_add_u64 v[16:17], v[54:55], 2, s[38:39]
	v_lshl_add_u64 v[16:17], v[16:17], 0, v[62:63]
	v_cndmask_b32_e64 v17, v18, v17, s[6:7]
	v_cndmask_b32_e64 v16, v108, v16, s[6:7]
	s_waitcnt vmcnt(0) lgkmcnt(0)
	ds_write_b128 v99, v[12:15]
	flat_load_dwordx4 v[12:15], v[16:17]
	s_waitcnt vmcnt(0) lgkmcnt(0)
	ds_write_b128 v100, v[12:15]
	s_waitcnt lgkmcnt(0)
	s_barrier
	ds_read2_b64 v[12:15], v106 offset1:4
	ds_read2_b64 v[122:125], v23 offset0:64 offset1:68
	s_waitcnt lgkmcnt(1)
	v_mfma_f32_16x16x16_f16 v[16:19], v[12:13], v[8:9], 0
	s_waitcnt lgkmcnt(0)
	v_mfma_f32_16x16x16_f16 v[126:129], v[122:123], v[8:9], 0
	v_mfma_f32_16x16x16_f16 v[12:15], v[14:15], v[10:11], v[16:19]
	;; [unrolled: 1-line block ×3, first 2 shown]
	ds_read2_b64 v[122:125], v106 offset0:8 offset1:12
	s_nop 4
	ds_read2_b64 v[126:129], v23 offset0:72 offset1:76
	s_waitcnt lgkmcnt(1)
	v_mfma_f32_16x16x16_f16 v[12:15], v[122:123], v[4:5], v[12:15]
	s_waitcnt lgkmcnt(0)
	v_mfma_f32_16x16x16_f16 v[16:19], v[126:127], v[4:5], v[16:19]
	v_mfma_f32_16x16x16_f16 v[12:15], v[124:125], v[6:7], v[12:15]
	ds_read2_b64 v[122:125], v106 offset0:16 offset1:20
	v_mfma_f32_16x16x16_f16 v[16:19], v[128:129], v[6:7], v[16:19]
	ds_read2_b64 v[126:129], v23 offset0:80 offset1:84
	s_waitcnt lgkmcnt(0)
	s_barrier
	v_mfma_f32_16x16x16_f16 v[12:15], v[122:123], v[0:1], v[12:15]
	v_mfma_f32_16x16x16_f16 v[130:133], v[126:127], v[0:1], v[16:19]
	;; [unrolled: 1-line block ×4, first 2 shown]
	s_cbranch_vccnz .LBB14_294
; %bb.293:                              ;   in Loop: Header=BB14_286 Depth=1
	ds_read2_b32 v[122:123], v107 offset1:1
	ds_read_b32 v117, v101 offset:13312
	ds_read_b32 v126, v102 offset:13312
	v_mov_b32_e32 v23, v22
	s_waitcnt lgkmcnt(2)
	v_cvt_f32_f16_e32 v124, v122
	v_cvt_f32_f16_sdwa v125, v122 dst_sel:DWORD dst_unused:UNUSED_PAD src0_sel:WORD_1
	v_cvt_f32_f16_e32 v122, v123
	v_cvt_f32_f16_sdwa v123, v123 dst_sel:DWORD dst_unused:UNUSED_PAD src0_sel:WORD_1
	s_waitcnt lgkmcnt(1)
	v_cvt_f32_f16_sdwa v127, v117 dst_sel:DWORD dst_unused:UNUSED_PAD src0_sel:WORD_1
	s_waitcnt lgkmcnt(0)
	v_cvt_f32_f16_sdwa v129, v126 dst_sel:DWORD dst_unused:UNUSED_PAD src0_sel:WORD_1
	v_cvt_f32_f16_e32 v128, v126
	v_cvt_f32_f16_e32 v126, v117
	v_pk_fma_f32 v[18:19], v[22:23], v[122:123], v[18:19]
	v_pk_fma_f32 v[16:17], v[60:61], v[124:125], v[16:17]
	;; [unrolled: 1-line block ×4, first 2 shown]
.LBB14_294:                             ;   in Loop: Header=BB14_286 Depth=1
	s_mul_hi_i32 s25, s34, s54
	s_mul_i32 s24, s34, s54
	s_lshl_b64 s[24:25], s[24:25], 2
	s_add_u32 s24, s33, s24
	s_addc_u32 s25, s40, s25
	v_lshl_add_u64 v[122:123], v[56:57], 2, s[24:25]
	v_lshl_add_u64 v[122:123], v[122:123], 0, v[30:31]
	v_lshl_add_u64 v[122:123], v[122:123], 0, s[36:37]
	v_mov_b32_e32 v23, s29
	scratch_store_dwordx4 off, v[118:121], off
	v_cndmask_b32_e64 v123, v23, v123, s[26:27]
	v_cndmask_b32_e64 v122, v108, v122, s[26:27]
	flat_load_dwordx4 v[122:125], v[122:123]
	v_add_f32_e32 v131, 0x40051340, v16
	v_max_f32_e32 v132, v111, v111
	v_max_f32_e32 v131, v132, v131
	v_cndmask_b32_e64 v131, v111, v131, s[8:9]
	v_add_f32_e32 v133, 0x40051340, v17
	v_max_f32_e32 v132, v131, v131
	v_max_f32_e32 v140, v132, v133
	v_lshl_add_u64 v[132:133], v[20:21], 2, s[24:25]
	v_lshl_add_u64 v[132:133], v[132:133], 0, v[62:63]
	v_cndmask_b32_e64 v133, v23, v133, s[4:5]
	v_cndmask_b32_e64 v132, v108, v132, s[4:5]
	;; [unrolled: 1-line block ×3, first 2 shown]
	v_add_f32_e32 v134, 0x40051340, v18
	v_max_f32_e32 v140, v131, v131
	v_max_f32_e32 v134, v140, v134
	v_cndmask_b32_e64 v131, v131, v134, s[12:13]
	v_add_f32_e32 v135, 0x40051340, v19
	v_max_f32_e32 v134, v131, v131
	v_max_f32_e32 v134, v134, v135
	v_cndmask_b32_e64 v131, v131, v134, s[14:15]
	;; [unrolled: 4-line block ×6, first 2 shown]
	ds_bpermute_b32 v135, v96, v134
	v_mov_b32_e32 v117, s45
	v_mov_b32_e32 v126, s45
	;; [unrolled: 1-line block ×7, first 2 shown]
	s_add_i32 s42, s42, 1
	s_add_i32 s34, s34, 64
	s_waitcnt vmcnt(0) lgkmcnt(0)
	ds_write_b128 v98, v[122:125]
	flat_load_dwordx4 v[122:125], v[132:133]
	v_max_f32_e32 v132, v134, v134
	v_max_f32_e32 v133, v135, v135
	;; [unrolled: 1-line block ×3, first 2 shown]
	v_lshl_add_u64 v[132:133], v[58:59], 2, s[24:25]
	v_lshl_add_u64 v[132:133], v[132:133], 0, v[62:63]
	v_cndmask_b32_e64 v133, v23, v133, s[6:7]
	v_cndmask_b32_e64 v132, v108, v132, s[6:7]
	ds_bpermute_b32 v135, v97, v134
	s_waitcnt lgkmcnt(0)
	v_max_f32_e32 v23, v135, v135
	v_max_f32_e32 v23, v134, v23
	v_sub_f32_e32 v16, v16, v23
	v_sub_f32_e32 v17, v17, v23
	;; [unrolled: 1-line block ×3, first 2 shown]
	v_mul_f32_e32 v111, 0x3fb8aa3b, v16
	v_sub_f32_e32 v18, v18, v23
	v_mul_f32_e32 v134, 0x3fb8aa3b, v17
	v_fma_f32 v142, v16, s28, -v111
	v_rndne_f32_e32 v143, v111
	v_sub_f32_e32 v19, v19, v23
	v_mul_f32_e32 v135, 0x3fb8aa3b, v18
	v_fma_f32 v144, v17, s28, -v134
	v_rndne_f32_e32 v145, v134
	v_fmac_f32_e32 v142, 0x32a5705f, v16
	v_sub_f32_e32 v111, v111, v143
	v_sub_f32_e32 v12, v12, v23
	v_mul_f32_e32 v136, 0x3fb8aa3b, v19
	v_fma_f32 v146, v18, s28, -v135
	v_rndne_f32_e32 v147, v135
	v_fmac_f32_e32 v144, 0x32a5705f, v17
	v_sub_f32_e32 v134, v134, v145
	v_add_f32_e32 v111, v111, v142
	v_sub_f32_e32 v13, v13, v23
	v_mul_f32_e32 v137, 0x3fb8aa3b, v12
	v_fma_f32 v148, v19, s28, -v136
	v_rndne_f32_e32 v149, v136
	v_cvt_i32_f32_e32 v143, v143
	v_fmac_f32_e32 v146, 0x32a5705f, v18
	v_sub_f32_e32 v135, v135, v147
	v_add_f32_e32 v134, v134, v144
	v_exp_f32_e32 v111, v111
	v_sub_f32_e32 v14, v14, v23
	v_mul_f32_e32 v138, 0x3fb8aa3b, v13
	v_fma_f32 v150, v12, s28, -v137
	v_rndne_f32_e32 v151, v137
	v_cvt_i32_f32_e32 v145, v145
	v_fmac_f32_e32 v148, 0x32a5705f, v19
	v_sub_f32_e32 v136, v136, v149
	v_add_f32_e32 v135, v135, v146
	v_exp_f32_e32 v134, v134
	;; [unrolled: 9-line block ×3, first 2 shown]
	v_mul_f32_e32 v140, 0x3fb8aa3b, v15
	v_fma_f32 v154, v14, s28, -v139
	v_rndne_f32_e32 v155, v139
	v_cvt_i32_f32_e32 v149, v149
	v_fmac_f32_e32 v152, 0x32a5705f, v13
	v_sub_f32_e32 v138, v138, v153
	v_add_f32_e32 v137, v137, v150
	v_exp_f32_e32 v136, v136
	v_mul_f32_e32 v141, 0x3fb8aa3b, v63
	v_fma_f32 v156, v15, s28, -v140
	v_rndne_f32_e32 v157, v140
	v_cvt_i32_f32_e32 v151, v151
	v_fmac_f32_e32 v154, 0x32a5705f, v14
	v_sub_f32_e32 v139, v139, v155
	v_exp_f32_e32 v137, v137
	v_ldexp_f32 v111, v111, v143
	v_cmp_ngt_f32_e32 vcc, s46, v16
	s_waitcnt vmcnt(0)
	ds_write_b128 v99, v[122:125]
	flat_load_dwordx4 v[122:125], v[132:133]
	v_add_f32_e32 v132, v138, v152
	v_fma_f32 v158, v63, s28, -v141
	v_rndne_f32_e32 v159, v141
	v_cvt_i32_f32_e32 v153, v153
	v_fmac_f32_e32 v156, 0x32a5705f, v15
	v_sub_f32_e32 v140, v140, v157
	v_add_f32_e32 v133, v139, v154
	v_exp_f32_e32 v132, v132
	v_ldexp_f32 v134, v134, v145
	v_cndmask_b32_e32 v111, 0, v111, vcc
	v_cmp_ngt_f32_e32 vcc, s46, v17
	v_cvt_i32_f32_e32 v155, v155
	v_fmac_f32_e32 v158, 0x32a5705f, v63
	v_sub_f32_e32 v141, v141, v159
	v_add_f32_e32 v138, v140, v156
	v_exp_f32_e32 v133, v133
	v_ldexp_f32 v135, v135, v147
	v_cndmask_b32_e32 v134, 0, v134, vcc
	v_cmp_ngt_f32_e32 vcc, s46, v18
	v_cvt_i32_f32_e32 v157, v157
	v_add_f32_e32 v139, v141, v158
	v_exp_f32_e32 v138, v138
	v_ldexp_f32 v136, v136, v149
	v_cndmask_b32_e32 v135, 0, v135, vcc
	v_cmp_ngt_f32_e32 vcc, s46, v19
	v_cvt_i32_f32_e32 v159, v159
	v_exp_f32_e32 v139, v139
	v_ldexp_f32 v137, v137, v151
	v_cndmask_b32_e32 v136, 0, v136, vcc
	v_cmp_ngt_f32_e32 vcc, s46, v12
	v_ldexp_f32 v132, v132, v153
	v_ldexp_f32 v133, v133, v155
	v_cndmask_b32_e32 v137, 0, v137, vcc
	v_cmp_ngt_f32_e32 vcc, s46, v13
	v_ldexp_f32 v138, v138, v157
	v_ldexp_f32 v139, v139, v159
	v_cndmask_b32_e32 v132, 0, v132, vcc
	v_cmp_ngt_f32_e32 vcc, s46, v14
	s_waitcnt vmcnt(0) lgkmcnt(0)
	ds_write_b128 v100, v[122:125]
	v_cndmask_b32_e32 v133, 0, v133, vcc
	v_cmp_ngt_f32_e32 vcc, s46, v15
	s_waitcnt lgkmcnt(0)
	s_barrier
	v_cndmask_b32_e32 v138, 0, v138, vcc
	v_cmp_ngt_f32_e32 vcc, s46, v63
	s_nop 1
	v_cndmask_b32_e32 v139, 0, v139, vcc
	v_cmp_nlt_f32_e32 vcc, s47, v16
	s_nop 1
	v_cndmask_b32_e32 v16, v109, v111, vcc
	v_cmp_nlt_f32_e32 vcc, s47, v17
	;; [unrolled: 3-line block ×4, first 2 shown]
	v_cndmask_b32_e64 v18, v126, v140, s[12:13]
	s_nop 0
	v_cndmask_b32_e32 v136, v109, v136, vcc
	v_cmp_nlt_f32_e32 vcc, s47, v12
	v_cndmask_b32_e64 v12, 0, v16, s[8:9]
	v_cndmask_b32_e64 v19, v127, v136, s[14:15]
	v_cndmask_b32_e32 v137, v109, v137, vcc
	v_cmp_nlt_f32_e32 vcc, s47, v13
	v_cvt_pk_f16_f32 v19, v18, v19
	s_nop 0
	v_cndmask_b32_e32 v132, v109, v132, vcc
	v_cmp_nlt_f32_e32 vcc, s47, v14
	v_cndmask_b32_e64 v14, v128, v137, s[16:17]
	v_cndmask_b32_e64 v13, v129, v132, s[18:19]
	v_cndmask_b32_e32 v141, v109, v133, vcc
	v_cmp_nlt_f32_e32 vcc, s47, v15
	v_cndmask_b32_e64 v15, v117, v111, s[10:11]
	v_cvt_pk_f16_f32 v18, v12, v15
	v_cndmask_b32_e32 v138, v109, v138, vcc
	v_cmp_nlt_f32_e32 vcc, s47, v63
	v_cndmask_b32_e64 v16, v130, v141, s[20:21]
	v_cvt_pk_f16_f32 v134, v14, v13
	v_cndmask_b32_e32 v17, v109, v139, vcc
	v_cmp_le_f32_e32 vcc, s48, v63
	v_cndmask_b32_e64 v63, v131, v138, s[22:23]
	v_cvt_pk_f16_f32 v135, v16, v63
	v_cndmask_b32_e32 v117, 0, v17, vcc
	v_cvt_f16_f32_e32 v17, v117
	v_cmp_lt_i32_e32 vcc, s42, v88
	s_and_b64 vcc, exec, vcc
	v_mul_u32_u24_e32 v133, 0x10001, v17
	v_pk_mul_f16 v15, v82, v133
	v_pk_mul_f16 v17, v81, v133
	;; [unrolled: 1-line block ×3, first 2 shown]
	v_cvt_f32_f16_e32 v126, v15
	v_cvt_f32_f16_sdwa v127, v15 dst_sel:DWORD dst_unused:UNUSED_PAD src0_sel:WORD_1
	v_cvt_f32_f16_e32 v128, v17
	v_cvt_f32_f16_sdwa v129, v17 dst_sel:DWORD dst_unused:UNUSED_PAD src0_sel:WORD_1
	ds_read_u16 v15, v103 offset:208
	ds_read_u16 v17, v103
	ds_read_u16 v139, v103 offset:32
	ds_read_u16 v142, v103 offset:240
	;; [unrolled: 1-line block ×11, first 2 shown]
	ds_read_u16 v80, v104
	ds_read_u16 v151, v104 offset:32
	ds_read_u16 v122, v104 offset:6656
	;; [unrolled: 1-line block ×7, first 2 shown]
	ds_read_u16 v81, v105
	ds_read_u16 v157, v105 offset:32
	ds_read_u16 v158, v105 offset:64
	;; [unrolled: 1-line block ×4, first 2 shown]
	s_waitcnt lgkmcnt(4)
	v_perm_b32 v81, v81, v80, s49
	v_perm_b32 v80, v15, v17, s49
	ds_read_u16 v15, v105 offset:6656
	ds_read_u16 v161, v105 offset:6688
	;; [unrolled: 1-line block ×7, first 2 shown]
	s_waitcnt lgkmcnt(6)
	v_perm_b32 v131, v15, v122, s49
	v_mfma_f32_16x16x16_f16 v[122:125], v[80:81], v[18:19], v[126:129]
	v_pk_mul_f16 v79, v79, v133
	v_pk_mul_f16 v77, v77, v133
	s_nop 0
	v_perm_b32 v127, v158, v153, s49
	s_nop 3
	v_cvt_f16_f32_e32 v15, v122
	v_cvt_f16_f32_e32 v17, v123
	;; [unrolled: 1-line block ×4, first 2 shown]
	v_cvt_f32_f16_e32 v122, v15
	ds_read_u16 v15, v103 offset:6864
	ds_read_u16 v126, v103 offset:6896
	;; [unrolled: 1-line block ×7, first 2 shown]
	s_waitcnt lgkmcnt(6)
	v_perm_b32 v130, v15, v130, s49
	v_cvt_f32_f16_e32 v123, v17
	v_cvt_f32_f16_e32 v124, v80
	;; [unrolled: 1-line block ×3, first 2 shown]
	v_perm_b32 v81, v157, v151, s49
	v_perm_b32 v80, v142, v139, s49
	v_mfma_f32_16x16x16_f16 v[14:17], v[130:131], v[134:135], v[122:125]
	v_pk_mul_f16 v73, v73, v133
	v_pk_mul_f16 v71, v71, v133
	s_nop 0
	v_cvt_f32_f16_e32 v122, v82
	v_cvt_f32_f16_sdwa v123, v82 dst_sel:DWORD dst_unused:UNUSED_PAD src0_sel:WORD_1
	v_cvt_f32_f16_e32 v124, v79
	v_cvt_f32_f16_sdwa v125, v79 dst_sel:DWORD dst_unused:UNUSED_PAD src0_sel:WORD_1
	ds_read_u16 v13, v103 offset:272
	ds_read_u16 v63, v103 offset:304
	;; [unrolled: 1-line block ×4, first 2 shown]
	v_mfma_f32_16x16x16_f16 v[122:125], v[80:81], v[18:19], v[122:125]
	ds_read_u16 v131, v103 offset:6784
	v_pk_mul_f16 v69, v69, v133
	s_nop 5
	v_cvt_f16_f32_e32 v80, v123
	v_cvt_f16_f32_e32 v81, v124
	;; [unrolled: 1-line block ×4, first 2 shown]
	v_cvt_f32_f16_e32 v123, v80
	v_cvt_f32_f16_e32 v124, v81
	v_perm_b32 v81, v161, v152, s49
	s_waitcnt lgkmcnt(10)
	v_perm_b32 v80, v126, v147, s49
	v_cvt_f32_f16_e32 v122, v79
	v_cvt_f32_f16_e32 v125, v125
	v_pk_mul_f16 v79, v78, v133
	s_waitcnt lgkmcnt(4)
	v_perm_b32 v126, v13, v143, s49
	v_mfma_f32_16x16x16_f16 v[122:125], v[80:81], v[134:135], v[122:125]
	v_cvt_f32_f16_e32 v78, v79
	v_cvt_f32_f16_sdwa v79, v79 dst_sel:DWORD dst_unused:UNUSED_PAD src0_sel:WORD_1
	v_cvt_f32_f16_e32 v80, v77
	v_cvt_f32_f16_sdwa v81, v77 dst_sel:DWORD dst_unused:UNUSED_PAD src0_sel:WORD_1
	ds_read_u16 v13, v104 offset:6720
	ds_read_u16 v77, v104 offset:6752
	;; [unrolled: 1-line block ×3, first 2 shown]
	v_mfma_f32_16x16x16_f16 v[78:81], v[126:127], v[18:19], v[78:81]
	s_waitcnt lgkmcnt(2)
	v_perm_b32 v127, v162, v13, s49
	v_perm_b32 v126, v128, v148, s49
	v_add_f32_e32 v13, v111, v12
	s_nop 3
	v_cvt_f16_f32_e32 v78, v78
	v_cvt_f16_f32_e32 v79, v79
	v_cvt_f16_f32_e32 v80, v80
	v_cvt_f16_f32_e32 v81, v81
	v_cvt_f32_f16_e32 v78, v78
	v_cvt_f32_f16_e32 v79, v79
	;; [unrolled: 1-line block ×4, first 2 shown]
	v_pk_mul_f16 v111, v72, v133
	v_perm_b32 v72, v63, v144, s49
	v_mfma_f32_16x16x16_f16 v[78:81], v[126:127], v[134:135], v[78:81]
	v_cvt_f32_f16_e32 v126, v73
	v_cvt_f32_f16_sdwa v127, v73 dst_sel:DWORD dst_unused:UNUSED_PAD src0_sel:WORD_1
	v_perm_b32 v73, v159, v154, s49
	v_cvt_f32_f16_e32 v128, v111
	v_cvt_f32_f16_sdwa v129, v111 dst_sel:DWORD dst_unused:UNUSED_PAD src0_sel:WORD_1
	v_cndmask_b32_e64 v12, v12, v13, s[10:11]
	v_add_f32_e32 v13, v12, v140
	v_mfma_f32_16x16x16_f16 v[126:129], v[72:73], v[18:19], v[126:129]
	v_cndmask_b32_e64 v63, v12, v13, s[12:13]
	v_cvt_pk_f16_f32 v78, v78, v79
	v_cvt_pk_f16_f32 v79, v124, v125
	s_waitcnt lgkmcnt(0)
	s_nop 3
	v_cvt_f16_f32_e32 v12, v126
	v_cvt_f16_f32_e32 v13, v127
	;; [unrolled: 1-line block ×4, first 2 shown]
	v_cvt_f32_f16_e32 v126, v12
	v_cvt_f32_f16_e32 v127, v13
	v_perm_b32 v13, v163, v77, s49
	v_perm_b32 v12, v167, v149, s49
	v_cvt_f32_f16_e32 v128, v72
	v_cvt_f32_f16_e32 v129, v73
	v_pk_mul_f16 v73, v70, v133
	v_cvt_f32_f16_e32 v70, v71
	v_mfma_f32_16x16x16_f16 v[126:129], v[12:13], v[134:135], v[126:129]
	v_perm_b32 v13, v130, v155, s49
	v_perm_b32 v12, v82, v145, s49
	v_cvt_f32_f16_sdwa v71, v71 dst_sel:DWORD dst_unused:UNUSED_PAD src0_sel:WORD_1
	v_cvt_f32_f16_e32 v72, v73
	v_cvt_f32_f16_sdwa v73, v73 dst_sel:DWORD dst_unused:UNUSED_PAD src0_sel:WORD_1
	v_add_f32_e32 v77, v63, v136
	v_cndmask_b32_e64 v63, v63, v77, s[14:15]
	v_mfma_f32_16x16x16_f16 v[70:73], v[12:13], v[18:19], v[70:73]
	v_add_f32_e32 v77, v137, v63
	v_cndmask_b32_e64 v63, v63, v77, s[16:17]
	v_add_f32_e32 v77, v132, v63
	v_pk_mul_f16 v82, v68, v133
	s_nop 3
	v_cvt_f16_f32_e32 v12, v70
	v_cvt_f16_f32_e32 v13, v71
	;; [unrolled: 1-line block ×4, first 2 shown]
	v_cvt_f32_f16_e32 v70, v12
	v_cvt_f32_f16_e32 v71, v13
	v_perm_b32 v13, v164, v139, s49
	v_perm_b32 v12, v168, v131, s49
	v_cvt_f32_f16_e32 v72, v72
	v_cvt_f32_f16_e32 v73, v73
	;; [unrolled: 1-line block ×3, first 2 shown]
	v_cvt_f32_f16_sdwa v69, v69 dst_sel:DWORD dst_unused:UNUSED_PAD src0_sel:WORD_1
	v_mfma_f32_16x16x16_f16 v[130:133], v[12:13], v[134:135], v[70:73]
	v_perm_b32 v13, v166, v156, s49
	v_perm_b32 v12, v150, v146, s49
	s_nop 0
	v_cvt_f32_f16_e32 v70, v82
	v_cvt_f32_f16_sdwa v71, v82 dst_sel:DWORD dst_unused:UNUSED_PAD src0_sel:WORD_1
	v_cndmask_b32_e64 v63, v63, v77, s[18:19]
	v_add_f32_e32 v72, v141, v63
	v_mfma_f32_16x16x16_f16 v[68:71], v[12:13], v[18:19], v[68:71]
	v_cndmask_b32_e64 v63, v63, v72, s[20:21]
	v_cvt_pk_f16_f32 v73, v126, v127
	v_cvt_pk_f16_f32 v72, v128, v129
	;; [unrolled: 1-line block ×3, first 2 shown]
	s_nop 3
	v_cvt_f16_f32_e32 v12, v68
	v_cvt_f16_f32_e32 v13, v69
	;; [unrolled: 1-line block ×4, first 2 shown]
	v_cvt_f32_f16_e32 v68, v12
	v_cvt_f32_f16_e32 v69, v13
	v_perm_b32 v13, v165, v160, s49
	v_perm_b32 v12, v169, v170, s49
	v_cvt_f32_f16_e32 v70, v18
	v_cvt_f32_f16_e32 v71, v19
	v_add_f32_e32 v18, v138, v63
	v_cndmask_b32_e64 v63, v63, v18, s[22:23]
	v_mfma_f32_16x16x16_f16 v[134:137], v[12:13], v[134:135], v[68:71]
	v_fmac_f32_e32 v63, v110, v117
	v_cvt_pk_f16_f32 v80, v122, v123
	v_cvt_pk_f16_f32 v82, v14, v15
	;; [unrolled: 1-line block ×5, first 2 shown]
	s_nop 1
	v_cvt_pk_f16_f32 v69, v134, v135
	v_cvt_pk_f16_f32 v68, v136, v137
	s_barrier
	s_cbranch_vccz .LBB14_298
; %bb.295:                              ;   in Loop: Header=BB14_286 Depth=1
	v_mov_b32_e32 v110, v63
	v_mov_b32_e32 v111, v23
	s_branch .LBB14_286
.LBB14_296:
                                        ; implicit-def: $sgpr4_sgpr5
                                        ; kill: killed $sgpr4_sgpr5
	s_load_dwordx2 s[86:87], s[0:1], 0x5c
	s_branch .LBB14_7
.LBB14_297:
	v_mov_b32_e32 v23, 0xfeffffff
	v_mov_b32_e32 v63, 0
	v_mov_b32_e32 v68, 0
	v_mov_b32_e32 v69, 0
	v_mov_b32_e32 v70, 0
	v_mov_b32_e32 v71, 0
	v_mov_b32_e32 v81, 0
	v_mov_b32_e32 v82, 0
	v_mov_b32_e32 v79, 0
	v_mov_b32_e32 v80, 0
	v_mov_b32_e32 v77, 0
	v_mov_b32_e32 v78, 0
	v_mov_b32_e32 v72, 0
	v_mov_b32_e32 v73, 0
.LBB14_298:
	s_lshl_b32 s6, s42, 6
	v_readlane_b32 s0, v215, 4
	s_sub_i32 s20, s0, s6
	s_cmp_lg_u64 s[2:3], 0
	s_cselect_b64 s[10:11], -1, 0
	s_ashr_i32 s7, s6, 31
	s_cmp_eq_u64 s[2:3], 0
	v_readlane_b32 s1, v215, 5
	s_cbranch_scc1 .LBB14_316
; %bb.299:
	s_lshl_b64 s[0:1], s[6:7], 1
	s_add_u32 s0, s2, s0
	s_addc_u32 s1, s3, s1
	v_mov_b32_e32 v29, 0
	v_cmp_gt_i32_e32 vcc, s20, v67
	v_lshl_add_u64 v[12:13], s[0:1], 0, v[28:29]
	v_mov_b32_e32 v15, 0
	s_and_saveexec_b64 s[0:1], vcc
	s_cbranch_execz .LBB14_301
; %bb.300:
	v_add_u32_e32 v14, s41, v112
	v_mul_hi_u32 v15, s86, v14
	v_add_u32_e32 v15, v14, v15
	v_lshrrev_b32_e32 v15, s87, v15
	v_mul_lo_u32 v15, v15, s72
	v_sub_u32_e32 v14, v14, v15
	v_mad_i64_i32 v[14:15], s[2:3], v14, s76, 0
	v_lshl_add_u64 v[14:15], v[14:15], 1, v[12:13]
	global_load_ushort v15, v[14:15], off
.LBB14_301:
	s_or_b64 exec, exec, s[0:1]
	s_movk_i32 s0, 0x90
	v_mad_u32_u24 v14, v112, s0, 0
	v_lshl_add_u32 v16, v67, 1, v14
	s_waitcnt vmcnt(0)
	ds_write_b16 v16, v15 offset:13312
	s_and_saveexec_b64 s[0:1], vcc
	s_cbranch_execz .LBB14_303
; %bb.302:
	v_add3_u32 v15, v112, s41, 4
	v_mul_hi_u32 v16, s86, v15
	v_add_u32_e32 v16, v15, v16
	v_lshrrev_b32_e32 v16, s87, v16
	v_mul_lo_u32 v16, v16, s72
	v_sub_u32_e32 v15, v15, v16
	v_mad_i64_i32 v[16:17], s[2:3], v15, s76, 0
	v_lshl_add_u64 v[16:17], v[16:17], 1, v[12:13]
	global_load_ushort v29, v[16:17], off
.LBB14_303:
	s_or_b64 exec, exec, s[0:1]
	v_add_u32_e32 v15, 0x240, v14
	v_lshl_add_u32 v14, v67, 1, v15
	s_waitcnt vmcnt(0)
	ds_write_b16 v14, v29 offset:13312
	v_mov_b32_e32 v14, 0
	v_mov_b32_e32 v16, 0
	s_and_saveexec_b64 s[0:1], vcc
	s_cbranch_execz .LBB14_305
; %bb.304:
	v_add3_u32 v16, v112, s41, 8
	v_mul_hi_u32 v17, s86, v16
	v_add_u32_e32 v17, v16, v17
	v_lshrrev_b32_e32 v17, s87, v17
	v_mul_lo_u32 v17, v17, s72
	v_sub_u32_e32 v16, v16, v17
	v_mad_i64_i32 v[16:17], s[2:3], v16, s76, 0
	v_lshl_add_u64 v[16:17], v[16:17], 1, v[12:13]
	global_load_ushort v16, v[16:17], off
.LBB14_305:
	s_or_b64 exec, exec, s[0:1]
	v_add_u32_e32 v15, 0x240, v15
	v_lshl_add_u32 v17, v67, 1, v15
	s_waitcnt vmcnt(0)
	ds_write_b16 v17, v16 offset:13312
	s_and_saveexec_b64 s[0:1], vcc
	s_cbranch_execz .LBB14_307
; %bb.306:
	v_add3_u32 v14, v112, s41, 12
	v_mul_hi_u32 v16, s86, v14
	v_add_u32_e32 v16, v14, v16
	v_lshrrev_b32_e32 v16, s87, v16
	v_mul_lo_u32 v16, v16, s72
	v_sub_u32_e32 v14, v14, v16
	v_mad_i64_i32 v[16:17], s[2:3], v14, s76, 0
	v_lshl_add_u64 v[16:17], v[16:17], 1, v[12:13]
	global_load_ushort v14, v[16:17], off
.LBB14_307:
	s_or_b64 exec, exec, s[0:1]
	v_add_u32_e32 v15, 0x240, v15
	v_lshl_add_u32 v16, v67, 1, v15
	s_waitcnt vmcnt(0)
	ds_write_b16 v16, v14 offset:13312
	v_mov_b32_e32 v14, 0
	v_mov_b32_e32 v16, 0
	s_and_saveexec_b64 s[0:1], vcc
	s_cbranch_execz .LBB14_309
; %bb.308:
	v_add3_u32 v16, v112, s41, 16
	v_mul_hi_u32 v17, s86, v16
	v_add_u32_e32 v17, v16, v17
	v_lshrrev_b32_e32 v17, s87, v17
	v_mul_lo_u32 v17, v17, s72
	v_sub_u32_e32 v16, v16, v17
	v_mad_i64_i32 v[16:17], s[2:3], v16, s76, 0
	v_lshl_add_u64 v[16:17], v[16:17], 1, v[12:13]
	global_load_ushort v16, v[16:17], off
.LBB14_309:
	s_or_b64 exec, exec, s[0:1]
	v_add_u32_e32 v15, 0x240, v15
	;; [unrolled: 38-line block ×3, first 2 shown]
	v_lshl_add_u32 v15, v67, 1, v15
	s_waitcnt vmcnt(0)
	ds_write_b16 v15, v16 offset:13312
	s_and_saveexec_b64 s[0:1], vcc
	s_cbranch_execz .LBB14_315
; %bb.314:
	v_add3_u32 v14, v112, s41, 28
	v_mul_hi_u32 v16, s86, v14
	v_add_u32_e32 v16, v14, v16
	v_lshrrev_b32_e32 v16, s87, v16
	v_mul_lo_u32 v16, v16, s72
	v_sub_u32_e32 v14, v14, v16
	v_mad_i64_i32 v[16:17], s[2:3], v14, s76, 0
	v_lshl_add_u64 v[12:13], v[16:17], 1, v[12:13]
	global_load_ushort v14, v[12:13], off
.LBB14_315:
	s_or_b64 exec, exec, s[0:1]
	s_waitcnt vmcnt(0)
	ds_write_b16 v15, v14 offset:13888
.LBB14_316:
	s_mul_hi_i32 s3, s6, s74
	s_mul_i32 s2, s6, s74
	s_lshl_b64 s[2:3], s[2:3], 2
	v_add_u32_e32 v21, v84, v114
	s_add_u32 s2, s43, s2
	v_mul_lo_u32 v12, s74, v21
	s_addc_u32 s3, s44, s3
	v_ashrrev_i32_e32 v13, 31, v12
	v_and_b32_e32 v14, 12, v87
	v_lshl_add_u64 v[12:13], v[12:13], 2, s[2:3]
	v_lshlrev_b32_e32 v18, 2, v14
	v_mov_b32_e32 v19, 0
	s_mov_b64 s[0:1], src_private_base
	v_lshl_add_u64 v[12:13], v[12:13], 0, v[18:19]
	s_mov_b64 s[4:5], 0x80
	v_lshl_add_u64 v[12:13], v[12:13], 0, s[4:5]
	v_mov_b32_e32 v30, s1
	v_cmp_gt_i32_e64 s[4:5], s20, v21
	v_mov_b32_e32 v31, 0
	v_mov_b32_e32 v14, v19
	;; [unrolled: 1-line block ×5, first 2 shown]
	v_cndmask_b32_e64 v13, v30, v13, s[4:5]
	v_cndmask_b32_e64 v12, v31, v12, s[4:5]
	scratch_store_dwordx4 off, v[14:17], off
	flat_load_dwordx4 v[12:15], v[12:13]
	v_ashrrev_i32_e32 v25, 31, v24
	v_and_b32_e32 v16, 28, v87
	v_mul_u32_u24_e32 v28, 0xd0, v21
	v_lshlrev_b32_e32 v16, 2, v16
	v_add3_u32 v19, 0, v28, v18
	v_lshl_add_u64 v[28:29], v[24:25], 2, s[2:3]
	v_lshl_add_u64 v[28:29], v[28:29], 0, v[16:17]
	v_cmp_gt_i32_e64 s[8:9], s20, v86
	v_mul_u32_u24_e32 v25, 0xd0, v86
	v_add_u32_e32 v32, 32, v86
	v_cndmask_b32_e64 v29, v30, v29, s[8:9]
	v_cndmask_b32_e64 v28, v31, v28, s[8:9]
	v_cmp_gt_i32_e64 s[0:1], s20, v32
	s_and_b64 vcc, exec, s[10:11]
	s_waitcnt vmcnt(0) lgkmcnt(0)
	ds_write_b128 v19, v[12:15] offset:128
	flat_load_dwordx4 v[12:15], v[28:29]
	v_lshl_add_u32 v28, s74, 5, v24
	v_ashrrev_i32_e32 v29, 31, v28
	v_lshl_add_u64 v[28:29], v[28:29], 2, s[2:3]
	v_add3_u32 v24, 0, v25, v16
	v_lshl_add_u64 v[28:29], v[28:29], 0, v[16:17]
	v_cndmask_b32_e64 v29, v30, v29, s[0:1]
	v_cndmask_b32_e64 v28, v31, v28, s[0:1]
	v_and_b32_e32 v17, 16, v114
	v_add_u32_e32 v25, 0, v85
	s_waitcnt vmcnt(0) lgkmcnt(0)
	ds_write_b128 v24, v[12:15]
	flat_load_dwordx4 v[12:15], v[28:29]
	v_mul_u32_u24_e32 v28, 0xd0, v17
	v_add3_u32 v25, v25, v27, v28
	v_add_u32_e32 v32, 0x1800, v25
	s_waitcnt vmcnt(0) lgkmcnt(0)
	ds_write_b128 v24, v[12:15] offset:6656
	s_waitcnt lgkmcnt(0)
	s_barrier
	ds_read2_b64 v[12:15], v25 offset1:4
	ds_read2_b64 v[36:39], v32 offset0:64 offset1:68
	s_waitcnt lgkmcnt(1)
	v_mfma_f32_16x16x16_f16 v[28:31], v[12:13], v[8:9], 0
	s_waitcnt lgkmcnt(0)
	v_mfma_f32_16x16x16_f16 v[40:43], v[36:37], v[8:9], 0
	v_mfma_f32_16x16x16_f16 v[12:15], v[14:15], v[10:11], v[28:31]
	;; [unrolled: 1-line block ×3, first 2 shown]
	s_nop 3
	ds_read2_b64 v[28:31], v25 offset0:8 offset1:12
	ds_read2_b64 v[36:39], v32 offset0:72 offset1:76
	s_waitcnt lgkmcnt(1)
	v_mfma_f32_16x16x16_f16 v[12:15], v[28:29], v[4:5], v[12:15]
	s_waitcnt lgkmcnt(0)
	v_mfma_f32_16x16x16_f16 v[8:11], v[36:37], v[4:5], v[8:11]
	v_mfma_f32_16x16x16_f16 v[12:15], v[30:31], v[6:7], v[12:15]
	ds_read2_b64 v[28:31], v32 offset0:80 offset1:84
	v_mfma_f32_16x16x16_f16 v[4:7], v[38:39], v[6:7], v[8:11]
	s_nop 4
	ds_read2_b64 v[8:11], v25 offset0:16 offset1:20
	s_waitcnt lgkmcnt(0)
	v_mfma_f32_16x16x16_f16 v[12:15], v[8:9], v[0:1], v[12:15]
	s_barrier
	v_mfma_f32_16x16x16_f16 v[4:7], v[28:29], v[0:1], v[4:7]
	v_and_b32_e32 v0, 0xfc, v84
	v_add_u32_e32 v17, v0, v17
	v_add_u32_e32 v32, 34, v17
	v_mfma_f32_16x16x16_f16 v[8:11], v[10:11], v[2:3], v[12:15]
	v_mfma_f32_16x16x16_f16 v[12:15], v[30:31], v[2:3], v[4:7]
	v_add_u32_e32 v31, 32, v17
	s_cbranch_vccz .LBB14_332
; %bb.317:
	s_movk_i32 s2, 0x90
	v_mad_u32_u24 v2, v83, s2, 0
	v_lshlrev_b32_e32 v0, 1, v17
	s_movk_i32 s2, 0x3400
	v_add_u32_e32 v29, 32, v17
	v_add3_u32 v0, v2, v0, s2
	v_lshl_add_u32 v3, v29, 1, v2
	v_add_u32_e32 v28, 34, v17
	ds_read2_b32 v[0:1], v0 offset1:1
	v_lshl_add_u32 v2, v28, 1, v2
	ds_read_b32 v4, v3 offset:13312
	ds_read_b32 v5, v2 offset:13312
	s_waitcnt lgkmcnt(2)
	v_cvt_f32_f16_e32 v2, v0
	v_cvt_f32_f16_sdwa v3, v0 dst_sel:DWORD dst_unused:UNUSED_PAD src0_sel:WORD_1
	v_cvt_f32_f16_e32 v0, v1
	v_cvt_f32_f16_sdwa v1, v1 dst_sel:DWORD dst_unused:UNUSED_PAD src0_sel:WORD_1
	s_waitcnt lgkmcnt(1)
	v_cvt_f32_f16_e32 v36, v4
	s_waitcnt lgkmcnt(0)
	v_cvt_f32_f16_e32 v38, v5
	v_cvt_f32_f16_sdwa v39, v5 dst_sel:DWORD dst_unused:UNUSED_PAD src0_sel:WORD_1
	v_cvt_f32_f16_sdwa v37, v4 dst_sel:DWORD dst_unused:UNUSED_PAD src0_sel:WORD_1
	v_pk_fma_f32 v[6:7], v[22:23], v[0:1], v[10:11] op_sel_hi:[0,1,1]
	v_pk_fma_f32 v[4:5], v[22:23], v[2:3], v[8:9] op_sel_hi:[0,1,1]
	;; [unrolled: 1-line block ×4, first 2 shown]
	v_add_u32_e32 v30, 0x80, v19
	v_add_u32_e32 v25, 0x1a00, v24
	s_cbranch_execnz .LBB14_319
.LBB14_318:
	s_nop 2
	v_mov_b64_e32 v[0:1], v[12:13]
	v_mov_b64_e32 v[4:5], v[8:9]
	v_mov_b32_e32 v28, v32
	v_mov_b32_e32 v29, v31
	v_mov_b64_e32 v[2:3], v[14:15]
	v_mov_b64_e32 v[6:7], v[10:11]
.LBB14_319:
	s_mul_hi_i32 s7, s6, s54
	s_mul_i32 s6, s6, s54
	s_lshl_b64 s[6:7], s[6:7], 2
	s_add_u32 s22, s33, s6
	v_mul_lo_u32 v12, s54, v21
	v_mov_b32_e32 v8, 0
	s_addc_u32 s23, s40, s7
	v_ashrrev_i32_e32 v13, 31, v12
	v_mov_b32_e32 v9, v8
	v_mov_b32_e32 v10, v8
	;; [unrolled: 1-line block ×3, first 2 shown]
	scratch_store_dwordx4 off, v[8:11], off
	v_mov_b32_e32 v19, v8
	s_mov_b64 s[2:3], src_private_base
	v_lshl_add_u64 v[10:11], v[12:13], 2, s[22:23]
	v_lshl_add_u64 v[10:11], v[10:11], 0, v[18:19]
	s_mov_b64 s[6:7], 0x80
	v_lshl_add_u64 v[10:11], v[10:11], 0, s[6:7]
	v_mov_b32_e32 v14, s3
	v_mov_b32_e32 v15, 0
	v_cndmask_b32_e64 v11, v14, v11, s[4:5]
	v_cndmask_b32_e64 v10, v15, v10, s[4:5]
	flat_load_dwordx4 v[10:13], v[10:11]
	v_add_f32_e32 v9, 0x40051340, v4
	v_max_f32_e32 v18, v23, v23
	v_max_f32_e32 v9, v18, v9
	v_cmp_gt_u32_e64 s[18:19], s20, v17
	v_or_b32_e32 v18, 1, v17
	v_add_f32_e32 v19, 0x40051340, v5
	v_cndmask_b32_e64 v9, v23, v9, s[18:19]
	v_max_f32_e32 v21, v9, v9
	v_max_f32_e32 v19, v21, v19
	v_cmp_gt_u32_e64 s[14:15], s20, v18
	v_or_b32_e32 v18, 2, v17
	v_cmp_gt_u32_e64 s[12:13], s20, v18
	v_cndmask_b32_e64 v9, v9, v19, s[14:15]
	v_add_f32_e32 v19, 0x40051340, v6
	v_max_f32_e32 v21, v9, v9
	v_max_f32_e32 v19, v21, v19
	v_cndmask_b32_e64 v9, v9, v19, s[12:13]
	v_or_b32_e32 v18, 3, v17
	v_add_f32_e32 v19, 0x40051340, v7
	v_max_f32_e32 v21, v9, v9
	v_max_f32_e32 v19, v21, v19
	v_cmp_gt_u32_e64 s[10:11], s20, v18
	v_add_f32_e32 v18, 0x40051340, v0
	v_cmp_gt_u32_e64 s[6:7], s20, v29
	v_cndmask_b32_e64 v9, v9, v19, s[10:11]
	v_max_f32_e32 v19, v9, v9
	v_max_f32_e32 v18, v19, v18
	v_cndmask_b32_e64 v9, v9, v18, s[6:7]
	v_add_u32_e32 v18, 33, v17
	v_add_f32_e32 v19, 0x40051340, v1
	v_max_f32_e32 v21, v9, v9
	v_max_f32_e32 v19, v21, v19
	v_cmp_gt_u32_e64 s[4:5], s20, v18
	v_add_f32_e32 v18, 0x40051340, v2
	v_cmp_gt_u32_e64 s[16:17], s20, v28
	v_cndmask_b32_e64 v9, v9, v19, s[4:5]
	v_max_f32_e32 v19, v9, v9
	v_max_f32_e32 v18, v19, v18
	v_cndmask_b32_e64 v9, v9, v18, s[16:17]
	v_add_u32_e32 v17, 35, v17
	v_add_f32_e32 v18, 0x40051340, v3
	v_max_f32_e32 v19, v9, v9
	v_max_f32_e32 v18, v19, v18
	v_cmp_gt_u32_e32 vcc, s20, v17
	v_mbcnt_hi_u32_b32 v17, -1, v116
	v_xor_b32_e32 v19, 32, v17
	v_cndmask_b32_e32 v9, v9, v18, vcc
	v_and_b32_e32 v18, 64, v17
	v_add_u32_e32 v18, 64, v18
	v_cmp_lt_i32_e64 s[20:21], v19, v18
	v_ashrrev_i32_e32 v21, 31, v20
	s_mov_b32 s2, 0x3fb8aa3b
	v_cndmask_b32_e64 v19, v17, v19, s[20:21]
	v_lshlrev_b32_e32 v22, 2, v19
	ds_bpermute_b32 v19, v22, v9
	v_max_f32_e32 v9, v9, v9
	s_mov_b32 s3, 0
	s_waitcnt lgkmcnt(0)
	v_max_f32_e32 v19, v19, v19
	v_max_f32_e32 v9, v9, v19
	v_xor_b32_e32 v19, 16, v17
	v_cmp_lt_i32_e64 s[20:21], v19, v18
	s_waitcnt vmcnt(0)
	ds_write_b128 v30, v[10:13]
	v_cndmask_b32_e64 v17, v17, v19, s[20:21]
	v_lshlrev_b32_e32 v29, 2, v17
	ds_bpermute_b32 v17, v29, v9
	v_lshl_add_u64 v[10:11], v[20:21], 2, s[22:23]
	s_mov_b32 s20, 0xc2ce8ed0
	s_mov_b32 s21, 0x42b17218
	s_waitcnt lgkmcnt(0)
	v_max_f32_e32 v17, v17, v17
	v_max_f32_e32 v28, v9, v17
	v_mov_b32_e32 v17, v8
	v_lshl_add_u64 v[8:9], v[10:11], 0, v[16:17]
	v_cndmask_b32_e64 v9, v14, v9, s[8:9]
	v_cndmask_b32_e64 v8, v15, v8, s[8:9]
	flat_load_dwordx4 v[8:11], v[8:9]
	v_sub_f32_e32 v4, v4, v28
	v_mul_f32_e32 v18, 0x3fb8aa3b, v4
	v_fma_f32 v19, v4, s2, -v18
	v_rndne_f32_e32 v12, v18
	v_fmac_f32_e32 v19, 0x32a5705f, v4
	v_sub_f32_e32 v13, v18, v12
	v_add_f32_e32 v13, v13, v19
	v_exp_f32_e32 v13, v13
	v_cvt_i32_f32_e32 v12, v12
	v_sub_f32_e32 v5, v5, v28
	v_cmp_ngt_f32_e64 s[8:9], s20, v4
	v_mov_b32_e32 v18, 0x7f800000
	v_ldexp_f32 v12, v13, v12
	v_mul_f32_e32 v13, 0x3fb8aa3b, v5
	v_fma_f32 v19, v5, s2, -v13
	v_rndne_f32_e32 v21, v13
	v_fmac_f32_e32 v19, 0x32a5705f, v5
	v_sub_f32_e32 v13, v13, v21
	v_add_f32_e32 v13, v13, v19
	v_exp_f32_e32 v13, v13
	v_cvt_i32_f32_e32 v19, v21
	v_cndmask_b32_e64 v12, 0, v12, s[8:9]
	v_cmp_nlt_f32_e64 s[8:9], s21, v4
	v_sub_f32_e32 v6, v6, v28
	v_sub_f32_e32 v7, v7, v28
	v_cndmask_b32_e64 v4, v18, v12, s[8:9]
	v_ldexp_f32 v12, v13, v19
	v_mul_f32_e32 v13, 0x3fb8aa3b, v6
	v_fma_f32 v19, v6, s2, -v13
	v_rndne_f32_e32 v21, v13
	v_fmac_f32_e32 v19, 0x32a5705f, v6
	v_sub_f32_e32 v13, v13, v21
	v_add_f32_e32 v13, v13, v19
	v_exp_f32_e32 v13, v13
	v_cvt_i32_f32_e32 v19, v21
	v_cmp_ngt_f32_e64 s[8:9], s20, v5
	v_sub_f32_e32 v0, v0, v28
	v_sub_f32_e32 v1, v1, v28
	v_cndmask_b32_e64 v12, 0, v12, s[8:9]
	v_cmp_nlt_f32_e64 s[8:9], s21, v5
	v_sub_f32_e32 v2, v2, v28
	v_sub_f32_e32 v3, v3, v28
	v_cndmask_b32_e64 v21, v18, v12, s[8:9]
	v_ldexp_f32 v12, v13, v19
	v_mul_f32_e32 v13, 0x3fb8aa3b, v7
	v_fma_f32 v19, v7, s2, -v13
	v_rndne_f32_e32 v30, v13
	v_fmac_f32_e32 v19, 0x32a5705f, v7
	v_sub_f32_e32 v13, v13, v30
	v_add_f32_e32 v13, v13, v19
	v_exp_f32_e32 v13, v13
	v_cvt_i32_f32_e32 v19, v30
	v_cmp_ngt_f32_e64 s[8:9], s20, v6
	v_mov_b32_e32 v5, s3
	v_cndmask_b32_e64 v4, 0, v4, s[18:19]
	v_cndmask_b32_e64 v12, 0, v12, s[8:9]
	v_cmp_nlt_f32_e64 s[8:9], s21, v6
	v_mov_b32_e32 v6, s3
	v_cndmask_b32_e64 v5, v5, v21, s[14:15]
	v_cndmask_b32_e64 v30, v18, v12, s[8:9]
	v_ldexp_f32 v12, v13, v19
	v_mul_f32_e32 v13, 0x3fb8aa3b, v0
	v_fma_f32 v19, v0, s2, -v13
	v_rndne_f32_e32 v31, v13
	v_fmac_f32_e32 v19, 0x32a5705f, v0
	v_sub_f32_e32 v13, v13, v31
	v_add_f32_e32 v13, v13, v19
	v_exp_f32_e32 v13, v13
	v_cvt_i32_f32_e32 v19, v31
	v_cmp_ngt_f32_e64 s[8:9], s20, v7
	v_cndmask_b32_e64 v6, v6, v30, s[12:13]
	s_waitcnt vmcnt(0) lgkmcnt(0)
	ds_write_b128 v24, v[8:11]
	v_cndmask_b32_e64 v12, 0, v12, s[8:9]
	v_cmp_nlt_f32_e64 s[8:9], s21, v7
	v_mov_b32_e32 v7, s3
	v_cvt_pk_f16_f32 v24, v4, v5
	v_cndmask_b32_e64 v31, v18, v12, s[8:9]
	v_ldexp_f32 v12, v13, v19
	v_cmp_ngt_f32_e64 s[8:9], s20, v0
	v_cndmask_b32_e64 v7, v7, v31, s[10:11]
	s_nop 0
	v_cndmask_b32_e64 v19, 0, v12, s[8:9]
	v_lshl_add_u32 v12, s54, 5, v20
	v_ashrrev_i32_e32 v13, 31, v12
	v_lshl_add_u64 v[8:9], v[12:13], 2, s[22:23]
	v_lshl_add_u64 v[8:9], v[8:9], 0, v[16:17]
	v_cndmask_b32_e64 v9, v14, v9, s[0:1]
	v_cndmask_b32_e64 v8, v15, v8, s[0:1]
	flat_load_dwordx4 v[8:11], v[8:9]
	v_mul_f32_e32 v12, 0x3fb8aa3b, v1
	v_fma_f32 v13, v1, s2, -v12
	v_rndne_f32_e32 v14, v12
	v_fmac_f32_e32 v13, 0x32a5705f, v1
	v_sub_f32_e32 v12, v12, v14
	v_add_f32_e32 v12, v12, v13
	v_exp_f32_e32 v12, v12
	v_cvt_i32_f32_e32 v13, v14
	v_cmp_nlt_f32_e64 s[0:1], s21, v0
	v_mov_b32_e32 v0, s3
	v_ldexp_f32 v12, v12, v13
	v_mul_f32_e32 v13, 0x3fb8aa3b, v2
	v_fma_f32 v14, v2, s2, -v13
	v_rndne_f32_e32 v15, v13
	v_fmac_f32_e32 v14, 0x32a5705f, v2
	v_sub_f32_e32 v13, v13, v15
	v_add_f32_e32 v13, v13, v14
	v_exp_f32_e32 v13, v13
	v_cvt_i32_f32_e32 v14, v15
	v_cndmask_b32_e64 v19, v18, v19, s[0:1]
	v_cmp_ngt_f32_e64 s[0:1], s20, v1
	v_cndmask_b32_e64 v0, v0, v19, s[6:7]
	s_waitcnt vmcnt(0) lgkmcnt(0)
	ds_write_b128 v25, v[8:11]
	v_cndmask_b32_e64 v12, 0, v12, s[0:1]
	v_cmp_nlt_f32_e64 s[0:1], s21, v1
	s_waitcnt lgkmcnt(0)
	s_barrier
	v_cndmask_b32_e64 v32, v18, v12, s[0:1]
	v_ldexp_f32 v12, v13, v14
	v_cmp_ngt_f32_e64 s[0:1], s20, v2
	v_cvt_pk_f16_f32 v25, v6, v7
	s_nop 0
	v_cndmask_b32_e64 v12, 0, v12, s[0:1]
	v_cmp_nlt_f32_e64 s[0:1], s21, v2
	v_mov_b32_e32 v1, s3
	v_mov_b32_e32 v2, s3
	v_cndmask_b32_e64 v33, v18, v12, s[0:1]
	v_mul_f32_e32 v12, 0x3fb8aa3b, v3
	v_fma_f32 v13, v3, s2, -v12
	v_rndne_f32_e32 v14, v12
	v_fmac_f32_e32 v13, 0x32a5705f, v3
	v_sub_f32_e32 v12, v12, v14
	v_add_f32_e32 v12, v12, v13
	v_cvt_i32_f32_e32 v13, v14
	v_sub_f32_e32 v14, v23, v28
	v_mul_f32_e32 v15, 0x3fb8aa3b, v14
	v_fma_f32 v16, v14, s2, -v15
	v_rndne_f32_e32 v17, v15
	v_fmac_f32_e32 v16, 0x32a5705f, v14
	v_sub_f32_e32 v15, v15, v17
	v_exp_f32_e32 v12, v12
	v_add_f32_e32 v15, v15, v16
	v_exp_f32_e32 v15, v15
	v_cvt_i32_f32_e32 v16, v17
	v_ldexp_f32 v12, v12, v13
	v_cmp_ngt_f32_e64 s[0:1], s20, v3
	v_cndmask_b32_e64 v1, v1, v32, s[4:5]
	v_ldexp_f32 v13, v15, v16
	v_cndmask_b32_e64 v12, 0, v12, s[0:1]
	v_cmp_ngt_f32_e64 s[0:1], s20, v14
	v_or_b32_e32 v15, 2, v76
	v_mul_u32_u24_e32 v15, 0xd0, v15
	v_cndmask_b32_e64 v13, 0, v13, s[0:1]
	v_cmp_nlt_f32_e64 s[0:1], s21, v14
	v_or_b32_e32 v16, 3, v76
	v_mul_u32_u24_e32 v16, 0xd0, v16
	v_cndmask_b32_e64 v13, v18, v13, s[0:1]
	s_mov_b32 s0, 0xc1a00000
	v_cmp_le_f32_e64 s[0:1], s0, v14
	v_cndmask_b32_e64 v2, v2, v33, s[16:17]
	v_cvt_pk_f16_f32 v36, v0, v1
	v_cndmask_b32_e64 v23, 0, v13, s[0:1]
	v_cvt_f16_f32_e32 v13, v23
	v_cmp_nlt_f32_e64 s[0:1], s21, v3
	v_mov_b32_e32 v3, s3
	v_mul_u32_u24_e32 v39, 0x10001, v13
	v_cndmask_b32_e64 v38, v18, v12, s[0:1]
	s_movk_i32 s0, 0x1a0
	v_and_b32_e32 v13, 0xfc, v76
	v_mad_u32_u24 v8, v74, s0, 0
	v_pk_mul_f16 v12, v82, v39
	v_mul_u32_u24_e32 v13, 0xd0, v13
	v_add3_u32 v15, v8, v15, v75
	v_add3_u32 v17, v8, v13, v75
	;; [unrolled: 1-line block ×3, first 2 shown]
	v_cvt_f32_f16_e32 v8, v12
	v_cvt_f32_f16_sdwa v9, v12 dst_sel:DWORD dst_unused:UNUSED_PAD src0_sel:WORD_1
	s_mov_b32 s0, 0x5040100
	ds_read_u16 v11, v15
	ds_read_u16 v18, v15 offset:32
	ds_read_u16 v20, v15 offset:6656
	;; [unrolled: 1-line block ×7, first 2 shown]
	ds_read_u16 v12, v16
	ds_read_u16 v45, v16 offset:32
	ds_read_u16 v46, v16 offset:64
	;; [unrolled: 1-line block ×4, first 2 shown]
	s_waitcnt lgkmcnt(4)
	v_perm_b32 v13, v12, v11, s0
	ds_read_u16 v11, v17 offset:208
	ds_read_u16 v12, v17
	ds_read_u16 v49, v17 offset:32
	ds_read_u16 v50, v17 offset:240
	;; [unrolled: 1-line block ×6, first 2 shown]
	v_pk_mul_f16 v14, v81, v39
	s_waitcnt lgkmcnt(6)
	v_perm_b32 v12, v11, v12, s0
	v_cvt_f32_f16_e32 v10, v14
	v_cvt_f32_f16_sdwa v11, v14 dst_sel:DWORD dst_unused:UNUSED_PAD src0_sel:WORD_1
	v_pk_mul_f16 v14, v80, v39
	v_cndmask_b32_e32 v3, v3, v38, vcc
	v_mfma_f32_16x16x16_f16 v[6:9], v[12:13], v[24:25], v[8:11]
	v_cvt_pk_f16_f32 v37, v2, v3
	s_nop 6
	v_cvt_f16_f32_e32 v5, v6
	v_cvt_f16_f32_e32 v7, v7
	v_cvt_f16_f32_e32 v8, v8
	v_cvt_f16_f32_e32 v9, v9
	v_cvt_f32_f16_e32 v6, v5
	ds_read_u16 v5, v16 offset:6656
	ds_read_u16 v12, v16 offset:6688
	;; [unrolled: 1-line block ×7, first 2 shown]
	s_waitcnt lgkmcnt(6)
	v_perm_b32 v11, v5, v20, s0
	ds_read_u16 v5, v17 offset:6656
	ds_read_u16 v13, v17 offset:6688
	;; [unrolled: 1-line block ×12, first 2 shown]
	s_waitcnt lgkmcnt(6)
	v_perm_b32 v10, v10, v5, s0
	v_cvt_f32_f16_e32 v7, v7
	v_cvt_f32_f16_e32 v8, v8
	v_cvt_f32_f16_e32 v9, v9
	v_pk_mul_f16 v5, v79, v39
	s_nop 0
	v_mfma_f32_16x16x16_f16 v[0:3], v[10:11], v[36:37], v[6:9]
	v_perm_b32 v11, v45, v18, s0
	v_perm_b32 v10, v50, v49, s0
	s_nop 0
	v_cvt_f32_f16_e32 v6, v14
	v_cvt_f32_f16_sdwa v7, v14 dst_sel:DWORD dst_unused:UNUSED_PAD src0_sel:WORD_1
	v_cvt_f32_f16_e32 v8, v5
	v_cvt_f32_f16_sdwa v9, v5 dst_sel:DWORD dst_unused:UNUSED_PAD src0_sel:WORD_1
	ds_read_u16 v5, v17 offset:272
	ds_read_u16 v18, v17 offset:304
	;; [unrolled: 1-line block ×5, first 2 shown]
	v_mfma_f32_16x16x16_f16 v[6:9], v[10:11], v[24:25], v[6:9]
	v_perm_b32 v11, v12, v40, s0
	s_waitcnt lgkmcnt(10)
	v_perm_b32 v10, v62, v13, s0
	ds_read_u16 v16, v15 offset:6720
	ds_read_u16 v40, v15 offset:6752
	;; [unrolled: 1-line block ×3, first 2 shown]
	s_nop 1
	v_cvt_f16_f32_e32 v6, v6
	v_cvt_f16_f32_e32 v7, v7
	;; [unrolled: 1-line block ×4, first 2 shown]
	v_cvt_f32_f16_e32 v6, v6
	v_cvt_f32_f16_e32 v7, v7
	;; [unrolled: 1-line block ×4, first 2 shown]
	v_pk_mul_f16 v12, v78, v39
	v_pk_mul_f16 v13, v77, v39
	v_perm_b32 v15, v46, v41, s0
	s_waitcnt lgkmcnt(7)
	v_perm_b32 v14, v5, v51, s0
	v_mfma_f32_16x16x16_f16 v[6:9], v[10:11], v[36:37], v[6:9]
	v_cvt_f32_f16_e32 v10, v12
	v_cvt_f32_f16_sdwa v11, v12 dst_sel:DWORD dst_unused:UNUSED_PAD src0_sel:WORD_1
	v_cvt_f32_f16_e32 v12, v13
	v_cvt_f32_f16_sdwa v13, v13 dst_sel:DWORD dst_unused:UNUSED_PAD src0_sel:WORD_1
	v_add_f32_e32 v5, v21, v4
	v_cndmask_b32_e64 v17, v4, v5, s[14:15]
	v_mfma_f32_16x16x16_f16 v[10:13], v[14:15], v[24:25], v[10:13]
	v_add_f32_e32 v21, v17, v30
	v_pk_mul_f16 v15, v73, v39
	s_waitcnt lgkmcnt(0)
	v_cvt_f32_f16_e32 v14, v15
	s_nop 3
	v_cvt_f16_f32_e32 v4, v10
	v_cvt_f16_f32_e32 v5, v11
	;; [unrolled: 1-line block ×4, first 2 shown]
	v_cvt_f32_f16_e32 v10, v4
	v_cvt_f32_f16_e32 v11, v5
	v_perm_b32 v5, v55, v16, s0
	v_perm_b32 v4, v74, v20, s0
	v_cvt_f32_f16_e32 v12, v12
	v_cvt_f32_f16_e32 v13, v13
	v_cndmask_b32_e64 v20, v17, v21, s[12:13]
	v_pk_mul_f16 v17, v72, v39
	v_mfma_f32_16x16x16_f16 v[10:13], v[4:5], v[36:37], v[10:13]
	v_perm_b32 v5, v47, v42, s0
	v_perm_b32 v4, v18, v52, s0
	v_cvt_f32_f16_sdwa v15, v15 dst_sel:DWORD dst_unused:UNUSED_PAD src0_sel:WORD_1
	v_cvt_f32_f16_e32 v16, v17
	v_cvt_f32_f16_sdwa v17, v17 dst_sel:DWORD dst_unused:UNUSED_PAD src0_sel:WORD_1
	v_add_f32_e32 v18, v20, v31
	v_cndmask_b32_e64 v18, v20, v18, s[10:11]
	v_mfma_f32_16x16x16_f16 v[14:17], v[4:5], v[24:25], v[14:17]
	v_add_f32_e32 v19, v19, v18
	v_cndmask_b32_e64 v30, v18, v19, s[6:7]
	v_pk_mul_f16 v19, v71, v39
	v_pk_mul_f16 v21, v70, v39
	s_nop 3
	v_cvt_f16_f32_e32 v4, v14
	v_cvt_f16_f32_e32 v5, v15
	;; [unrolled: 1-line block ×4, first 2 shown]
	v_cvt_f32_f16_e32 v14, v4
	v_cvt_f32_f16_e32 v15, v5
	v_perm_b32 v5, v56, v40, s0
	v_perm_b32 v4, v75, v60, s0
	v_cvt_f32_f16_e32 v16, v16
	v_cvt_f32_f16_e32 v17, v17
	;; [unrolled: 1-line block ×3, first 2 shown]
	v_cvt_f32_f16_sdwa v19, v19 dst_sel:DWORD dst_unused:UNUSED_PAD src0_sel:WORD_1
	v_mfma_f32_16x16x16_f16 v[14:17], v[4:5], v[36:37], v[14:17]
	v_perm_b32 v5, v49, v43, s0
	v_perm_b32 v4, v45, v53, s0
	v_cvt_f32_f16_e32 v20, v21
	v_cvt_f32_f16_sdwa v21, v21 dst_sel:DWORD dst_unused:UNUSED_PAD src0_sel:WORD_1
	v_add_f32_e32 v31, v32, v30
	v_cndmask_b32_e64 v30, v30, v31, s[4:5]
	v_mfma_f32_16x16x16_f16 v[18:21], v[4:5], v[24:25], v[18:21]
	v_add_f32_e32 v31, v33, v30
	v_cndmask_b32_e64 v40, v30, v31, s[16:17]
	v_pk_mul_f16 v31, v69, v39
	v_pk_mul_f16 v33, v68, v39
	s_nop 3
	v_cvt_f16_f32_e32 v4, v18
	v_cvt_f16_f32_e32 v5, v19
	v_cvt_f16_f32_e32 v20, v20
	v_cvt_f16_f32_e32 v21, v21
	v_cvt_f32_f16_e32 v18, v4
	v_cvt_f32_f16_e32 v19, v5
	v_perm_b32 v5, v57, v62, s0
	v_perm_b32 v4, v76, v50, s0
	v_cvt_f32_f16_e32 v20, v20
	v_cvt_f32_f16_e32 v21, v21
	;; [unrolled: 1-line block ×3, first 2 shown]
	v_cvt_f32_f16_sdwa v31, v31 dst_sel:DWORD dst_unused:UNUSED_PAD src0_sel:WORD_1
	v_mfma_f32_16x16x16_f16 v[18:21], v[4:5], v[36:37], v[18:21]
	v_perm_b32 v5, v59, v44, s0
	v_perm_b32 v4, v61, v54, s0
	v_cvt_f32_f16_e32 v32, v33
	v_cvt_f32_f16_sdwa v33, v33 dst_sel:DWORD dst_unused:UNUSED_PAD src0_sel:WORD_1
	v_add_f32_e32 v38, v38, v40
	v_cndmask_b32_e32 v38, v40, v38, vcc
	v_mfma_f32_16x16x16_f16 v[30:33], v[4:5], v[24:25], v[30:33]
	v_fmac_f32_e32 v38, v63, v23
	ds_bpermute_b32 v39, v22, v38
	s_movk_i32 s4, 0xd0
	s_barrier
	s_nop 3
	v_cvt_f16_f32_e32 v4, v30
	v_cvt_f16_f32_e32 v5, v31
	;; [unrolled: 1-line block ×4, first 2 shown]
	v_cvt_f32_f16_e32 v30, v4
	v_cvt_f32_f16_e32 v31, v5
	v_perm_b32 v5, v58, v48, s0
	v_perm_b32 v4, v80, v81, s0
	v_cvt_f32_f16_e32 v32, v23
	v_cvt_f32_f16_e32 v33, v24
	v_cmp_gt_u32_e64 s[0:1], 16, v67
	s_waitcnt lgkmcnt(0)
	v_mfma_f32_16x16x16_f16 v[22:25], v[4:5], v[36:37], v[30:33]
	v_add_f32_e32 v4, v38, v39
	ds_bpermute_b32 v5, v29, v4
	s_and_saveexec_b64 s[2:3], s[0:1]
	s_cbranch_execz .LBB14_321
; %bb.320:
	s_waitcnt lgkmcnt(0)
	v_add_f32_e32 v4, v4, v5
	v_or_b32_e32 v5, v114, v67
	v_mad_u32_u24 v5, v5, s4, 0
	ds_write2_b32 v5, v28, v4 offset0:48 offset1:49
.LBB14_321:
	s_or_b64 exec, exec, s[2:3]
	v_and_b32_e32 v4, 1, v112
	v_cmp_eq_u32_e32 vcc, 0, v4
	v_cmp_eq_u32_e64 s[4:5], 1, v4
	s_waitcnt lgkmcnt(0)
	s_barrier
	s_and_saveexec_b64 s[2:3], s[4:5]
	s_xor_b64 s[2:3], exec, s[2:3]
	s_cbranch_execz .LBB14_323
; %bb.322:
	s_barrier
                                        ; implicit-def: $vgpr115
                                        ; implicit-def: $vgpr67
                                        ; implicit-def: $vgpr29
.LBB14_323:
	s_andn2_saveexec_b64 s[2:3], s[2:3]
	s_cbranch_execz .LBB14_329
; %bb.324:
	v_or_b32_e32 v5, v114, v34
	s_movk_i32 s4, 0xd0
	v_mad_u32_u24 v4, v5, s4, 0
	ds_read_b64 v[30:31], v4 offset:192
	s_mov_b32 s4, 0x3fb8aa3b
	s_mov_b32 s6, 0x42b17218
	s_waitcnt lgkmcnt(0)
	s_barrier
	ds_bpermute_b32 v4, v29, v30
	v_max_f32_e32 v28, v30, v30
	s_waitcnt lgkmcnt(0)
	v_max_f32_e32 v4, v4, v4
	v_max_f32_e32 v4, v28, v4
	v_sub_f32_e32 v28, v30, v4
	v_mul_f32_e32 v30, 0x3fb8aa3b, v28
	v_fma_f32 v32, v28, s4, -v30
	v_rndne_f32_e32 v33, v30
	v_fmamk_f32 v32, v28, 0x32a5705f, v32
	v_sub_f32_e32 v30, v30, v33
	v_add_f32_e32 v30, v30, v32
	v_cvt_i32_f32_e32 v33, v33
	v_exp_f32_e32 v30, v30
	s_mov_b32 s4, 0xc2ce8ed0
	v_cmp_ngt_f32_e64 s[4:5], s4, v28
	v_mov_b32_e32 v32, 0x7f800000
	v_ldexp_f32 v30, v30, v33
	v_cndmask_b32_e64 v30, 0, v30, s[4:5]
	v_cmp_nlt_f32_e64 s[4:5], s6, v28
	s_nop 1
	v_cndmask_b32_e64 v28, v32, v30, s[4:5]
	v_mul_f32_e32 v30, v31, v28
	ds_bpermute_b32 v29, v29, v30
	v_cmp_gt_u32_e64 s[4:5], 32, v67
	s_waitcnt lgkmcnt(0)
	v_fmac_f32_e32 v29, v31, v28
	s_and_saveexec_b64 s[6:7], s[4:5]
; %bb.325:
	v_mul_u32_u24_e32 v5, 0xd0, v5
	v_add_u32_e32 v5, 0, v5
	ds_write_b64 v5, v[28:29] offset:192
; %bb.326:
	s_or_b64 exec, exec, s[6:7]
	s_and_saveexec_b64 s[4:5], s[0:1]
	s_cbranch_execz .LBB14_328
; %bb.327:
	s_add_i32 s0, s52, s53
	s_lshl_b32 s0, s0, 5
	s_mov_b32 s1, 0
	s_lshl_b64 s[0:1], s[0:1], 3
	s_add_u32 s0, s70, s0
	v_or_b32_e32 v5, v115, v67
	s_addc_u32 s1, s71, s1
	v_lshlrev_b32_e32 v28, 3, v5
	v_mov_b32_e32 v5, v29
	global_store_dwordx2 v28, v[4:5], s[0:1]
.LBB14_328:
	s_or_b64 exec, exec, s[4:5]
.LBB14_329:
	s_or_b64 exec, exec, s[2:3]
	v_cvt_pk_f16_f32 v4, v12, v13
	v_or_b32_e32 v12, v114, v26
	v_mul_u32_u24_e32 v12, 0xd0, v12
	v_cvt_pk_f16_f32 v2, v2, v3
	v_cvt_pk_f16_f32 v0, v0, v1
	s_movk_i32 s4, 0xd0
	s_mov_b32 s3, 0
	v_add3_u32 v12, 0, v12, v27
	v_cvt_pk_f16_f32 v1, v8, v9
	v_cvt_pk_f16_f32 v3, v6, v7
	;; [unrolled: 1-line block ×9, first 2 shown]
	ds_write2_b32 v12, v0, v2 offset1:1
	ds_write2_b32 v12, v3, v1 offset0:8 offset1:9
	ds_write2_b32 v12, v5, v4 offset0:16 offset1:17
	;; [unrolled: 1-line block ×5, first 2 shown]
	s_waitcnt lgkmcnt(0)
	s_barrier
	s_and_saveexec_b64 s[0:1], vcc
	s_cbranch_execz .LBB14_331
; %bb.330:
	s_mul_i32 s2, s53, 0x600
	s_lshl_b64 s[6:7], s[2:3], 3
	s_add_u32 s5, s70, s6
	s_addc_u32 s6, s71, s7
	s_lshl_b32 s2, s52, 6
	s_lshl_b64 s[2:3], s[2:3], 3
	v_add_u32_e32 v8, v113, v112
	s_add_u32 s2, s5, s2
	v_lshlrev_b32_e32 v9, 1, v8
	v_and_b32_e32 v10, 15, v8
	s_movk_i32 s5, 0xfe0
	v_and_or_b32 v2, v9, s5, v10
	v_mad_u32_u24 v0, v2, s4, v64
	ds_read2st64_b32 v[0:1], v0 offset1:13
	v_mad_u32_u24 v2, v2, s4, 0
	v_add_u32_e32 v2, 0xc0, v2
	ds_read2st64_b32 v[2:3], v2 offset1:13
	s_movk_i32 s5, 0x1fe0
	s_waitcnt lgkmcnt(1)
	v_cvt_f32_f16_e32 v4, v0
	v_cvt_f32_f16_sdwa v5, v0 dst_sel:DWORD dst_unused:UNUSED_PAD src0_sel:WORD_1
	v_cvt_f32_f16_e32 v0, v1
	v_cvt_f32_f16_sdwa v1, v1 dst_sel:DWORD dst_unused:UNUSED_PAD src0_sel:WORD_1
	v_mul_u32_u24_e32 v6, 48, v8
	s_waitcnt lgkmcnt(0)
	v_pk_fma_f32 v[4:5], v[2:3], v[4:5], 0 op_sel_hi:[0,1,0]
	v_mov_b32_e32 v2, v3
	v_pk_fma_f32 v[0:1], v[2:3], v[0:1], v[4:5] op_sel_hi:[0,1,1]
	v_add_u32_e32 v2, 4, v8
	v_lshlrev_b32_e32 v3, 1, v2
	v_and_b32_e32 v2, 15, v2
	v_and_or_b32 v4, v3, s5, v2
	v_mad_u32_u24 v2, v4, s4, v64
	ds_read2st64_b32 v[2:3], v2 offset1:13
	v_mad_u32_u24 v4, v4, s4, 0
	v_add_u32_e32 v4, 0xc0, v4
	ds_read2st64_b32 v[4:5], v4 offset1:13
	v_add_lshl_u32 v11, v6, v34, 3
	s_waitcnt lgkmcnt(1)
	v_cvt_f32_f16_e32 v6, v2
	v_cvt_f32_f16_sdwa v7, v2 dst_sel:DWORD dst_unused:UNUSED_PAD src0_sel:WORD_1
	v_cvt_f32_f16_e32 v2, v3
	v_cvt_f32_f16_sdwa v3, v3 dst_sel:DWORD dst_unused:UNUSED_PAD src0_sel:WORD_1
	s_addc_u32 s3, s6, s3
	global_store_dwordx2 v11, v[0:1], s[2:3]
	s_waitcnt lgkmcnt(0)
	v_pk_fma_f32 v[0:1], v[4:5], v[6:7], 0 op_sel_hi:[0,1,0]
	v_mov_b32_e32 v4, v5
	v_pk_fma_f32 v[0:1], v[4:5], v[2:3], v[0:1] op_sel_hi:[0,1,1]
	v_add_u32_e32 v2, 8, v8
	v_lshlrev_b32_e32 v3, 1, v2
	v_and_b32_e32 v2, 15, v2
	v_and_or_b32 v4, v3, s5, v2
	v_mad_u32_u24 v2, v4, s4, v64
	ds_read2st64_b32 v[2:3], v2 offset1:13
	global_store_dwordx2 v11, v[0:1], s[2:3] offset:1536
	v_mad_u32_u24 v0, v4, s4, 0
	v_add_u32_e32 v0, 0xc0, v0
	ds_read2st64_b32 v[0:1], v0 offset1:13
	s_waitcnt lgkmcnt(1)
	v_cvt_f32_f16_e32 v4, v2
	v_cvt_f32_f16_sdwa v5, v2 dst_sel:DWORD dst_unused:UNUSED_PAD src0_sel:WORD_1
	v_cvt_f32_f16_e32 v2, v3
	v_cvt_f32_f16_sdwa v3, v3 dst_sel:DWORD dst_unused:UNUSED_PAD src0_sel:WORD_1
	v_add_u32_e32 v6, 0xc00, v11
	s_waitcnt lgkmcnt(0)
	v_pk_fma_f32 v[4:5], v[0:1], v[4:5], 0 op_sel_hi:[0,1,0]
	v_mov_b32_e32 v0, v1
	v_pk_fma_f32 v[0:1], v[0:1], v[2:3], v[4:5] op_sel_hi:[0,1,1]
	v_add_u32_e32 v2, 12, v8
	v_lshlrev_b32_e32 v3, 1, v2
	v_and_b32_e32 v2, 15, v2
	v_and_or_b32 v4, v3, s5, v2
	v_mad_u32_u24 v2, v4, s4, v64
	ds_read2st64_b32 v[2:3], v2 offset1:13
	global_store_dwordx2 v6, v[0:1], s[2:3]
	v_mad_u32_u24 v0, v4, s4, 0
	v_add_u32_e32 v0, 0xc0, v0
	ds_read2st64_b32 v[0:1], v0 offset1:13
	s_waitcnt lgkmcnt(1)
	v_cvt_f32_f16_e32 v4, v2
	v_cvt_f32_f16_sdwa v5, v2 dst_sel:DWORD dst_unused:UNUSED_PAD src0_sel:WORD_1
	v_cvt_f32_f16_e32 v2, v3
	v_cvt_f32_f16_sdwa v3, v3 dst_sel:DWORD dst_unused:UNUSED_PAD src0_sel:WORD_1
	v_add_u32_e32 v6, 0x1200, v11
	s_waitcnt lgkmcnt(0)
	v_pk_fma_f32 v[4:5], v[0:1], v[4:5], 0 op_sel_hi:[0,1,0]
	v_mov_b32_e32 v0, v1
	v_pk_fma_f32 v[0:1], v[0:1], v[2:3], v[4:5] op_sel_hi:[0,1,1]
	v_add_u32_e32 v2, 32, v9
	v_and_or_b32 v4, v2, s5, v10
	v_mad_u32_u24 v2, v4, s4, v64
	ds_read2st64_b32 v[2:3], v2 offset1:13
	global_store_dwordx2 v6, v[0:1], s[2:3]
	v_mad_u32_u24 v0, v4, s4, 0
	v_add_u32_e32 v0, 0xc0, v0
	ds_read2st64_b32 v[0:1], v0 offset1:13
	s_waitcnt lgkmcnt(1)
	v_cvt_f32_f16_e32 v4, v2
	v_cvt_f32_f16_sdwa v5, v2 dst_sel:DWORD dst_unused:UNUSED_PAD src0_sel:WORD_1
	v_cvt_f32_f16_e32 v2, v3
	v_cvt_f32_f16_sdwa v3, v3 dst_sel:DWORD dst_unused:UNUSED_PAD src0_sel:WORD_1
	v_add_u32_e32 v6, 0x1800, v11
	s_waitcnt lgkmcnt(0)
	v_pk_fma_f32 v[4:5], v[0:1], v[4:5], 0 op_sel_hi:[0,1,0]
	v_mov_b32_e32 v0, v1
	v_pk_fma_f32 v[0:1], v[0:1], v[2:3], v[4:5] op_sel_hi:[0,1,1]
	v_add_u32_e32 v2, 20, v8
	v_lshlrev_b32_e32 v3, 1, v2
	v_and_b32_e32 v2, 15, v2
	v_and_or_b32 v4, v3, s5, v2
	v_mad_u32_u24 v2, v4, s4, v64
	ds_read2st64_b32 v[2:3], v2 offset1:13
	global_store_dwordx2 v6, v[0:1], s[2:3]
	v_mad_u32_u24 v0, v4, s4, 0
	v_add_u32_e32 v0, 0xc0, v0
	ds_read2st64_b32 v[0:1], v0 offset1:13
	s_waitcnt lgkmcnt(1)
	v_cvt_f32_f16_e32 v4, v2
	v_cvt_f32_f16_sdwa v5, v2 dst_sel:DWORD dst_unused:UNUSED_PAD src0_sel:WORD_1
	v_cvt_f32_f16_e32 v2, v3
	v_cvt_f32_f16_sdwa v3, v3 dst_sel:DWORD dst_unused:UNUSED_PAD src0_sel:WORD_1
	v_add_u32_e32 v6, 0x1e00, v11
	s_waitcnt lgkmcnt(0)
	v_pk_fma_f32 v[4:5], v[0:1], v[4:5], 0 op_sel_hi:[0,1,0]
	v_mov_b32_e32 v0, v1
	v_pk_fma_f32 v[0:1], v[0:1], v[2:3], v[4:5] op_sel_hi:[0,1,1]
	v_add_u32_e32 v2, 24, v8
	v_lshlrev_b32_e32 v3, 1, v2
	v_and_b32_e32 v2, 15, v2
	;; [unrolled: 20-line block ×3, first 2 shown]
	v_and_or_b32 v4, v3, s5, v2
	v_mad_u32_u24 v2, v4, s4, v64
	ds_read2st64_b32 v[2:3], v2 offset1:13
	global_store_dwordx2 v6, v[0:1], s[2:3]
	v_mad_u32_u24 v0, v4, s4, 0
	v_add_u32_e32 v0, 0xc0, v0
	ds_read2st64_b32 v[0:1], v0 offset1:13
	s_waitcnt lgkmcnt(1)
	v_cvt_f32_f16_e32 v4, v2
	v_cvt_f32_f16_sdwa v5, v2 dst_sel:DWORD dst_unused:UNUSED_PAD src0_sel:WORD_1
	v_cvt_f32_f16_e32 v2, v3
	v_cvt_f32_f16_sdwa v3, v3 dst_sel:DWORD dst_unused:UNUSED_PAD src0_sel:WORD_1
	v_add_u32_e32 v6, 0x2a00, v11
	s_waitcnt lgkmcnt(0)
	v_pk_fma_f32 v[4:5], v[0:1], v[4:5], 0 op_sel_hi:[0,1,0]
	v_mov_b32_e32 v0, v1
	v_pk_fma_f32 v[0:1], v[0:1], v[2:3], v[4:5] op_sel_hi:[0,1,1]
	global_store_dwordx2 v6, v[0:1], s[2:3]
	v_add_u32_e32 v6, v35, v66
	v_lshlrev_b32_e32 v7, 1, v6
	v_and_b32_e32 v8, 15, v6
	v_and_or_b32 v2, v7, s5, v8
	v_mad_u32_u24 v0, v2, s4, v65
	v_add_u32_e32 v0, 0x80, v0
	ds_read2st64_b32 v[0:1], v0 offset1:13
	v_mad_u32_u24 v2, v2, s4, 0
	v_add_u32_e32 v2, 0xc0, v2
	ds_read2st64_b32 v[2:3], v2 offset1:13
	s_movk_i32 s5, 0x3fe0
	s_waitcnt lgkmcnt(1)
	v_cvt_f32_f16_e32 v4, v0
	v_cvt_f32_f16_sdwa v5, v0 dst_sel:DWORD dst_unused:UNUSED_PAD src0_sel:WORD_1
	v_cvt_f32_f16_e32 v0, v1
	v_cvt_f32_f16_sdwa v1, v1 dst_sel:DWORD dst_unused:UNUSED_PAD src0_sel:WORD_1
	v_mul_u32_u24_e32 v9, 48, v6
	s_waitcnt lgkmcnt(0)
	v_pk_fma_f32 v[4:5], v[2:3], v[4:5], 0 op_sel_hi:[0,1,0]
	v_mov_b32_e32 v2, v3
	v_pk_fma_f32 v[0:1], v[2:3], v[0:1], v[4:5] op_sel_hi:[0,1,1]
	v_add_u32_e32 v2, 8, v6
	v_lshlrev_b32_e32 v3, 1, v2
	v_and_b32_e32 v2, 15, v2
	v_and_or_b32 v4, v3, s5, v2
	v_mad_u32_u24 v2, v4, s4, v65
	v_add_u32_e32 v2, 0x80, v2
	v_or_b32_e32 v9, v9, v26
	ds_read2st64_b32 v[2:3], v2 offset1:13
	v_lshlrev_b32_e32 v9, 3, v9
	global_store_dwordx2 v9, v[0:1], s[2:3] offset:256
	v_mad_u32_u24 v0, v4, s4, 0
	v_add_u32_e32 v0, 0xc0, v0
	ds_read2st64_b32 v[0:1], v0 offset1:13
	s_waitcnt lgkmcnt(1)
	v_cvt_f32_f16_e32 v4, v2
	v_cvt_f32_f16_sdwa v5, v2 dst_sel:DWORD dst_unused:UNUSED_PAD src0_sel:WORD_1
	v_cvt_f32_f16_e32 v2, v3
	v_cvt_f32_f16_sdwa v3, v3 dst_sel:DWORD dst_unused:UNUSED_PAD src0_sel:WORD_1
	v_add_u32_e32 v10, 0xc00, v9
	s_waitcnt lgkmcnt(0)
	v_pk_fma_f32 v[4:5], v[0:1], v[4:5], 0 op_sel_hi:[0,1,0]
	v_mov_b32_e32 v0, v1
	v_pk_fma_f32 v[0:1], v[0:1], v[2:3], v[4:5] op_sel_hi:[0,1,1]
	v_add_u32_e32 v2, 32, v7
	v_and_or_b32 v4, v2, s5, v8
	v_mad_u32_u24 v2, v4, s4, v65
	v_add_u32_e32 v2, 0x80, v2
	ds_read2st64_b32 v[2:3], v2 offset1:13
	global_store_dwordx2 v10, v[0:1], s[2:3] offset:256
	v_mad_u32_u24 v0, v4, s4, 0
	v_add_u32_e32 v0, 0xc0, v0
	ds_read2st64_b32 v[0:1], v0 offset1:13
	s_waitcnt lgkmcnt(1)
	v_cvt_f32_f16_e32 v4, v2
	v_cvt_f32_f16_sdwa v5, v2 dst_sel:DWORD dst_unused:UNUSED_PAD src0_sel:WORD_1
	v_cvt_f32_f16_e32 v2, v3
	v_cvt_f32_f16_sdwa v3, v3 dst_sel:DWORD dst_unused:UNUSED_PAD src0_sel:WORD_1
	v_add_u32_e32 v7, 0x1800, v9
	s_waitcnt lgkmcnt(0)
	v_pk_fma_f32 v[4:5], v[0:1], v[4:5], 0 op_sel_hi:[0,1,0]
	v_mov_b32_e32 v0, v1
	v_pk_fma_f32 v[0:1], v[0:1], v[2:3], v[4:5] op_sel_hi:[0,1,1]
	v_add_u32_e32 v2, 24, v6
	v_lshlrev_b32_e32 v3, 1, v2
	v_and_b32_e32 v2, 15, v2
	v_and_or_b32 v4, v3, s5, v2
	v_mad_u32_u24 v2, v4, s4, v65
	v_add_u32_e32 v2, 0x80, v2
	ds_read2st64_b32 v[2:3], v2 offset1:13
	global_store_dwordx2 v7, v[0:1], s[2:3] offset:256
	v_mad_u32_u24 v0, v4, s4, 0
	v_add_u32_e32 v0, 0xc0, v0
	ds_read2st64_b32 v[0:1], v0 offset1:13
	s_waitcnt lgkmcnt(1)
	v_cvt_f32_f16_e32 v4, v2
	v_cvt_f32_f16_sdwa v5, v2 dst_sel:DWORD dst_unused:UNUSED_PAD src0_sel:WORD_1
	v_cvt_f32_f16_e32 v2, v3
	v_cvt_f32_f16_sdwa v3, v3 dst_sel:DWORD dst_unused:UNUSED_PAD src0_sel:WORD_1
	v_add_u32_e32 v6, 0x2400, v9
	s_waitcnt lgkmcnt(0)
	v_pk_fma_f32 v[4:5], v[0:1], v[4:5], 0 op_sel_hi:[0,1,0]
	v_mov_b32_e32 v0, v1
	v_pk_fma_f32 v[0:1], v[0:1], v[2:3], v[4:5] op_sel_hi:[0,1,1]
	global_store_dwordx2 v6, v[0:1], s[2:3] offset:256
.LBB14_331:
	s_or_b64 exec, exec, s[0:1]
	s_barrier
	s_endpgm
.LBB14_332:
                                        ; implicit-def: $vgpr4_vgpr5_vgpr6_vgpr7
                                        ; implicit-def: $vgpr0_vgpr1_vgpr2_vgpr3
                                        ; implicit-def: $vgpr29
                                        ; implicit-def: $vgpr28
	v_add_u32_e32 v30, 0x80, v19
	v_add_u32_e32 v25, 0x1a00, v24
	s_branch .LBB14_318
	.section	.rodata,"a",@progbits
	.p2align	6, 0x0
	.amdhsa_kernel _ZL18flash_attn_ext_f16ILi96ELi96ELi32ELi1ELb0ELb0EEvPKcS1_S1_S1_S1_PKiPfP15HIP_vector_typeIfLj2EEffffjfiS5_IjLj3EEiiiiiiiiiiiliiliiiiil
		.amdhsa_group_segment_fixed_size 0
		.amdhsa_private_segment_fixed_size 32
		.amdhsa_kernarg_size 464
		.amdhsa_user_sgpr_count 2
		.amdhsa_user_sgpr_dispatch_ptr 0
		.amdhsa_user_sgpr_queue_ptr 0
		.amdhsa_user_sgpr_kernarg_segment_ptr 1
		.amdhsa_user_sgpr_dispatch_id 0
		.amdhsa_user_sgpr_kernarg_preload_length 0
		.amdhsa_user_sgpr_kernarg_preload_offset 0
		.amdhsa_user_sgpr_private_segment_size 0
		.amdhsa_uses_dynamic_stack 0
		.amdhsa_enable_private_segment 1
		.amdhsa_system_sgpr_workgroup_id_x 1
		.amdhsa_system_sgpr_workgroup_id_y 0
		.amdhsa_system_sgpr_workgroup_id_z 0
		.amdhsa_system_sgpr_workgroup_info 0
		.amdhsa_system_vgpr_workitem_id 1
		.amdhsa_next_free_vgpr 216
		.amdhsa_next_free_sgpr 100
		.amdhsa_accum_offset 216
		.amdhsa_reserve_vcc 1
		.amdhsa_float_round_mode_32 0
		.amdhsa_float_round_mode_16_64 0
		.amdhsa_float_denorm_mode_32 3
		.amdhsa_float_denorm_mode_16_64 3
		.amdhsa_dx10_clamp 1
		.amdhsa_ieee_mode 1
		.amdhsa_fp16_overflow 0
		.amdhsa_tg_split 0
		.amdhsa_exception_fp_ieee_invalid_op 0
		.amdhsa_exception_fp_denorm_src 0
		.amdhsa_exception_fp_ieee_div_zero 0
		.amdhsa_exception_fp_ieee_overflow 0
		.amdhsa_exception_fp_ieee_underflow 0
		.amdhsa_exception_fp_ieee_inexact 0
		.amdhsa_exception_int_div_zero 0
	.end_amdhsa_kernel
	.section	.text._ZL18flash_attn_ext_f16ILi96ELi96ELi32ELi1ELb0ELb0EEvPKcS1_S1_S1_S1_PKiPfP15HIP_vector_typeIfLj2EEffffjfiS5_IjLj3EEiiiiiiiiiiiliiliiiiil,"axG",@progbits,_ZL18flash_attn_ext_f16ILi96ELi96ELi32ELi1ELb0ELb0EEvPKcS1_S1_S1_S1_PKiPfP15HIP_vector_typeIfLj2EEffffjfiS5_IjLj3EEiiiiiiiiiiiliiliiiiil,comdat
.Lfunc_end14:
	.size	_ZL18flash_attn_ext_f16ILi96ELi96ELi32ELi1ELb0ELb0EEvPKcS1_S1_S1_S1_PKiPfP15HIP_vector_typeIfLj2EEffffjfiS5_IjLj3EEiiiiiiiiiiiliiliiiiil, .Lfunc_end14-_ZL18flash_attn_ext_f16ILi96ELi96ELi32ELi1ELb0ELb0EEvPKcS1_S1_S1_S1_PKiPfP15HIP_vector_typeIfLj2EEffffjfiS5_IjLj3EEiiiiiiiiiiiliiliiiiil
                                        ; -- End function
	.set _ZL18flash_attn_ext_f16ILi96ELi96ELi32ELi1ELb0ELb0EEvPKcS1_S1_S1_S1_PKiPfP15HIP_vector_typeIfLj2EEffffjfiS5_IjLj3EEiiiiiiiiiiiliiliiiiil.num_vgpr, 216
	.set _ZL18flash_attn_ext_f16ILi96ELi96ELi32ELi1ELb0ELb0EEvPKcS1_S1_S1_S1_PKiPfP15HIP_vector_typeIfLj2EEffffjfiS5_IjLj3EEiiiiiiiiiiiliiliiiiil.num_agpr, 0
	.set _ZL18flash_attn_ext_f16ILi96ELi96ELi32ELi1ELb0ELb0EEvPKcS1_S1_S1_S1_PKiPfP15HIP_vector_typeIfLj2EEffffjfiS5_IjLj3EEiiiiiiiiiiiliiliiiiil.numbered_sgpr, 100
	.set _ZL18flash_attn_ext_f16ILi96ELi96ELi32ELi1ELb0ELb0EEvPKcS1_S1_S1_S1_PKiPfP15HIP_vector_typeIfLj2EEffffjfiS5_IjLj3EEiiiiiiiiiiiliiliiiiil.num_named_barrier, 0
	.set _ZL18flash_attn_ext_f16ILi96ELi96ELi32ELi1ELb0ELb0EEvPKcS1_S1_S1_S1_PKiPfP15HIP_vector_typeIfLj2EEffffjfiS5_IjLj3EEiiiiiiiiiiiliiliiiiil.private_seg_size, 32
	.set _ZL18flash_attn_ext_f16ILi96ELi96ELi32ELi1ELb0ELb0EEvPKcS1_S1_S1_S1_PKiPfP15HIP_vector_typeIfLj2EEffffjfiS5_IjLj3EEiiiiiiiiiiiliiliiiiil.uses_vcc, 1
	.set _ZL18flash_attn_ext_f16ILi96ELi96ELi32ELi1ELb0ELb0EEvPKcS1_S1_S1_S1_PKiPfP15HIP_vector_typeIfLj2EEffffjfiS5_IjLj3EEiiiiiiiiiiiliiliiiiil.uses_flat_scratch, 0
	.set _ZL18flash_attn_ext_f16ILi96ELi96ELi32ELi1ELb0ELb0EEvPKcS1_S1_S1_S1_PKiPfP15HIP_vector_typeIfLj2EEffffjfiS5_IjLj3EEiiiiiiiiiiiliiliiiiil.has_dyn_sized_stack, 0
	.set _ZL18flash_attn_ext_f16ILi96ELi96ELi32ELi1ELb0ELb0EEvPKcS1_S1_S1_S1_PKiPfP15HIP_vector_typeIfLj2EEffffjfiS5_IjLj3EEiiiiiiiiiiiliiliiiiil.has_recursion, 0
	.set _ZL18flash_attn_ext_f16ILi96ELi96ELi32ELi1ELb0ELb0EEvPKcS1_S1_S1_S1_PKiPfP15HIP_vector_typeIfLj2EEffffjfiS5_IjLj3EEiiiiiiiiiiiliiliiiiil.has_indirect_call, 0
	.section	.AMDGPU.csdata,"",@progbits
; Kernel info:
; codeLenInByte = 47324
; TotalNumSgprs: 106
; NumVgprs: 216
; NumAgprs: 0
; TotalNumVgprs: 216
; ScratchSize: 32
; MemoryBound: 0
; FloatMode: 240
; IeeeMode: 1
; LDSByteSize: 0 bytes/workgroup (compile time only)
; SGPRBlocks: 13
; VGPRBlocks: 26
; NumSGPRsForWavesPerEU: 106
; NumVGPRsForWavesPerEU: 216
; AccumOffset: 216
; Occupancy: 2
; WaveLimiterHint : 1
; COMPUTE_PGM_RSRC2:SCRATCH_EN: 1
; COMPUTE_PGM_RSRC2:USER_SGPR: 2
; COMPUTE_PGM_RSRC2:TRAP_HANDLER: 0
; COMPUTE_PGM_RSRC2:TGID_X_EN: 1
; COMPUTE_PGM_RSRC2:TGID_Y_EN: 0
; COMPUTE_PGM_RSRC2:TGID_Z_EN: 0
; COMPUTE_PGM_RSRC2:TIDIG_COMP_CNT: 1
; COMPUTE_PGM_RSRC3_GFX90A:ACCUM_OFFSET: 53
; COMPUTE_PGM_RSRC3_GFX90A:TG_SPLIT: 0
	.section	.text._ZL18flash_attn_ext_f16ILi96ELi96ELi32ELi1ELb1ELb0EEvPKcS1_S1_S1_S1_PKiPfP15HIP_vector_typeIfLj2EEffffjfiS5_IjLj3EEiiiiiiiiiiiliiliiiiil,"axG",@progbits,_ZL18flash_attn_ext_f16ILi96ELi96ELi32ELi1ELb1ELb0EEvPKcS1_S1_S1_S1_PKiPfP15HIP_vector_typeIfLj2EEffffjfiS5_IjLj3EEiiiiiiiiiiiliiliiiiil,comdat
	.globl	_ZL18flash_attn_ext_f16ILi96ELi96ELi32ELi1ELb1ELb0EEvPKcS1_S1_S1_S1_PKiPfP15HIP_vector_typeIfLj2EEffffjfiS5_IjLj3EEiiiiiiiiiiiliiliiiiil ; -- Begin function _ZL18flash_attn_ext_f16ILi96ELi96ELi32ELi1ELb1ELb0EEvPKcS1_S1_S1_S1_PKiPfP15HIP_vector_typeIfLj2EEffffjfiS5_IjLj3EEiiiiiiiiiiiliiliiiiil
	.p2align	8
	.type	_ZL18flash_attn_ext_f16ILi96ELi96ELi32ELi1ELb1ELb0EEvPKcS1_S1_S1_S1_PKiPfP15HIP_vector_typeIfLj2EEffffjfiS5_IjLj3EEiiiiiiiiiiiliiliiiiil,@function
_ZL18flash_attn_ext_f16ILi96ELi96ELi32ELi1ELb1ELb0EEvPKcS1_S1_S1_S1_PKiPfP15HIP_vector_typeIfLj2EEffffjfiS5_IjLj3EEiiiiiiiiiiiliiliiiiil: ; @_ZL18flash_attn_ext_f16ILi96ELi96ELi32ELi1ELb1ELb0EEvPKcS1_S1_S1_S1_PKiPfP15HIP_vector_typeIfLj2EEffffjfiS5_IjLj3EEiiiiiiiiiiiliiliiiiil
; %bb.0:
	s_add_u32 s8, s0, 0xd0
	s_addc_u32 s9, s1, 0
	s_getpc_b64 s[0:1]
	s_add_u32 s0, s0, _ZL14no_device_codePKciS0_iS0_@rel32@lo+4
	s_addc_u32 s1, s1, _ZL14no_device_codePKciS0_iS0_@rel32@hi+12
	s_mov_b32 s32, 0
	s_swappc_b64 s[30:31], s[0:1]
	.section	.rodata,"a",@progbits
	.p2align	6, 0x0
	.amdhsa_kernel _ZL18flash_attn_ext_f16ILi96ELi96ELi32ELi1ELb1ELb0EEvPKcS1_S1_S1_S1_PKiPfP15HIP_vector_typeIfLj2EEffffjfiS5_IjLj3EEiiiiiiiiiiiliiliiiiil
		.amdhsa_group_segment_fixed_size 0
		.amdhsa_private_segment_fixed_size 16
		.amdhsa_kernarg_size 464
		.amdhsa_user_sgpr_count 2
		.amdhsa_user_sgpr_dispatch_ptr 0
		.amdhsa_user_sgpr_queue_ptr 0
		.amdhsa_user_sgpr_kernarg_segment_ptr 1
		.amdhsa_user_sgpr_dispatch_id 0
		.amdhsa_user_sgpr_kernarg_preload_length 0
		.amdhsa_user_sgpr_kernarg_preload_offset 0
		.amdhsa_user_sgpr_private_segment_size 0
		.amdhsa_uses_dynamic_stack 0
		.amdhsa_enable_private_segment 1
		.amdhsa_system_sgpr_workgroup_id_x 1
		.amdhsa_system_sgpr_workgroup_id_y 0
		.amdhsa_system_sgpr_workgroup_id_z 0
		.amdhsa_system_sgpr_workgroup_info 0
		.amdhsa_system_vgpr_workitem_id 0
		.amdhsa_next_free_vgpr 50
		.amdhsa_next_free_sgpr 34
		.amdhsa_accum_offset 52
		.amdhsa_reserve_vcc 1
		.amdhsa_float_round_mode_32 0
		.amdhsa_float_round_mode_16_64 0
		.amdhsa_float_denorm_mode_32 3
		.amdhsa_float_denorm_mode_16_64 3
		.amdhsa_dx10_clamp 1
		.amdhsa_ieee_mode 1
		.amdhsa_fp16_overflow 0
		.amdhsa_tg_split 0
		.amdhsa_exception_fp_ieee_invalid_op 0
		.amdhsa_exception_fp_denorm_src 0
		.amdhsa_exception_fp_ieee_div_zero 0
		.amdhsa_exception_fp_ieee_overflow 0
		.amdhsa_exception_fp_ieee_underflow 0
		.amdhsa_exception_fp_ieee_inexact 0
		.amdhsa_exception_int_div_zero 0
	.end_amdhsa_kernel
	.section	.text._ZL18flash_attn_ext_f16ILi96ELi96ELi32ELi1ELb1ELb0EEvPKcS1_S1_S1_S1_PKiPfP15HIP_vector_typeIfLj2EEffffjfiS5_IjLj3EEiiiiiiiiiiiliiliiiiil,"axG",@progbits,_ZL18flash_attn_ext_f16ILi96ELi96ELi32ELi1ELb1ELb0EEvPKcS1_S1_S1_S1_PKiPfP15HIP_vector_typeIfLj2EEffffjfiS5_IjLj3EEiiiiiiiiiiiliiliiiiil,comdat
.Lfunc_end15:
	.size	_ZL18flash_attn_ext_f16ILi96ELi96ELi32ELi1ELb1ELb0EEvPKcS1_S1_S1_S1_PKiPfP15HIP_vector_typeIfLj2EEffffjfiS5_IjLj3EEiiiiiiiiiiiliiliiiiil, .Lfunc_end15-_ZL18flash_attn_ext_f16ILi96ELi96ELi32ELi1ELb1ELb0EEvPKcS1_S1_S1_S1_PKiPfP15HIP_vector_typeIfLj2EEffffjfiS5_IjLj3EEiiiiiiiiiiiliiliiiiil
                                        ; -- End function
	.set _ZL18flash_attn_ext_f16ILi96ELi96ELi32ELi1ELb1ELb0EEvPKcS1_S1_S1_S1_PKiPfP15HIP_vector_typeIfLj2EEffffjfiS5_IjLj3EEiiiiiiiiiiiliiliiiiil.num_vgpr, max(0, .L_ZL14no_device_codePKciS0_iS0_.num_vgpr)
	.set _ZL18flash_attn_ext_f16ILi96ELi96ELi32ELi1ELb1ELb0EEvPKcS1_S1_S1_S1_PKiPfP15HIP_vector_typeIfLj2EEffffjfiS5_IjLj3EEiiiiiiiiiiiliiliiiiil.num_agpr, max(0, .L_ZL14no_device_codePKciS0_iS0_.num_agpr)
	.set _ZL18flash_attn_ext_f16ILi96ELi96ELi32ELi1ELb1ELb0EEvPKcS1_S1_S1_S1_PKiPfP15HIP_vector_typeIfLj2EEffffjfiS5_IjLj3EEiiiiiiiiiiiliiliiiiil.numbered_sgpr, max(33, .L_ZL14no_device_codePKciS0_iS0_.numbered_sgpr)
	.set _ZL18flash_attn_ext_f16ILi96ELi96ELi32ELi1ELb1ELb0EEvPKcS1_S1_S1_S1_PKiPfP15HIP_vector_typeIfLj2EEffffjfiS5_IjLj3EEiiiiiiiiiiiliiliiiiil.num_named_barrier, max(0, .L_ZL14no_device_codePKciS0_iS0_.num_named_barrier)
	.set _ZL18flash_attn_ext_f16ILi96ELi96ELi32ELi1ELb1ELb0EEvPKcS1_S1_S1_S1_PKiPfP15HIP_vector_typeIfLj2EEffffjfiS5_IjLj3EEiiiiiiiiiiiliiliiiiil.private_seg_size, 0+max(.L_ZL14no_device_codePKciS0_iS0_.private_seg_size)
	.set _ZL18flash_attn_ext_f16ILi96ELi96ELi32ELi1ELb1ELb0EEvPKcS1_S1_S1_S1_PKiPfP15HIP_vector_typeIfLj2EEffffjfiS5_IjLj3EEiiiiiiiiiiiliiliiiiil.uses_vcc, or(1, .L_ZL14no_device_codePKciS0_iS0_.uses_vcc)
	.set _ZL18flash_attn_ext_f16ILi96ELi96ELi32ELi1ELb1ELb0EEvPKcS1_S1_S1_S1_PKiPfP15HIP_vector_typeIfLj2EEffffjfiS5_IjLj3EEiiiiiiiiiiiliiliiiiil.uses_flat_scratch, or(0, .L_ZL14no_device_codePKciS0_iS0_.uses_flat_scratch)
	.set _ZL18flash_attn_ext_f16ILi96ELi96ELi32ELi1ELb1ELb0EEvPKcS1_S1_S1_S1_PKiPfP15HIP_vector_typeIfLj2EEffffjfiS5_IjLj3EEiiiiiiiiiiiliiliiiiil.has_dyn_sized_stack, or(0, .L_ZL14no_device_codePKciS0_iS0_.has_dyn_sized_stack)
	.set _ZL18flash_attn_ext_f16ILi96ELi96ELi32ELi1ELb1ELb0EEvPKcS1_S1_S1_S1_PKiPfP15HIP_vector_typeIfLj2EEffffjfiS5_IjLj3EEiiiiiiiiiiiliiliiiiil.has_recursion, or(0, .L_ZL14no_device_codePKciS0_iS0_.has_recursion)
	.set _ZL18flash_attn_ext_f16ILi96ELi96ELi32ELi1ELb1ELb0EEvPKcS1_S1_S1_S1_PKiPfP15HIP_vector_typeIfLj2EEffffjfiS5_IjLj3EEiiiiiiiiiiiliiliiiiil.has_indirect_call, or(0, .L_ZL14no_device_codePKciS0_iS0_.has_indirect_call)
	.section	.AMDGPU.csdata,"",@progbits
; Kernel info:
; codeLenInByte = 40
; TotalNumSgprs: 40
; NumVgprs: 50
; NumAgprs: 0
; TotalNumVgprs: 50
; ScratchSize: 16
; MemoryBound: 0
; FloatMode: 240
; IeeeMode: 1
; LDSByteSize: 0 bytes/workgroup (compile time only)
; SGPRBlocks: 4
; VGPRBlocks: 6
; NumSGPRsForWavesPerEU: 40
; NumVGPRsForWavesPerEU: 50
; AccumOffset: 52
; Occupancy: 8
; WaveLimiterHint : 1
; COMPUTE_PGM_RSRC2:SCRATCH_EN: 1
; COMPUTE_PGM_RSRC2:USER_SGPR: 2
; COMPUTE_PGM_RSRC2:TRAP_HANDLER: 0
; COMPUTE_PGM_RSRC2:TGID_X_EN: 1
; COMPUTE_PGM_RSRC2:TGID_Y_EN: 0
; COMPUTE_PGM_RSRC2:TGID_Z_EN: 0
; COMPUTE_PGM_RSRC2:TIDIG_COMP_CNT: 0
; COMPUTE_PGM_RSRC3_GFX90A:ACCUM_OFFSET: 12
; COMPUTE_PGM_RSRC3_GFX90A:TG_SPLIT: 0
	.section	.text._ZL33flash_attn_stream_k_fixup_uniformILi96ELi32ELi1EEvPfPK15HIP_vector_typeIfLj2EEiiiiiiS1_IjLj3EES5_S5_,"axG",@progbits,_ZL33flash_attn_stream_k_fixup_uniformILi96ELi32ELi1EEvPfPK15HIP_vector_typeIfLj2EEiiiiiiS1_IjLj3EES5_S5_,comdat
	.globl	_ZL33flash_attn_stream_k_fixup_uniformILi96ELi32ELi1EEvPfPK15HIP_vector_typeIfLj2EEiiiiiiS1_IjLj3EES5_S5_ ; -- Begin function _ZL33flash_attn_stream_k_fixup_uniformILi96ELi32ELi1EEvPfPK15HIP_vector_typeIfLj2EEiiiiiiS1_IjLj3EES5_S5_
	.p2align	8
	.type	_ZL33flash_attn_stream_k_fixup_uniformILi96ELi32ELi1EEvPfPK15HIP_vector_typeIfLj2EEiiiiiiS1_IjLj3EES5_S5_,@function
_ZL33flash_attn_stream_k_fixup_uniformILi96ELi32ELi1EEvPfPK15HIP_vector_typeIfLj2EEiiiiiiS1_IjLj3EES5_S5_: ; @_ZL33flash_attn_stream_k_fixup_uniformILi96ELi32ELi1EEvPfPK15HIP_vector_typeIfLj2EEiiiiiiS1_IjLj3EES5_S5_
; %bb.0:
	s_load_dwordx8 s[8:15], s[0:1], 0x1c
	s_load_dwordx2 s[6:7], s[0:1], 0x10
	s_load_dwordx4 s[16:19], s[0:1], 0x3c
	s_waitcnt lgkmcnt(0)
	s_mul_hi_u32 s5, s11, s2
	s_add_i32 s5, s2, s5
	s_lshr_b32 s5, s5, s12
	s_mul_i32 s11, s5, s13
	s_sub_i32 s12, s2, s11
	s_mul_hi_u32 s11, s12, s14
	s_add_i32 s11, s12, s11
	s_lshr_b32 s11, s11, s15
	s_mul_i32 s13, s11, s16
	s_sub_i32 s12, s12, s13
	s_mul_hi_u32 s13, s12, s17
	s_add_i32 s13, s12, s13
	s_lshr_b32 s16, s13, s18
	s_mul_i32 s13, s16, s19
	s_sub_i32 s17, s12, s13
	s_lshl_b32 s12, s17, 5
	s_add_i32 s12, s12, s3
	s_cmp_lt_i32 s12, s6
	s_cselect_b64 s[12:13], -1, 0
	s_add_i32 s16, s16, s4
	s_cmp_lt_i32 s16, s9
	s_cselect_b64 s[14:15], -1, 0
	s_and_b64 s[12:13], s[12:13], s[14:15]
	s_andn2_b64 vcc, exec, s[12:13]
	s_cbranch_vccnz .LBB16_6
; %bb.1:
	s_load_dwordx4 s[12:15], s[0:1], 0x0
	s_mul_i32 s0, s5, s6
	s_mul_i32 s11, s11, s9
	s_add_i32 s0, s0, s3
	s_mul_i32 s1, s7, s17
	s_mul_i32 s0, s0, s7
	s_add_i32 s5, s16, s11
	s_mulk_i32 s1, 0xc00
	s_add_i32 s0, s5, s0
	s_mulk_i32 s0, 0x60
	v_or_b32_e32 v1, s1, v0
	v_add_u32_e32 v4, s0, v1
	s_waitcnt lgkmcnt(0)
	v_mov_b32_e32 v2, s12
	v_mov_b32_e32 v3, s13
	v_ashrrev_i32_e32 v5, 31, v4
	v_lshl_add_u64 v[2:3], v[4:5], 2, v[2:3]
	global_load_dword v5, v[2:3], off
	s_mul_i32 s6, s10, s2
	s_add_i32 s7, s6, s10
	s_add_i32 s3, s3, s4
	s_lshl_b32 s0, s7, 5
	s_add_i32 s0, s3, s0
	s_sub_i32 s0, s0, 32
	s_ashr_i32 s1, s0, 31
	s_lshl_b64 s[0:1], s[0:1], 3
	s_add_u32 s0, s14, s0
	s_addc_u32 s1, s15, s1
	s_load_dword s9, s[0:1], 0x4
	s_add_i32 s4, s7, -2
	s_cmp_lt_i32 s4, s6
	s_cbranch_scc1 .LBB16_4
; %bb.2:
	s_lshl_b32 s4, s8, 7
	s_ashr_i32 s5, s4, 31
	s_lshl_b64 s[4:5], s[4:5], 2
	s_add_u32 s4, s14, s4
	s_addc_u32 s5, s15, s5
	s_load_dword s0, s[0:1], 0x0
	s_add_i32 s2, s2, 1
	s_mul_i32 s10, s10, s2
	s_mul_i32 s1, s3, 0x60
	s_lshl_b32 s2, s10, 5
	s_mulk_i32 s10, 0xc00
	s_add_i32 s2, s3, s2
	s_lshl_b32 s3, s8, 5
	s_add_i32 s1, s1, s10
	s_add_i32 s2, s2, s3
	v_add_u32_e32 v0, s1, v0
	s_add_i32 s7, s7, -1
	s_sub_i32 s2, s2, 64
	v_add_u32_e32 v0, 0xffffe800, v0
	s_waitcnt lgkmcnt(0)
	v_mov_b32_e32 v7, s0
	v_mov_b32_e32 v4, s9
	s_mov_b32 s8, 0x3fb8aa3b
	s_mov_b32 s9, 0xc2ce8ed0
	;; [unrolled: 1-line block ×3, first 2 shown]
	v_mov_b32_e32 v6, 0x7f800000
	s_mov_b32 s11, 0xc1a00000
.LBB16_3:                               ; =>This Inner Loop Header: Depth=1
	v_ashrrev_i32_e32 v1, 31, v0
	v_lshl_add_u64 v[8:9], v[0:1], 2, s[4:5]
	global_load_dword v9, v[8:9], off
	s_ashr_i32 s3, s2, 31
	s_lshl_b64 s[0:1], s[2:3], 3
	s_add_u32 s0, s14, s0
	s_addc_u32 s1, s15, s1
	s_load_dwordx2 s[0:1], s[0:1], 0x0
	v_max_f32_e32 v1, v7, v7
	s_add_i32 s7, s7, -1
	s_sub_i32 s2, s2, 32
	v_add_u32_e32 v0, 0xfffff400, v0
	s_waitcnt lgkmcnt(0)
	v_max_f32_e64 v10, s0, s0
	v_max_f32_e32 v1, v1, v10
	v_sub_f32_e32 v11, s0, v1
	v_sub_f32_e32 v10, v7, v1
	v_mul_f32_e32 v12, 0x3fb8aa3b, v11
	v_mov_b32_e32 v7, v1
	v_mul_f32_e32 v1, 0x3fb8aa3b, v10
	v_fma_f32 v15, v11, s8, -v12
	v_rndne_f32_e32 v16, v12
	v_fma_f32 v13, v10, s8, -v1
	v_rndne_f32_e32 v14, v1
	v_fmac_f32_e32 v15, 0x32a5705f, v11
	v_sub_f32_e32 v12, v12, v16
	v_fmac_f32_e32 v13, 0x32a5705f, v10
	v_sub_f32_e32 v1, v1, v14
	v_add_f32_e32 v12, v12, v15
	v_cvt_i32_f32_e32 v16, v16
	v_add_f32_e32 v1, v1, v13
	v_exp_f32_e32 v12, v12
	v_cvt_i32_f32_e32 v14, v14
	v_exp_f32_e32 v1, v1
	v_cmp_ngt_f32_e32 vcc, s9, v11
	v_ldexp_f32 v12, v12, v16
	v_mov_b32_e32 v8, s1
	v_ldexp_f32 v1, v1, v14
	v_cmp_ngt_f32_e64 s[0:1], s9, v10
	v_cndmask_b32_e32 v12, 0, v12, vcc
	v_cmp_nlt_f32_e32 vcc, s10, v11
	v_cndmask_b32_e64 v1, 0, v1, s[0:1]
	v_cmp_nlt_f32_e64 s[0:1], s10, v10
	v_cndmask_b32_e32 v12, v6, v12, vcc
	v_cmp_le_f32_e32 vcc, s11, v11
	v_cndmask_b32_e64 v1, v6, v1, s[0:1]
	v_cmp_le_f32_e64 s[0:1], s11, v10
	v_cndmask_b32_e32 v12, 0, v12, vcc
	s_cmp_le_i32 s7, s6
	v_cndmask_b32_e64 v10, 0, v1, s[0:1]
	s_waitcnt vmcnt(0)
	v_pk_mul_f32 v[8:9], v[8:9], v[12:13] op_sel_hi:[1,0]
	s_nop 0
	v_pk_fma_f32 v[4:5], v[4:5], v[10:11], v[8:9] op_sel_hi:[1,0,1]
	s_cbranch_scc0 .LBB16_3
	s_branch .LBB16_5
.LBB16_4:
	s_waitcnt lgkmcnt(0)
	v_mov_b32_e32 v4, s9
.LBB16_5:
	s_waitcnt vmcnt(0)
	v_div_scale_f32 v0, s[0:1], v4, v4, v5
	v_rcp_f32_e32 v1, v0
	v_div_scale_f32 v6, vcc, v5, v4, v5
	v_fma_f32 v7, -v0, v1, 1.0
	v_fmac_f32_e32 v1, v7, v1
	v_mul_f32_e32 v7, v6, v1
	v_fma_f32 v8, -v0, v7, v6
	v_fmac_f32_e32 v7, v8, v1
	v_fma_f32 v0, -v0, v7, v6
	v_div_fmas_f32 v0, v0, v1, v7
	v_div_fixup_f32 v0, v0, v4, v5
	global_store_dword v[2:3], v0, off
.LBB16_6:
	s_endpgm
	.section	.rodata,"a",@progbits
	.p2align	6, 0x0
	.amdhsa_kernel _ZL33flash_attn_stream_k_fixup_uniformILi96ELi32ELi1EEvPfPK15HIP_vector_typeIfLj2EEiiiiiiS1_IjLj3EES5_S5_
		.amdhsa_group_segment_fixed_size 0
		.amdhsa_private_segment_fixed_size 0
		.amdhsa_kernarg_size 76
		.amdhsa_user_sgpr_count 2
		.amdhsa_user_sgpr_dispatch_ptr 0
		.amdhsa_user_sgpr_queue_ptr 0
		.amdhsa_user_sgpr_kernarg_segment_ptr 1
		.amdhsa_user_sgpr_dispatch_id 0
		.amdhsa_user_sgpr_kernarg_preload_length 0
		.amdhsa_user_sgpr_kernarg_preload_offset 0
		.amdhsa_user_sgpr_private_segment_size 0
		.amdhsa_uses_dynamic_stack 0
		.amdhsa_enable_private_segment 0
		.amdhsa_system_sgpr_workgroup_id_x 1
		.amdhsa_system_sgpr_workgroup_id_y 1
		.amdhsa_system_sgpr_workgroup_id_z 1
		.amdhsa_system_sgpr_workgroup_info 0
		.amdhsa_system_vgpr_workitem_id 0
		.amdhsa_next_free_vgpr 17
		.amdhsa_next_free_sgpr 20
		.amdhsa_accum_offset 20
		.amdhsa_reserve_vcc 1
		.amdhsa_float_round_mode_32 0
		.amdhsa_float_round_mode_16_64 0
		.amdhsa_float_denorm_mode_32 3
		.amdhsa_float_denorm_mode_16_64 3
		.amdhsa_dx10_clamp 1
		.amdhsa_ieee_mode 1
		.amdhsa_fp16_overflow 0
		.amdhsa_tg_split 0
		.amdhsa_exception_fp_ieee_invalid_op 0
		.amdhsa_exception_fp_denorm_src 0
		.amdhsa_exception_fp_ieee_div_zero 0
		.amdhsa_exception_fp_ieee_overflow 0
		.amdhsa_exception_fp_ieee_underflow 0
		.amdhsa_exception_fp_ieee_inexact 0
		.amdhsa_exception_int_div_zero 0
	.end_amdhsa_kernel
	.section	.text._ZL33flash_attn_stream_k_fixup_uniformILi96ELi32ELi1EEvPfPK15HIP_vector_typeIfLj2EEiiiiiiS1_IjLj3EES5_S5_,"axG",@progbits,_ZL33flash_attn_stream_k_fixup_uniformILi96ELi32ELi1EEvPfPK15HIP_vector_typeIfLj2EEiiiiiiS1_IjLj3EES5_S5_,comdat
.Lfunc_end16:
	.size	_ZL33flash_attn_stream_k_fixup_uniformILi96ELi32ELi1EEvPfPK15HIP_vector_typeIfLj2EEiiiiiiS1_IjLj3EES5_S5_, .Lfunc_end16-_ZL33flash_attn_stream_k_fixup_uniformILi96ELi32ELi1EEvPfPK15HIP_vector_typeIfLj2EEiiiiiiS1_IjLj3EES5_S5_
                                        ; -- End function
	.set _ZL33flash_attn_stream_k_fixup_uniformILi96ELi32ELi1EEvPfPK15HIP_vector_typeIfLj2EEiiiiiiS1_IjLj3EES5_S5_.num_vgpr, 17
	.set _ZL33flash_attn_stream_k_fixup_uniformILi96ELi32ELi1EEvPfPK15HIP_vector_typeIfLj2EEiiiiiiS1_IjLj3EES5_S5_.num_agpr, 0
	.set _ZL33flash_attn_stream_k_fixup_uniformILi96ELi32ELi1EEvPfPK15HIP_vector_typeIfLj2EEiiiiiiS1_IjLj3EES5_S5_.numbered_sgpr, 20
	.set _ZL33flash_attn_stream_k_fixup_uniformILi96ELi32ELi1EEvPfPK15HIP_vector_typeIfLj2EEiiiiiiS1_IjLj3EES5_S5_.num_named_barrier, 0
	.set _ZL33flash_attn_stream_k_fixup_uniformILi96ELi32ELi1EEvPfPK15HIP_vector_typeIfLj2EEiiiiiiS1_IjLj3EES5_S5_.private_seg_size, 0
	.set _ZL33flash_attn_stream_k_fixup_uniformILi96ELi32ELi1EEvPfPK15HIP_vector_typeIfLj2EEiiiiiiS1_IjLj3EES5_S5_.uses_vcc, 1
	.set _ZL33flash_attn_stream_k_fixup_uniformILi96ELi32ELi1EEvPfPK15HIP_vector_typeIfLj2EEiiiiiiS1_IjLj3EES5_S5_.uses_flat_scratch, 0
	.set _ZL33flash_attn_stream_k_fixup_uniformILi96ELi32ELi1EEvPfPK15HIP_vector_typeIfLj2EEiiiiiiS1_IjLj3EES5_S5_.has_dyn_sized_stack, 0
	.set _ZL33flash_attn_stream_k_fixup_uniformILi96ELi32ELi1EEvPfPK15HIP_vector_typeIfLj2EEiiiiiiS1_IjLj3EES5_S5_.has_recursion, 0
	.set _ZL33flash_attn_stream_k_fixup_uniformILi96ELi32ELi1EEvPfPK15HIP_vector_typeIfLj2EEiiiiiiS1_IjLj3EES5_S5_.has_indirect_call, 0
	.section	.AMDGPU.csdata,"",@progbits
; Kernel info:
; codeLenInByte = 816
; TotalNumSgprs: 26
; NumVgprs: 17
; NumAgprs: 0
; TotalNumVgprs: 17
; ScratchSize: 0
; MemoryBound: 0
; FloatMode: 240
; IeeeMode: 1
; LDSByteSize: 0 bytes/workgroup (compile time only)
; SGPRBlocks: 3
; VGPRBlocks: 2
; NumSGPRsForWavesPerEU: 26
; NumVGPRsForWavesPerEU: 17
; AccumOffset: 20
; Occupancy: 8
; WaveLimiterHint : 0
; COMPUTE_PGM_RSRC2:SCRATCH_EN: 0
; COMPUTE_PGM_RSRC2:USER_SGPR: 2
; COMPUTE_PGM_RSRC2:TRAP_HANDLER: 0
; COMPUTE_PGM_RSRC2:TGID_X_EN: 1
; COMPUTE_PGM_RSRC2:TGID_Y_EN: 1
; COMPUTE_PGM_RSRC2:TGID_Z_EN: 1
; COMPUTE_PGM_RSRC2:TIDIG_COMP_CNT: 0
; COMPUTE_PGM_RSRC3_GFX90A:ACCUM_OFFSET: 4
; COMPUTE_PGM_RSRC3_GFX90A:TG_SPLIT: 0
	.section	.text._ZL33flash_attn_stream_k_fixup_generalILi96ELi32ELi1EEvPfPK15HIP_vector_typeIfLj2EEiiiiS1_IjLj3EES5_S5_S5_,"axG",@progbits,_ZL33flash_attn_stream_k_fixup_generalILi96ELi32ELi1EEvPfPK15HIP_vector_typeIfLj2EEiiiiS1_IjLj3EES5_S5_S5_,comdat
	.globl	_ZL33flash_attn_stream_k_fixup_generalILi96ELi32ELi1EEvPfPK15HIP_vector_typeIfLj2EEiiiiS1_IjLj3EES5_S5_S5_ ; -- Begin function _ZL33flash_attn_stream_k_fixup_generalILi96ELi32ELi1EEvPfPK15HIP_vector_typeIfLj2EEiiiiS1_IjLj3EES5_S5_S5_
	.p2align	8
	.type	_ZL33flash_attn_stream_k_fixup_generalILi96ELi32ELi1EEvPfPK15HIP_vector_typeIfLj2EEiiiiS1_IjLj3EES5_S5_S5_,@function
_ZL33flash_attn_stream_k_fixup_generalILi96ELi32ELi1EEvPfPK15HIP_vector_typeIfLj2EEiiiiS1_IjLj3EES5_S5_S5_: ; @_ZL33flash_attn_stream_k_fixup_generalILi96ELi32ELi1EEvPfPK15HIP_vector_typeIfLj2EEiiiiS1_IjLj3EES5_S5_S5_
; %bb.0:
	s_load_dwordx4 s[8:11], s[0:1], 0x10
	s_load_dword s22, s[0:1], 0x50
	s_mov_b32 s12, 0
	s_waitcnt lgkmcnt(0)
	s_mul_hi_i32 s13, s11, s2
	s_cmp_lg_u64 s[12:13], 0
	s_mul_i32 s5, s11, s2
	s_cbranch_scc0 .LBB17_20
; %bb.1:
	s_add_u32 s6, s22, 0
	s_addc_u32 s7, 0, 0
	s_xor_b64 s[6:7], s[6:7], 0
	v_cvt_f32_u32_e32 v1, s6
	v_cvt_f32_u32_e32 v2, s7
	s_sub_u32 s12, 0, s6
	s_subb_u32 s18, 0, s7
	v_fmamk_f32 v1, v2, 0x4f800000, v1
	v_rcp_f32_e32 v1, v1
	s_nop 0
	v_mul_f32_e32 v1, 0x5f7ffffc, v1
	v_mul_f32_e32 v2, 0x2f800000, v1
	v_trunc_f32_e32 v2, v2
	v_fmamk_f32 v1, v2, 0xcf800000, v1
	v_cvt_u32_f32_e32 v2, v2
	v_cvt_u32_f32_e32 v1, v1
	v_readfirstlane_b32 s19, v2
	v_readfirstlane_b32 s14, v1
	s_mul_i32 s15, s12, s19
	s_mul_hi_u32 s21, s12, s14
	s_mul_i32 s20, s18, s14
	s_add_i32 s15, s21, s15
	s_add_i32 s15, s15, s20
	s_mul_i32 s23, s12, s14
	s_mul_i32 s21, s14, s15
	s_mul_hi_u32 s24, s14, s23
	s_mul_hi_u32 s20, s14, s15
	s_add_u32 s21, s24, s21
	s_addc_u32 s20, 0, s20
	s_mul_hi_u32 s25, s19, s23
	s_mul_i32 s23, s19, s23
	s_add_u32 s21, s21, s23
	s_mul_hi_u32 s24, s19, s15
	s_addc_u32 s20, s20, s25
	s_addc_u32 s21, s24, 0
	s_mul_i32 s15, s19, s15
	s_add_u32 s15, s20, s15
	s_addc_u32 s20, 0, s21
	s_add_u32 s21, s14, s15
	s_cselect_b64 s[14:15], -1, 0
	s_cmp_lg_u64 s[14:15], 0
	s_addc_u32 s19, s19, s20
	s_mul_i32 s14, s12, s19
	s_mul_hi_u32 s15, s12, s21
	s_add_i32 s14, s15, s14
	s_mul_i32 s18, s18, s21
	s_add_i32 s14, s14, s18
	s_mul_i32 s12, s12, s21
	s_mul_hi_u32 s18, s19, s12
	s_mul_i32 s20, s19, s12
	s_mul_i32 s24, s21, s14
	s_mul_hi_u32 s12, s21, s12
	s_mul_hi_u32 s23, s21, s14
	s_add_u32 s12, s12, s24
	s_addc_u32 s23, 0, s23
	s_add_u32 s12, s12, s20
	s_mul_hi_u32 s15, s19, s14
	s_addc_u32 s12, s23, s18
	s_addc_u32 s15, s15, 0
	s_mul_i32 s14, s19, s14
	s_add_u32 s12, s12, s14
	s_addc_u32 s18, 0, s15
	s_add_u32 s20, s21, s12
	s_cselect_b64 s[14:15], -1, 0
	s_cmp_lg_u64 s[14:15], 0
	s_addc_u32 s18, s19, s18
	s_ashr_i32 s14, s13, 31
	s_add_u32 s12, s5, s14
	s_mov_b32 s15, s14
	s_addc_u32 s13, s13, s14
	s_xor_b64 s[12:13], s[12:13], s[14:15]
	s_mul_i32 s21, s12, s18
	s_mul_hi_u32 s23, s12, s20
	s_mul_hi_u32 s19, s12, s18
	s_add_u32 s21, s23, s21
	s_addc_u32 s19, 0, s19
	s_mul_hi_u32 s24, s13, s20
	s_mul_i32 s20, s13, s20
	s_add_u32 s20, s21, s20
	s_mul_hi_u32 s23, s13, s18
	s_addc_u32 s19, s19, s24
	s_addc_u32 s20, s23, 0
	s_mul_i32 s18, s13, s18
	s_add_u32 s23, s19, s18
	s_addc_u32 s24, 0, s20
	s_mul_i32 s18, s6, s24
	s_mul_hi_u32 s19, s6, s23
	s_add_i32 s18, s19, s18
	s_mul_i32 s19, s7, s23
	s_add_i32 s25, s18, s19
	s_sub_i32 s20, s13, s25
	s_mul_i32 s18, s6, s23
	s_sub_u32 s12, s12, s18
	s_cselect_b64 s[18:19], -1, 0
	s_cmp_lg_u64 s[18:19], 0
	s_subb_u32 s26, s20, s7
	s_sub_u32 s27, s12, s6
	s_cselect_b64 s[20:21], -1, 0
	s_cmp_lg_u64 s[20:21], 0
	s_subb_u32 s20, s26, 0
	s_cmp_ge_u32 s20, s7
	s_cselect_b32 s21, -1, 0
	s_cmp_ge_u32 s27, s6
	s_cselect_b32 s26, -1, 0
	s_cmp_eq_u32 s20, s7
	s_cselect_b32 s20, s26, s21
	s_add_u32 s21, s23, 1
	s_addc_u32 s26, s24, 0
	s_add_u32 s27, s23, 2
	s_addc_u32 s28, s24, 0
	s_cmp_lg_u32 s20, 0
	s_cselect_b32 s20, s27, s21
	s_cselect_b32 s21, s28, s26
	s_cmp_lg_u64 s[18:19], 0
	s_subb_u32 s13, s13, s25
	s_cmp_ge_u32 s13, s7
	s_cselect_b32 s18, -1, 0
	s_cmp_ge_u32 s12, s6
	s_cselect_b32 s6, -1, 0
	s_cmp_eq_u32 s13, s7
	s_cselect_b32 s6, s6, s18
	s_cmp_lg_u32 s6, 0
	s_cselect_b32 s7, s21, s24
	s_cselect_b32 s6, s20, s23
	s_xor_b64 s[12:13], s[14:15], 0
	s_xor_b64 s[6:7], s[6:7], s[12:13]
	s_sub_u32 s6, s6, s12
	s_load_dwordx4 s[12:15], s[0:1], 0x44
	s_cbranch_execnz .LBB17_3
.LBB17_2:
	v_cvt_f32_u32_e32 v1, s22
	s_sub_i32 s6, 0, s22
	v_rcp_iflag_f32_e32 v1, v1
	s_nop 0
	v_mul_f32_e32 v1, 0x4f7ffffe, v1
	v_cvt_u32_f32_e32 v1, v1
	s_nop 0
	v_readfirstlane_b32 s7, v1
	s_mul_i32 s6, s6, s7
	s_mul_hi_u32 s6, s7, s6
	s_add_i32 s7, s7, s6
	s_mul_hi_u32 s6, s5, s7
	s_waitcnt lgkmcnt(0)
	s_mul_i32 s15, s6, s22
	s_sub_i32 s5, s5, s15
	s_add_i32 s7, s6, 1
	s_sub_i32 s15, s5, s22
	s_cmp_ge_u32 s5, s22
	s_cselect_b32 s6, s7, s6
	s_cselect_b32 s5, s15, s5
	s_add_i32 s7, s6, 1
	s_cmp_ge_u32 s5, s22
	s_cselect_b32 s6, s7, s6
.LBB17_3:
	s_add_i32 s5, s2, 1
	s_mul_hi_i32 s21, s11, s5
	s_mov_b32 s20, 0
	s_cmp_lg_u64 s[20:21], 0
	s_mul_i32 s5, s11, s5
	s_cbranch_scc0 .LBB17_21
; %bb.4:
	s_add_u32 s16, s22, 0
	s_addc_u32 s17, 0, 0
	s_xor_b64 s[18:19], s[16:17], 0
	v_cvt_f32_u32_e32 v1, s18
	v_cvt_f32_u32_e32 v2, s19
	s_sub_u32 s7, 0, s18
	s_waitcnt lgkmcnt(0)
	s_subb_u32 s15, 0, s19
	v_fmamk_f32 v1, v2, 0x4f800000, v1
	v_rcp_f32_e32 v1, v1
	s_nop 0
	v_mul_f32_e32 v1, 0x5f7ffffc, v1
	v_mul_f32_e32 v2, 0x2f800000, v1
	v_trunc_f32_e32 v2, v2
	v_fmamk_f32 v1, v2, 0xcf800000, v1
	v_cvt_u32_f32_e32 v2, v2
	v_cvt_u32_f32_e32 v1, v1
	v_readfirstlane_b32 s20, v2
	v_readfirstlane_b32 s23, v1
	s_mul_i32 s24, s7, s20
	s_mul_hi_u32 s26, s7, s23
	s_mul_i32 s25, s15, s23
	s_add_i32 s24, s26, s24
	s_add_i32 s24, s24, s25
	s_mul_i32 s27, s7, s23
	s_mul_i32 s26, s23, s24
	s_mul_hi_u32 s28, s23, s27
	s_mul_hi_u32 s25, s23, s24
	s_add_u32 s26, s28, s26
	s_addc_u32 s25, 0, s25
	s_mul_hi_u32 s29, s20, s27
	s_mul_i32 s27, s20, s27
	s_add_u32 s26, s26, s27
	s_mul_hi_u32 s28, s20, s24
	s_addc_u32 s25, s25, s29
	s_addc_u32 s26, s28, 0
	s_mul_i32 s24, s20, s24
	s_add_u32 s24, s25, s24
	s_addc_u32 s26, 0, s26
	s_add_u32 s23, s23, s24
	s_cselect_b64 s[24:25], -1, 0
	s_cmp_lg_u64 s[24:25], 0
	s_addc_u32 s20, s20, s26
	s_mul_i32 s24, s7, s20
	s_mul_hi_u32 s25, s7, s23
	s_add_i32 s24, s25, s24
	s_mul_i32 s15, s15, s23
	s_add_i32 s24, s24, s15
	s_mul_i32 s7, s7, s23
	s_mul_hi_u32 s25, s20, s7
	s_mul_i32 s26, s20, s7
	s_mul_i32 s28, s23, s24
	s_mul_hi_u32 s7, s23, s7
	s_mul_hi_u32 s27, s23, s24
	s_add_u32 s7, s7, s28
	s_addc_u32 s27, 0, s27
	s_add_u32 s7, s7, s26
	s_mul_hi_u32 s15, s20, s24
	s_addc_u32 s7, s27, s25
	s_addc_u32 s15, s15, 0
	s_mul_i32 s24, s20, s24
	s_add_u32 s7, s7, s24
	s_addc_u32 s15, 0, s15
	s_add_u32 s7, s23, s7
	s_cselect_b64 s[24:25], -1, 0
	s_cmp_lg_u64 s[24:25], 0
	s_addc_u32 s15, s20, s15
	s_ashr_i32 s24, s21, 31
	s_add_u32 s20, s5, s24
	s_mov_b32 s25, s24
	s_addc_u32 s21, s21, s24
	s_xor_b64 s[20:21], s[20:21], s[24:25]
	s_mul_i32 s26, s20, s15
	s_mul_hi_u32 s27, s20, s7
	s_mul_hi_u32 s23, s20, s15
	s_add_u32 s26, s27, s26
	s_addc_u32 s23, 0, s23
	s_mul_hi_u32 s28, s21, s7
	s_mul_i32 s7, s21, s7
	s_add_u32 s7, s26, s7
	s_mul_hi_u32 s27, s21, s15
	s_addc_u32 s7, s23, s28
	s_addc_u32 s23, s27, 0
	s_mul_i32 s15, s21, s15
	s_add_u32 s7, s7, s15
	s_addc_u32 s15, 0, s23
	s_mul_i32 s23, s18, s15
	s_mul_hi_u32 s26, s18, s7
	s_add_i32 s23, s26, s23
	s_mul_i32 s26, s19, s7
	s_add_i32 s23, s23, s26
	s_sub_i32 s28, s21, s23
	s_mul_i32 s26, s18, s7
	s_sub_u32 s20, s20, s26
	s_cselect_b64 s[26:27], -1, 0
	s_cmp_lg_u64 s[26:27], 0
	s_subb_u32 s30, s28, s19
	s_sub_u32 s31, s20, s18
	s_cselect_b64 s[28:29], -1, 0
	s_cmp_lg_u64 s[28:29], 0
	s_subb_u32 s28, s30, 0
	s_cmp_ge_u32 s28, s19
	s_cselect_b32 s29, -1, 0
	s_cmp_ge_u32 s31, s18
	s_cselect_b32 s30, -1, 0
	s_cmp_eq_u32 s28, s19
	s_cselect_b32 s28, s30, s29
	s_add_u32 s29, s7, 1
	s_addc_u32 s30, s15, 0
	s_add_u32 s31, s7, 2
	s_addc_u32 s33, s15, 0
	s_cmp_lg_u32 s28, 0
	s_cselect_b32 s28, s31, s29
	s_cselect_b32 s29, s33, s30
	s_cmp_lg_u64 s[26:27], 0
	s_subb_u32 s21, s21, s23
	s_cmp_ge_u32 s21, s19
	s_cselect_b32 s23, -1, 0
	s_cmp_ge_u32 s20, s18
	s_cselect_b32 s18, -1, 0
	s_cmp_eq_u32 s21, s19
	s_cselect_b32 s18, s18, s23
	s_cmp_lg_u32 s18, 0
	s_cselect_b32 s19, s29, s15
	s_cselect_b32 s18, s28, s7
	s_xor_b64 s[20:21], s[24:25], 0
	s_xor_b64 s[18:19], s[18:19], s[20:21]
	s_sub_u32 s18, s18, s20
	s_cbranch_execnz .LBB17_6
.LBB17_5:
	v_cvt_f32_u32_e32 v1, s22
	s_sub_i32 s7, 0, s22
	v_rcp_iflag_f32_e32 v1, v1
	s_nop 0
	v_mul_f32_e32 v1, 0x4f7ffffe, v1
	v_cvt_u32_f32_e32 v1, v1
	s_waitcnt lgkmcnt(0)
	v_readfirstlane_b32 s15, v1
	s_mul_i32 s7, s7, s15
	s_mul_hi_u32 s7, s15, s7
	s_add_i32 s15, s15, s7
	s_mul_hi_u32 s7, s5, s15
	s_mul_i32 s16, s7, s22
	s_sub_i32 s5, s5, s16
	s_add_i32 s15, s7, 1
	s_sub_i32 s16, s5, s22
	s_cmp_ge_u32 s5, s22
	s_cselect_b32 s7, s15, s7
	s_cselect_b32 s5, s16, s5
	s_add_i32 s15, s7, 1
	s_cmp_ge_u32 s5, s22
	s_cselect_b32 s18, s15, s7
.LBB17_6:
	s_cmp_eq_u32 s6, s18
	s_waitcnt lgkmcnt(0)
	s_mul_hi_u32 s5, s6, s12
	s_cselect_b64 s[16:17], -1, 0
	s_add_i32 s5, s5, s6
	s_lshr_b32 s7, s5, s13
	s_mul_i32 s5, s7, s14
	s_cmp_eq_u32 s5, s6
	s_mul_hi_u32 s5, s18, s12
	s_cselect_b64 s[20:21], -1, 0
	s_add_i32 s5, s5, s18
	s_lshr_b32 s5, s5, s13
	s_cmp_eq_u32 s7, s5
	s_mul_i32 s5, s5, s14
	s_cselect_b64 s[24:25], -1, 0
	s_cmp_lg_u32 s5, s18
	s_cselect_b64 s[18:19], -1, 0
	s_and_b64 s[18:19], s[24:25], s[18:19]
	s_or_b64 s[16:17], s[16:17], s[20:21]
	s_or_b64 s[16:17], s[16:17], s[18:19]
	s_and_b64 vcc, exec, s[16:17]
	s_cbranch_vccnz .LBB17_23
; %bb.7:
	s_load_dwordx8 s[24:31], s[0:1], 0x20
	s_load_dword s5, s[0:1], 0x40
	s_waitcnt lgkmcnt(0)
	s_mul_hi_u32 s15, s6, s24
	s_add_i32 s15, s15, s6
	s_lshr_b32 s20, s15, s25
	s_mul_i32 s15, s20, s26
	s_sub_i32 s15, s6, s15
	s_mul_hi_u32 s16, s15, s27
	s_add_i32 s16, s15, s16
	s_lshr_b32 s21, s16, s28
	s_mul_i32 s16, s21, s29
	s_sub_i32 s15, s15, s16
	;; [unrolled: 5-line block ×3, first 2 shown]
	s_mul_hi_u32 s15, s5, s12
	s_add_i32 s5, s5, s15
	s_lshr_b32 s23, s5, s13
	s_lshl_b32 s5, s23, 5
	s_add_i32 s5, s5, s3
	s_cmp_lt_i32 s5, s8
	s_cselect_b64 s[16:17], -1, 0
	s_add_i32 s24, s24, s4
	s_cmp_lt_i32 s24, s10
	s_cselect_b64 s[18:19], -1, 0
	s_and_b64 s[16:17], s[16:17], s[18:19]
	s_andn2_b64 vcc, exec, s[16:17]
	s_cbranch_vccnz .LBB17_23
; %bb.8:
	s_load_dwordx4 s[16:19], s[0:1], 0x0
	s_mov_b32 s0, 0
	s_add_i32 s15, s3, s4
	s_lshl_b32 s4, s22, 7
	s_mov_b32 s5, s0
	s_lshl_b64 s[4:5], s[4:5], 2
	s_waitcnt lgkmcnt(0)
	s_add_u32 s4, s18, s4
	s_mul_i32 s1, s20, s8
	s_addc_u32 s5, s19, s5
	s_mul_i32 s21, s21, s10
	s_add_i32 s1, s1, s3
	s_mul_i32 s1, s1, s9
	s_add_i32 s3, s24, s21
	;; [unrolled: 2-line block ×3, first 2 shown]
	s_mulk_i32 s8, 0xc00
	s_mulk_i32 s1, 0x60
	s_add_i32 s8, s8, s1
	v_add_u32_e32 v4, s8, v0
	v_mov_b32_e32 v2, s16
	v_mov_b32_e32 v3, s17
	v_ashrrev_i32_e32 v5, 31, v4
	v_lshl_add_u64 v[2:3], v[4:5], 2, v[2:3]
	global_load_dword v1, v[2:3], off
	v_cvt_f32_u32_e32 v4, s22
	s_lshl_b32 s1, s2, 5
	s_add_i32 s8, s1, s15
	s_ashr_i32 s9, s8, 31
	s_lshl_b64 s[8:9], s[8:9], 3
	v_rcp_iflag_f32_e32 v4, v4
	s_add_u32 s8, s18, s8
	s_addc_u32 s9, s19, s9
	s_load_dwordx2 s[8:9], s[8:9], 0x0
	v_mul_f32_e32 v4, 0x4f7ffffe, v4
	v_cvt_u32_f32_e32 v7, v4
	s_mul_i32 s1, s15, 0x60
	s_add_i32 s21, s2, -1
	v_add_u32_e32 v6, s1, v0
	s_waitcnt lgkmcnt(0)
	v_mov_b32_e32 v0, s9
	v_mov_b32_e32 v9, s8
	s_mov_b32 s10, 0x3fb8aa3b
	s_mov_b32 s20, 0xc2ce8ed0
	;; [unrolled: 1-line block ×4, first 2 shown]
	v_mov_b32_e32 v8, 0x7f800000
	s_mul_hi_i32 s1, s21, s11
	s_cmp_lg_u64 s[0:1], 0
	s_mul_i32 s16, s21, s11
	s_cbranch_scc0 .LBB17_19
.LBB17_9:
	s_add_u32 s2, s22, 0
	s_addc_u32 s3, 0, 0
	s_xor_b64 s[2:3], s[2:3], 0
	v_cvt_f32_u32_e32 v4, s2
	v_cvt_f32_u32_e32 v5, s3
	s_sub_u32 s17, 0, s2
	s_subb_u32 s25, 0, s3
	v_fmac_f32_e32 v4, 0x4f800000, v5
	v_rcp_f32_e32 v4, v4
	s_nop 0
	v_mul_f32_e32 v4, 0x5f7ffffc, v4
	v_mul_f32_e32 v5, 0x2f800000, v4
	v_trunc_f32_e32 v5, v5
	v_fmac_f32_e32 v4, 0xcf800000, v5
	v_cvt_u32_f32_e32 v5, v5
	v_cvt_u32_f32_e32 v4, v4
	v_readfirstlane_b32 s26, v5
	v_readfirstlane_b32 s8, v4
	s_mul_i32 s9, s17, s26
	s_mul_hi_u32 s28, s17, s8
	s_mul_i32 s27, s25, s8
	s_add_i32 s9, s28, s9
	s_mul_i32 s29, s17, s8
	s_add_i32 s9, s9, s27
	s_mul_i32 s28, s8, s9
	s_mul_hi_u32 s30, s8, s29
	s_mul_hi_u32 s27, s8, s9
	s_add_u32 s28, s30, s28
	s_addc_u32 s27, 0, s27
	s_mul_hi_u32 s31, s26, s29
	s_mul_i32 s29, s26, s29
	s_add_u32 s28, s28, s29
	s_mul_hi_u32 s30, s26, s9
	s_addc_u32 s27, s27, s31
	s_addc_u32 s28, s30, 0
	s_mul_i32 s9, s26, s9
	s_add_u32 s9, s27, s9
	s_addc_u32 s27, 0, s28
	s_add_u32 s28, s8, s9
	s_cselect_b64 s[8:9], -1, 0
	s_cmp_lg_u64 s[8:9], 0
	s_addc_u32 s26, s26, s27
	s_mul_i32 s8, s17, s26
	s_mul_hi_u32 s9, s17, s28
	s_add_i32 s8, s9, s8
	s_mul_i32 s25, s25, s28
	s_add_i32 s8, s8, s25
	s_mul_i32 s17, s17, s28
	s_mul_hi_u32 s25, s26, s17
	s_mul_i32 s27, s26, s17
	s_mul_i32 s30, s28, s8
	s_mul_hi_u32 s17, s28, s17
	s_mul_hi_u32 s29, s28, s8
	s_add_u32 s17, s17, s30
	s_addc_u32 s29, 0, s29
	s_add_u32 s17, s17, s27
	s_mul_hi_u32 s9, s26, s8
	s_addc_u32 s17, s29, s25
	s_addc_u32 s9, s9, 0
	s_mul_i32 s8, s26, s8
	s_add_u32 s8, s17, s8
	s_addc_u32 s17, 0, s9
	s_add_u32 s25, s28, s8
	s_cselect_b64 s[8:9], -1, 0
	s_cmp_lg_u64 s[8:9], 0
	s_addc_u32 s17, s26, s17
	s_ashr_i32 s8, s1, 31
	s_add_u32 s26, s16, s8
	s_mov_b32 s9, s8
	s_addc_u32 s27, s1, s8
	s_xor_b64 s[26:27], s[26:27], s[8:9]
	s_mul_i32 s28, s26, s17
	s_mul_hi_u32 s29, s26, s25
	s_mul_hi_u32 s1, s26, s17
	s_add_u32 s28, s29, s28
	s_addc_u32 s1, 0, s1
	s_mul_hi_u32 s30, s27, s25
	s_mul_i32 s25, s27, s25
	s_add_u32 s25, s28, s25
	s_mul_hi_u32 s29, s27, s17
	s_addc_u32 s1, s1, s30
	s_addc_u32 s25, s29, 0
	s_mul_i32 s17, s27, s17
	s_add_u32 s1, s1, s17
	s_addc_u32 s17, 0, s25
	s_mul_i32 s25, s2, s17
	s_mul_hi_u32 s28, s2, s1
	s_add_i32 s25, s28, s25
	s_mul_i32 s28, s3, s1
	s_add_i32 s25, s25, s28
	s_sub_i32 s30, s27, s25
	s_mul_i32 s28, s2, s1
	s_sub_u32 s26, s26, s28
	s_cselect_b64 s[28:29], -1, 0
	s_cmp_lg_u64 s[28:29], 0
	s_subb_u32 s33, s30, s3
	s_sub_u32 s34, s26, s2
	s_cselect_b64 s[30:31], -1, 0
	s_cmp_lg_u64 s[30:31], 0
	s_subb_u32 s30, s33, 0
	s_cmp_ge_u32 s30, s3
	s_cselect_b32 s31, -1, 0
	s_cmp_ge_u32 s34, s2
	s_cselect_b32 s33, -1, 0
	s_cmp_eq_u32 s30, s3
	s_cselect_b32 s30, s33, s31
	s_add_u32 s31, s1, 1
	s_addc_u32 s33, s17, 0
	s_add_u32 s34, s1, 2
	s_addc_u32 s35, s17, 0
	s_cmp_lg_u32 s30, 0
	s_cselect_b32 s30, s34, s31
	s_cselect_b32 s31, s35, s33
	s_cmp_lg_u64 s[28:29], 0
	s_subb_u32 s25, s27, s25
	s_cmp_ge_u32 s25, s3
	s_cselect_b32 s27, -1, 0
	s_cmp_ge_u32 s26, s2
	s_cselect_b32 s2, -1, 0
	s_cmp_eq_u32 s25, s3
	s_cselect_b32 s2, s2, s27
	s_cmp_lg_u32 s2, 0
	s_cselect_b32 s3, s31, s17
	s_cselect_b32 s2, s30, s1
	s_xor_b64 s[8:9], s[8:9], 0
	s_xor_b64 s[2:3], s[2:3], s[8:9]
	s_sub_u32 s8, s2, s8
	s_cbranch_execnz .LBB17_11
.LBB17_10:
	s_sub_i32 s1, 0, s22
	v_readfirstlane_b32 s2, v7
	s_mul_i32 s1, s1, s2
	s_mul_hi_u32 s1, s2, s1
	s_add_i32 s2, s2, s1
	s_mul_hi_u32 s1, s16, s2
	s_mul_i32 s3, s1, s22
	s_sub_i32 s3, s16, s3
	s_add_i32 s2, s1, 1
	s_sub_i32 s8, s3, s22
	s_cmp_ge_u32 s3, s22
	s_cselect_b32 s1, s2, s1
	s_cselect_b32 s3, s8, s3
	s_add_i32 s2, s1, 1
	s_cmp_ge_u32 s3, s22
	s_cselect_b32 s8, s2, s1
.LBB17_11:
	s_cmp_lg_u32 s6, s8
	s_cbranch_scc0 .LBB17_15
; %bb.12:
	s_add_i32 s1, s21, s22
	s_lshl_b32 s1, s1, 5
	s_add_i32 s2, s1, s15
	s_mov_b32 s3, s0
	s_lshl_b64 s[2:3], s[2:3], 3
	s_add_u32 s16, s18, s2
	s_mul_hi_u32 s1, s8, s12
	s_addc_u32 s17, s19, s3
	s_add_i32 s1, s1, s8
	s_lshr_b32 s1, s1, s13
	s_mul_i32 s2, s1, s14
	s_cmp_eq_u32 s2, s8
	s_cselect_b64 s[2:3], -1, 0
	s_cmp_lt_u32 s1, s7
	s_cselect_b64 s[26:27], -1, 0
	s_or_b64 s[26:27], s[26:27], s[2:3]
	s_mov_b64 s[2:3], -1
	s_and_b64 vcc, exec, s[26:27]
	s_mov_b32 s1, s21
	s_mov_b32 s25, s6
	s_cbranch_vccnz .LBB17_14
; %bb.13:
	s_add_i32 s1, s21, -1
	s_mov_b64 s[2:3], 0
	s_mov_b32 s25, s8
.LBB17_14:
	s_mul_i32 s8, s21, 0xc00
	v_add_u32_e32 v4, s8, v6
	v_ashrrev_i32_e32 v5, 31, v4
	v_lshl_add_u64 v[4:5], v[4:5], 2, s[4:5]
	global_load_dword v5, v[4:5], off
	s_load_dwordx2 s[8:9], s[16:17], 0x0
	v_max_f32_e32 v4, v9, v9
	s_waitcnt lgkmcnt(0)
	v_max_f32_e64 v10, s8, s8
	v_max_f32_e32 v10, v4, v10
	v_sub_f32_e32 v11, v9, v10
	v_sub_f32_e32 v13, s8, v10
	v_mul_f32_e32 v4, 0x3fb8aa3b, v11
	v_mul_f32_e32 v12, 0x3fb8aa3b, v13
	v_fma_f32 v14, v11, s10, -v4
	v_rndne_f32_e32 v15, v4
	v_fma_f32 v16, v13, s10, -v12
	v_rndne_f32_e32 v17, v12
	v_fmac_f32_e32 v14, 0x32a5705f, v11
	v_sub_f32_e32 v4, v4, v15
	v_fmac_f32_e32 v16, 0x32a5705f, v13
	v_sub_f32_e32 v12, v12, v17
	v_add_f32_e32 v4, v4, v14
	v_cvt_i32_f32_e32 v15, v15
	v_add_f32_e32 v12, v12, v16
	v_exp_f32_e32 v14, v4
	v_cvt_i32_f32_e32 v17, v17
	v_exp_f32_e32 v12, v12
	v_cmp_ngt_f32_e32 vcc, s20, v11
	v_ldexp_f32 v14, v14, v15
	v_mov_b32_e32 v4, s9
	v_ldexp_f32 v12, v12, v17
	v_cndmask_b32_e32 v14, 0, v14, vcc
	v_cmp_ngt_f32_e32 vcc, s20, v13
	s_nop 1
	v_cndmask_b32_e32 v12, 0, v12, vcc
	v_cmp_nlt_f32_e32 vcc, s23, v11
	s_nop 1
	v_cndmask_b32_e32 v14, v8, v14, vcc
	v_cmp_nlt_f32_e32 vcc, s23, v13
	s_nop 1
	v_cndmask_b32_e32 v15, v8, v12, vcc
	v_cmp_le_f32_e32 vcc, s24, v11
	s_nop 1
	v_cndmask_b32_e32 v12, 0, v14, vcc
	v_cmp_le_f32_e32 vcc, s24, v13
	s_nop 1
	v_cndmask_b32_e32 v14, 0, v15, vcc
	s_waitcnt vmcnt(0)
	v_pk_mul_f32 v[4:5], v[4:5], v[14:15] op_sel_hi:[1,0]
	s_nop 0
	v_pk_fma_f32 v[4:5], v[0:1], v[12:13], v[4:5] op_sel_hi:[1,0,1]
	s_cbranch_execz .LBB17_16
	s_branch .LBB17_17
.LBB17_15:
                                        ; implicit-def: $vgpr4_vgpr5
                                        ; implicit-def: $sgpr2_sgpr3
                                        ; implicit-def: $vgpr10
                                        ; implicit-def: $sgpr1
                                        ; implicit-def: $sgpr25
.LBB17_16:
	s_add_i32 s1, s21, -1
	s_mov_b64 s[2:3], 0
	s_mov_b32 s25, s6
	v_mov_b32_e32 v10, v9
	s_waitcnt vmcnt(0)
	v_mov_b64_e32 v[4:5], v[0:1]
.LBB17_17:
	s_andn2_b64 vcc, exec, s[2:3]
	s_cbranch_vccz .LBB17_22
; %bb.18:
	s_mov_b32 s6, s25
	s_mov_b32 s21, s1
	v_mov_b32_e32 v9, v10
	s_waitcnt vmcnt(0)
	v_mov_b64_e32 v[0:1], v[4:5]
	s_mul_hi_i32 s1, s21, s11
	s_cmp_lg_u64 s[0:1], 0
	s_mul_i32 s16, s21, s11
	s_cbranch_scc1 .LBB17_9
.LBB17_19:
                                        ; implicit-def: $sgpr8_sgpr9
	s_branch .LBB17_10
.LBB17_20:
                                        ; implicit-def: $sgpr6_sgpr7
	s_load_dwordx4 s[12:15], s[0:1], 0x44
	s_branch .LBB17_2
.LBB17_21:
                                        ; implicit-def: $sgpr18_sgpr19
	s_branch .LBB17_5
.LBB17_22:
	v_div_scale_f32 v0, s[0:1], v4, v4, v5
	s_waitcnt vmcnt(0)
	v_rcp_f32_e32 v1, v0
	v_div_scale_f32 v6, vcc, v5, v4, v5
	v_fma_f32 v7, -v0, v1, 1.0
	v_fmac_f32_e32 v1, v7, v1
	v_mul_f32_e32 v7, v6, v1
	v_fma_f32 v8, -v0, v7, v6
	v_fmac_f32_e32 v7, v8, v1
	v_fma_f32 v0, -v0, v7, v6
	v_div_fmas_f32 v0, v0, v1, v7
	v_div_fixup_f32 v0, v0, v4, v5
	global_store_dword v[2:3], v0, off
.LBB17_23:
	s_endpgm
	.section	.rodata,"a",@progbits
	.p2align	6, 0x0
	.amdhsa_kernel _ZL33flash_attn_stream_k_fixup_generalILi96ELi32ELi1EEvPfPK15HIP_vector_typeIfLj2EEiiiiS1_IjLj3EES5_S5_S5_
		.amdhsa_group_segment_fixed_size 0
		.amdhsa_private_segment_fixed_size 0
		.amdhsa_kernarg_size 336
		.amdhsa_user_sgpr_count 2
		.amdhsa_user_sgpr_dispatch_ptr 0
		.amdhsa_user_sgpr_queue_ptr 0
		.amdhsa_user_sgpr_kernarg_segment_ptr 1
		.amdhsa_user_sgpr_dispatch_id 0
		.amdhsa_user_sgpr_kernarg_preload_length 0
		.amdhsa_user_sgpr_kernarg_preload_offset 0
		.amdhsa_user_sgpr_private_segment_size 0
		.amdhsa_uses_dynamic_stack 0
		.amdhsa_enable_private_segment 0
		.amdhsa_system_sgpr_workgroup_id_x 1
		.amdhsa_system_sgpr_workgroup_id_y 1
		.amdhsa_system_sgpr_workgroup_id_z 1
		.amdhsa_system_sgpr_workgroup_info 0
		.amdhsa_system_vgpr_workitem_id 0
		.amdhsa_next_free_vgpr 18
		.amdhsa_next_free_sgpr 36
		.amdhsa_accum_offset 20
		.amdhsa_reserve_vcc 1
		.amdhsa_float_round_mode_32 0
		.amdhsa_float_round_mode_16_64 0
		.amdhsa_float_denorm_mode_32 3
		.amdhsa_float_denorm_mode_16_64 3
		.amdhsa_dx10_clamp 1
		.amdhsa_ieee_mode 1
		.amdhsa_fp16_overflow 0
		.amdhsa_tg_split 0
		.amdhsa_exception_fp_ieee_invalid_op 0
		.amdhsa_exception_fp_denorm_src 0
		.amdhsa_exception_fp_ieee_div_zero 0
		.amdhsa_exception_fp_ieee_overflow 0
		.amdhsa_exception_fp_ieee_underflow 0
		.amdhsa_exception_fp_ieee_inexact 0
		.amdhsa_exception_int_div_zero 0
	.end_amdhsa_kernel
	.section	.text._ZL33flash_attn_stream_k_fixup_generalILi96ELi32ELi1EEvPfPK15HIP_vector_typeIfLj2EEiiiiS1_IjLj3EES5_S5_S5_,"axG",@progbits,_ZL33flash_attn_stream_k_fixup_generalILi96ELi32ELi1EEvPfPK15HIP_vector_typeIfLj2EEiiiiS1_IjLj3EES5_S5_S5_,comdat
.Lfunc_end17:
	.size	_ZL33flash_attn_stream_k_fixup_generalILi96ELi32ELi1EEvPfPK15HIP_vector_typeIfLj2EEiiiiS1_IjLj3EES5_S5_S5_, .Lfunc_end17-_ZL33flash_attn_stream_k_fixup_generalILi96ELi32ELi1EEvPfPK15HIP_vector_typeIfLj2EEiiiiS1_IjLj3EES5_S5_S5_
                                        ; -- End function
	.set _ZL33flash_attn_stream_k_fixup_generalILi96ELi32ELi1EEvPfPK15HIP_vector_typeIfLj2EEiiiiS1_IjLj3EES5_S5_S5_.num_vgpr, 18
	.set _ZL33flash_attn_stream_k_fixup_generalILi96ELi32ELi1EEvPfPK15HIP_vector_typeIfLj2EEiiiiS1_IjLj3EES5_S5_S5_.num_agpr, 0
	.set _ZL33flash_attn_stream_k_fixup_generalILi96ELi32ELi1EEvPfPK15HIP_vector_typeIfLj2EEiiiiS1_IjLj3EES5_S5_S5_.numbered_sgpr, 36
	.set _ZL33flash_attn_stream_k_fixup_generalILi96ELi32ELi1EEvPfPK15HIP_vector_typeIfLj2EEiiiiS1_IjLj3EES5_S5_S5_.num_named_barrier, 0
	.set _ZL33flash_attn_stream_k_fixup_generalILi96ELi32ELi1EEvPfPK15HIP_vector_typeIfLj2EEiiiiS1_IjLj3EES5_S5_S5_.private_seg_size, 0
	.set _ZL33flash_attn_stream_k_fixup_generalILi96ELi32ELi1EEvPfPK15HIP_vector_typeIfLj2EEiiiiS1_IjLj3EES5_S5_S5_.uses_vcc, 1
	.set _ZL33flash_attn_stream_k_fixup_generalILi96ELi32ELi1EEvPfPK15HIP_vector_typeIfLj2EEiiiiS1_IjLj3EES5_S5_S5_.uses_flat_scratch, 0
	.set _ZL33flash_attn_stream_k_fixup_generalILi96ELi32ELi1EEvPfPK15HIP_vector_typeIfLj2EEiiiiS1_IjLj3EES5_S5_S5_.has_dyn_sized_stack, 0
	.set _ZL33flash_attn_stream_k_fixup_generalILi96ELi32ELi1EEvPfPK15HIP_vector_typeIfLj2EEiiiiS1_IjLj3EES5_S5_S5_.has_recursion, 0
	.set _ZL33flash_attn_stream_k_fixup_generalILi96ELi32ELi1EEvPfPK15HIP_vector_typeIfLj2EEiiiiS1_IjLj3EES5_S5_S5_.has_indirect_call, 0
	.section	.AMDGPU.csdata,"",@progbits
; Kernel info:
; codeLenInByte = 2936
; TotalNumSgprs: 42
; NumVgprs: 18
; NumAgprs: 0
; TotalNumVgprs: 18
; ScratchSize: 0
; MemoryBound: 0
; FloatMode: 240
; IeeeMode: 1
; LDSByteSize: 0 bytes/workgroup (compile time only)
; SGPRBlocks: 5
; VGPRBlocks: 2
; NumSGPRsForWavesPerEU: 42
; NumVGPRsForWavesPerEU: 18
; AccumOffset: 20
; Occupancy: 8
; WaveLimiterHint : 0
; COMPUTE_PGM_RSRC2:SCRATCH_EN: 0
; COMPUTE_PGM_RSRC2:USER_SGPR: 2
; COMPUTE_PGM_RSRC2:TRAP_HANDLER: 0
; COMPUTE_PGM_RSRC2:TGID_X_EN: 1
; COMPUTE_PGM_RSRC2:TGID_Y_EN: 1
; COMPUTE_PGM_RSRC2:TGID_Z_EN: 1
; COMPUTE_PGM_RSRC2:TIDIG_COMP_CNT: 0
; COMPUTE_PGM_RSRC3_GFX90A:ACCUM_OFFSET: 4
; COMPUTE_PGM_RSRC3_GFX90A:TG_SPLIT: 0
	.section	.text._ZL26flash_attn_combine_resultsILi96EEvPKfPK15HIP_vector_typeIfLj2EEPfi,"axG",@progbits,_ZL26flash_attn_combine_resultsILi96EEvPKfPK15HIP_vector_typeIfLj2EEPfi,comdat
	.globl	_ZL26flash_attn_combine_resultsILi96EEvPKfPK15HIP_vector_typeIfLj2EEPfi ; -- Begin function _ZL26flash_attn_combine_resultsILi96EEvPKfPK15HIP_vector_typeIfLj2EEPfi
	.p2align	8
	.type	_ZL26flash_attn_combine_resultsILi96EEvPKfPK15HIP_vector_typeIfLj2EEPfi,@function
_ZL26flash_attn_combine_resultsILi96EEvPKfPK15HIP_vector_typeIfLj2EEPfi: ; @_ZL26flash_attn_combine_resultsILi96EEvPKfPK15HIP_vector_typeIfLj2EEPfi
; %bb.0:
	s_load_dwordx2 s[6:7], s[0:1], 0x20
	s_load_dword s25, s[0:1], 0x18
	s_load_dwordx4 s[16:19], s[0:1], 0x0
	s_load_dwordx2 s[14:15], s[0:1], 0x10
	s_waitcnt lgkmcnt(0)
	s_mul_i32 s0, s6, s4
	s_add_i32 s0, s0, s2
	s_mul_i32 s24, s0, s7
	s_add_i32 s24, s24, s3
	s_lshl_b32 s12, s25, 1
	s_mul_i32 s2, s24, s25
	v_cmp_gt_i32_e32 vcc, s12, v0
	s_and_saveexec_b64 s[0:1], vcc
	s_cbranch_execz .LBB18_13
; %bb.1:
	v_xad_u32 v1, v0, -1, s12
	s_movk_i32 s4, 0x5f
	s_ashr_i32 s3, s2, 31
	v_cmp_lt_u32_e32 vcc, s4, v1
	s_mov_b64 s[6:7], -1
	v_mov_b32_e32 v2, v0
	s_and_saveexec_b64 s[4:5], vcc
	s_cbranch_execz .LBB18_10
; %bb.2:
	s_mov_b32 s6, 0xaaaaaaab
	v_mul_hi_u32 v1, v1, s6
	v_lshrrev_b32_e32 v6, 6, v1
	s_lshl_b64 s[6:7], s[2:3], 3
	v_add_u32_e32 v2, -1, v6
	s_add_u32 s6, s18, s6
	v_add_u32_e32 v1, 0x60, v0
	v_lshrrev_b32_e32 v3, 1, v2
	s_addc_u32 s7, s19, s7
	v_add_u32_e32 v7, 1, v3
	v_cmp_lt_u32_e32 vcc, 13, v2
	v_mov_b32_e32 v4, 0
	v_mov_b64_e32 v[2:3], v[0:1]
	s_and_saveexec_b64 s[8:9], vcc
	s_cbranch_execz .LBB18_6
; %bb.3:
	v_and_b32_e32 v8, -8, v7
	s_mov_b32 s13, 0
	v_lshl_add_u32 v9, v0, 2, 0
	s_mov_b64 s[10:11], 0
	v_mov_b32_e32 v5, 0
	v_mov_b64_e32 v[2:3], v[0:1]
.LBB18_4:                               ; =>This Inner Loop Header: Depth=1
	v_mov_b32_e32 v4, v2
	v_lshl_add_u64 v[24:25], v[4:5], 2, s[6:7]
	v_mov_b32_e32 v4, v3
	v_add_u32_e32 v10, 0xc0, v3
	v_mov_b32_e32 v11, v5
	v_lshl_add_u64 v[26:27], v[4:5], 2, s[6:7]
	v_add_u32_e32 v4, 0xc0, v2
	v_lshl_add_u64 v[10:11], v[10:11], 2, s[6:7]
	global_load_dword v1, v[24:25], off
	v_lshl_add_u64 v[24:25], v[4:5], 2, s[6:7]
	v_add_u32_e32 v4, 0x180, v2
	global_load_dword v28, v[26:27], off
	global_load_dword v29, v[24:25], off
	;; [unrolled: 1-line block ×3, first 2 shown]
	v_lshl_add_u64 v[10:11], v[4:5], 2, s[6:7]
	v_add_u32_e32 v4, 0x240, v2
	v_add_u32_e32 v12, 0x180, v3
	v_mov_b32_e32 v13, v5
	v_add_u32_e32 v14, 0x240, v3
	v_mov_b32_e32 v15, v5
	v_lshl_add_u64 v[24:25], v[4:5], 2, s[6:7]
	v_add_u32_e32 v4, 0x300, v2
	v_lshl_add_u64 v[12:13], v[12:13], 2, s[6:7]
	v_lshl_add_u64 v[14:15], v[14:15], 2, s[6:7]
	global_load_dword v26, v[10:11], off
	global_load_dword v27, v[12:13], off
	;; [unrolled: 1-line block ×4, first 2 shown]
	v_lshl_add_u64 v[10:11], v[4:5], 2, s[6:7]
	v_add_u32_e32 v4, 0x3c0, v2
	v_add_u32_e32 v16, 0x300, v3
	v_mov_b32_e32 v17, v5
	v_add_u32_e32 v18, 0x3c0, v3
	v_mov_b32_e32 v19, v5
	v_lshl_add_u64 v[12:13], v[4:5], 2, s[6:7]
	v_add_u32_e32 v4, 0x480, v2
	v_add_u32_e32 v20, 0x480, v3
	v_mov_b32_e32 v21, v5
	v_add_u32_e32 v22, 0x540, v3
	v_mov_b32_e32 v23, v5
	v_lshl_add_u64 v[16:17], v[16:17], 2, s[6:7]
	v_lshl_add_u64 v[18:19], v[18:19], 2, s[6:7]
	global_load_dword v14, v[10:11], off
	global_load_dword v15, v[16:17], off
	;; [unrolled: 1-line block ×4, first 2 shown]
	v_lshl_add_u64 v[10:11], v[4:5], 2, s[6:7]
	v_add_u32_e32 v4, 0x540, v2
	v_lshl_add_u64 v[20:21], v[20:21], 2, s[6:7]
	v_lshl_add_u64 v[22:23], v[22:23], 2, s[6:7]
	v_lshl_add_u64 v[12:13], v[4:5], 2, s[6:7]
	global_load_dword v16, v[10:11], off
	global_load_dword v17, v[20:21], off
	;; [unrolled: 1-line block ×4, first 2 shown]
	v_add_u32_e32 v8, -8, v8
	s_add_i32 s13, s13, 16
	v_cmp_eq_u32_e32 vcc, 0, v8
	v_add_u32_e32 v10, 0x200, v9
	v_add_u32_e32 v11, 0x400, v9
	;; [unrolled: 1-line block ×8, first 2 shown]
	v_mov_b32_e32 v4, s13
	s_or_b64 s[10:11], vcc, s[10:11]
	v_add_u32_e32 v2, 0x600, v2
	s_waitcnt vmcnt(14)
	ds_write2_b32 v9, v1, v28 offset1:96
	v_add_u32_e32 v9, 0x1800, v9
	s_waitcnt vmcnt(12)
	ds_write2_b32 v10, v29, v30 offset0:64 offset1:160
	s_waitcnt vmcnt(10)
	ds_write2_b32 v11, v26, v27 offset0:128 offset1:224
	;; [unrolled: 2-line block ×3, first 2 shown]
	s_waitcnt vmcnt(6)
	ds_write2_b32 v13, v14, v15 offset1:96
	s_waitcnt vmcnt(4)
	ds_write2_b32 v20, v24, v25 offset0:64 offset1:160
	s_waitcnt vmcnt(2)
	ds_write2_b32 v21, v16, v17 offset0:128 offset1:224
	;; [unrolled: 2-line block ×3, first 2 shown]
	s_andn2_b64 exec, exec, s[10:11]
	s_cbranch_execnz .LBB18_4
; %bb.5:
	s_or_b64 exec, exec, s[10:11]
.LBB18_6:
	s_or_b64 exec, exec, s[8:9]
	v_and_b32_e32 v1, 7, v7
	v_cmp_ne_u32_e32 vcc, 0, v1
	s_and_saveexec_b64 s[8:9], vcc
	s_cbranch_execz .LBB18_9
; %bb.7:
	s_movk_i32 s10, 0x180
	v_mul_lo_u32 v4, v4, s10
	v_lshlrev_b32_e32 v5, 2, v0
	v_add3_u32 v7, v4, v5, 0
	s_mov_b64 s[10:11], 0
	v_mov_b32_e32 v5, 0
.LBB18_8:                               ; =>This Inner Loop Header: Depth=1
	v_mov_b32_e32 v4, v2
	v_lshl_add_u64 v[8:9], v[4:5], 2, s[6:7]
	v_mov_b32_e32 v4, v3
	v_lshl_add_u64 v[10:11], v[4:5], 2, s[6:7]
	global_load_dword v4, v[8:9], off
	global_load_dword v12, v[10:11], off
	v_add_u32_e32 v1, -1, v1
	v_cmp_eq_u32_e32 vcc, 0, v1
	v_add_u32_e32 v2, 0xc0, v2
	v_add_u32_e32 v3, 0xc0, v3
	s_or_b64 s[10:11], vcc, s[10:11]
	s_waitcnt vmcnt(0)
	ds_write2_b32 v7, v4, v12 offset1:96
	v_add_u32_e32 v7, 0x300, v7
	s_andn2_b64 exec, exec, s[10:11]
	s_cbranch_execnz .LBB18_8
.LBB18_9:
	s_or_b64 exec, exec, s[8:9]
	v_add_u32_e32 v1, 1, v6
	v_and_b32_e32 v4, 0x7fffffe, v1
	s_movk_i32 s6, 0x60
	v_mad_u64_u32 v[2:3], s[6:7], v4, s6, v[0:1]
	v_cmp_ne_u32_e32 vcc, v1, v4
	s_orn2_b64 s[6:7], vcc, exec
.LBB18_10:
	s_or_b64 exec, exec, s[4:5]
	s_and_b64 exec, exec, s[6:7]
	s_cbranch_execz .LBB18_13
; %bb.11:
	s_lshl_b64 s[4:5], s[2:3], 3
	s_add_u32 s4, s18, s4
	v_mov_b32_e32 v3, 0
	s_addc_u32 s5, s19, s5
	v_lshl_add_u64 v[4:5], v[2:3], 2, s[4:5]
	v_lshl_add_u32 v1, v2, 2, 0
	s_mov_b64 s[4:5], 0
	s_mov_b64 s[6:7], 0x180
.LBB18_12:                              ; =>This Inner Loop Header: Depth=1
	global_load_dword v3, v[4:5], off
	v_add_u32_e32 v2, 0x60, v2
	v_cmp_le_i32_e32 vcc, s12, v2
	v_lshl_add_u64 v[4:5], v[4:5], 0, s[6:7]
	s_or_b64 s[4:5], vcc, s[4:5]
	s_waitcnt vmcnt(0)
	ds_write_b32 v1, v3
	v_add_u32_e32 v1, 0x180, v1
	s_andn2_b64 exec, exec, s[4:5]
	s_cbranch_execnz .LBB18_12
.LBB18_13:
	s_or_b64 exec, exec, s[0:1]
	v_mov_b32_e32 v1, 0
	s_waitcnt lgkmcnt(0)
	s_barrier
	ds_read_b32 v1, v1
	s_cmp_lt_i32 s25, 2
	s_cbranch_scc1 .LBB18_21
; %bb.14:
	s_cmp_eq_u32 s25, 2
	s_cbranch_scc1 .LBB18_18
; %bb.15:
	s_add_i32 s3, s25, -1
	s_and_b32 s4, s3, -2
	s_add_i32 s6, 0, 8
	s_mov_b32 s5, 2
	s_waitcnt lgkmcnt(0)
	v_mov_b32_e32 v4, v1
.LBB18_16:                              ; =>This Inner Loop Header: Depth=1
	v_mov_b32_e32 v2, v1
	v_mov_b32_e32 v1, s6
	;; [unrolled: 1-line block ×3, first 2 shown]
	ds_read2_b32 v[4:5], v1 offset1:2
	s_cmp_lg_u32 s4, s5
	s_cselect_b64 s[8:9], -1, 0
	v_max_f32_e32 v1, v3, v3
	v_max_f32_e32 v6, v2, v2
	s_waitcnt lgkmcnt(0)
	v_cmp_u_f32_e32 vcc, v5, v5
	v_max_f32_e32 v7, v5, v5
	v_max_f32_e32 v8, v4, v4
	v_cndmask_b32_e64 v5, 0, 1, vcc
	v_cmp_u_f32_e32 vcc, v4, v4
	v_readfirstlane_b32 s0, v5
	s_lshl_b32 s0, s0, 1
	v_cndmask_b32_e64 v9, 0, 1, vcc
	v_max_f32_e32 v4, v1, v7
	v_readfirstlane_b32 s1, v9
	s_or_b32 s0, s1, s0
	s_and_b32 s7, s0, 3
	s_cmp_lg_u32 s7, 0
	s_cselect_b64 s[0:1], -1, 0
	s_cmp_eq_u32 s7, 0
	s_cselect_b64 s[10:11], -1, 0
	s_and_b64 s[8:9], s[10:11], s[8:9]
	v_max_f32_e32 v1, v6, v8
	s_add_i32 s5, s5, 2
	s_add_i32 s6, s6, 16
	s_and_b64 vcc, exec, s[8:9]
	s_cbranch_vccnz .LBB18_16
; %bb.17:
	s_add_i32 s5, s5, -4
	s_and_b64 s[6:7], s[0:1], exec
	s_cselect_b32 s5, s5, s3
	s_or_b32 s5, s5, 1
	v_cndmask_b32_e64 v1, v1, v2, s[0:1]
	v_cndmask_b32_e64 v2, v4, v3, s[0:1]
	s_cmp_lg_u32 s3, s4
	v_max_f32_e32 v2, v2, v2
	v_max_f32_e32 v1, v1, v1
	s_cselect_b64 s[6:7], -1, 0
	v_max_f32_e32 v1, v1, v2
	s_or_b64 s[0:1], s[6:7], s[0:1]
	s_and_b64 vcc, exec, s[0:1]
	s_cbranch_vccnz .LBB18_19
	s_branch .LBB18_21
.LBB18_18:
	s_mov_b32 s5, 1
	s_cbranch_execz .LBB18_21
.LBB18_19:
	s_lshl_b32 s1, s5, 3
	s_sub_i32 s0, s25, s5
	s_add_i32 s1, s1, 0
.LBB18_20:                              ; =>This Inner Loop Header: Depth=1
	v_mov_b32_e32 v2, s1
	ds_read_b32 v2, v2
	s_waitcnt lgkmcnt(1)
	v_max_f32_e32 v1, v1, v1
	s_add_i32 s0, s0, -1
	s_add_i32 s1, s1, 8
	s_cmp_eq_u32 s0, 0
	s_waitcnt lgkmcnt(0)
	v_max_f32_e32 v2, v2, v2
	v_max_f32_e32 v1, v1, v2
	s_cbranch_scc0 .LBB18_20
.LBB18_21:
	s_cmp_lt_i32 s25, 1
	s_cbranch_scc1 .LBB18_26
; %bb.22:
	s_mul_i32 s18, s2, 0x60
	s_ashr_i32 s19, s18, 31
	s_cmp_lt_u32 s25, 8
	s_cbranch_scc1 .LBB18_27
; %bb.23:
	s_lshl_b64 s[0:1], s[18:19], 2
	s_add_u32 s20, s16, s0
	s_addc_u32 s21, s17, s1
	v_lshlrev_b32_e32 v4, 2, v0
	v_mov_b32_e32 v5, 0
	v_lshl_add_u64 v[2:3], s[20:21], 0, v[4:5]
	s_mov_b64 s[0:1], 0x180
	s_and_b32 s26, s25, 0x7ffffff8
	v_lshl_add_u64 v[6:7], v[2:3], 0, s[0:1]
	v_add_u32_e32 v8, 0x2a0, v0
	s_mov_b32 s27, 0
	s_mov_b32 s28, 0x3fb8aa3b
	s_mov_b32 s29, 0xc2ce8ed0
	s_mov_b32 s30, 0x42b17218
	v_mov_b32_e32 v12, 0x7f800000
	s_mov_b64 s[22:23], 0xc00
	s_mov_b32 s31, 0
	v_mov_b32_e32 v2, v5
	v_mov_b32_e32 v3, v5
.LBB18_24:                              ; =>This Inner Loop Header: Depth=1
	v_add_u32_e32 v4, 0xfffffd60, v8
	v_mov_b32_e32 v10, s27
	v_lshl_add_u64 v[30:31], v[4:5], 2, s[20:21]
	v_add_u32_e32 v4, 0xfffffe20, v8
	global_load_dword v11, v[6:7], off
	ds_read2_b64 v[14:17], v10 offset1:1
	ds_read2_b64 v[18:21], v10 offset0:2 offset1:3
	ds_read2_b64 v[22:25], v10 offset0:4 offset1:5
	;; [unrolled: 1-line block ×3, first 2 shown]
	v_lshl_add_u64 v[34:35], v[4:5], 2, s[20:21]
	v_add_u32_e32 v4, 0xfffffe80, v8
	global_load_dword v37, v[30:31], off
	global_load_dword v39, v[34:35], off
	v_lshl_add_u64 v[30:31], v[4:5], 2, s[20:21]
	v_add_u32_e32 v4, 0xfffffee0, v8
	v_lshl_add_u64 v[34:35], v[4:5], 2, s[20:21]
	v_add_u32_e32 v4, 0xffffff40, v8
	global_load_dword v41, v[30:31], off
	global_load_dword v43, v[34:35], off
	v_lshl_add_u64 v[30:31], v[4:5], 2, s[20:21]
	v_add_u32_e32 v4, 0xffffffa0, v8
	s_waitcnt lgkmcnt(3)
	v_mov_b32_e32 v36, v15
	global_load_dword v15, v[30:31], off
	v_mov_b32_e32 v9, v5
	v_sub_f32_e32 v13, v16, v1
	v_mov_b32_e32 v10, v17
	v_lshl_add_u64 v[16:17], v[4:5], 2, s[20:21]
	v_lshl_add_u64 v[32:33], v[8:9], 2, s[20:21]
	s_waitcnt lgkmcnt(2)
	v_mov_b32_e32 v38, v19
	v_mov_b32_e32 v40, v21
	global_load_dword v19, v[16:17], off
	global_load_dword v21, v[32:33], off
	v_sub_f32_e32 v9, v14, v1
	v_sub_f32_e32 v34, v18, v1
	;; [unrolled: 1-line block ×3, first 2 shown]
	s_waitcnt lgkmcnt(1)
	v_sub_f32_e32 v22, v22, v1
	v_mov_b32_e32 v42, v23
	v_sub_f32_e32 v23, v24, v1
	v_mov_b32_e32 v14, v25
	s_waitcnt lgkmcnt(0)
	v_sub_f32_e32 v24, v26, v1
	v_sub_f32_e32 v4, v28, v1
	v_mul_f32_e32 v25, 0x3fb8aa3b, v9
	v_mov_b32_e32 v18, v27
	v_mov_b32_e32 v20, v29
	v_mul_f32_e32 v26, 0x3fb8aa3b, v13
	v_mul_f32_e32 v27, 0x3fb8aa3b, v34
	;; [unrolled: 1-line block ×7, first 2 shown]
	v_fma_f32 v16, v9, s28, -v25
	v_rndne_f32_e32 v17, v25
	v_fma_f32 v32, v13, s28, -v26
	v_rndne_f32_e32 v33, v26
	;; [unrolled: 2-line block ×8, first 2 shown]
	v_fmac_f32_e32 v16, 0x32a5705f, v9
	v_sub_f32_e32 v25, v25, v17
	v_fmac_f32_e32 v32, 0x32a5705f, v13
	v_sub_f32_e32 v26, v26, v33
	;; [unrolled: 2-line block ×8, first 2 shown]
	v_add_f32_e32 v16, v25, v16
	v_cvt_i32_f32_e32 v17, v17
	v_add_f32_e32 v25, v26, v32
	v_add_f32_e32 v26, v27, v45
	;; [unrolled: 1-line block ×7, first 2 shown]
	v_exp_f32_e32 v16, v16
	v_cvt_i32_f32_e32 v33, v33
	v_cvt_i32_f32_e32 v46, v46
	;; [unrolled: 1-line block ×7, first 2 shown]
	v_exp_f32_e32 v25, v25
	v_exp_f32_e32 v26, v26
	;; [unrolled: 1-line block ×7, first 2 shown]
	v_ldexp_f32 v16, v16, v17
	v_cmp_ngt_f32_e64 s[12:13], s29, v9
	v_ldexp_f32 v17, v25, v33
	v_cmp_ngt_f32_e32 vcc, s29, v13
	v_ldexp_f32 v25, v26, v46
	v_cmp_ngt_f32_e64 s[0:1], s29, v34
	v_ldexp_f32 v26, v27, v48
	v_cmp_ngt_f32_e64 s[2:3], s29, v35
	;; [unrolled: 2-line block ×6, first 2 shown]
	v_cndmask_b32_e64 v16, 0, v16, s[12:13]
	v_cmp_nlt_f32_e64 s[12:13], s30, v9
	v_cndmask_b32_e32 v17, 0, v17, vcc
	v_cmp_nlt_f32_e32 vcc, s30, v13
	v_cndmask_b32_e64 v13, 0, v25, s[0:1]
	v_cndmask_b32_e64 v25, 0, v26, s[2:3]
	;; [unrolled: 1-line block ×4, first 2 shown]
	v_cmp_nlt_f32_e64 s[6:7], s30, v23
	v_cndmask_b32_e64 v23, 0, v29, s[8:9]
	v_cndmask_b32_e64 v29, 0, v30, s[10:11]
	v_cmp_nlt_f32_e64 s[10:11], s30, v4
	v_cndmask_b32_e64 v4, v12, v16, s[12:13]
	v_cmp_nlt_f32_e64 s[0:1], s30, v34
	v_cndmask_b32_e32 v16, v12, v17, vcc
	s_waitcnt vmcnt(6)
	v_pk_fma_f32 v[2:3], v[4:5], v[36:37], v[2:3] op_sel_hi:[0,1,1]
	v_cmp_nlt_f32_e64 s[2:3], s30, v35
	v_cmp_nlt_f32_e64 s[4:5], s30, v22
	v_cndmask_b32_e64 v22, v12, v13, s[0:1]
	v_pk_fma_f32 v[2:3], v[16:17], v[10:11], v[2:3] op_sel_hi:[0,1,1]
	v_cmp_nlt_f32_e64 s[8:9], s30, v24
	v_cndmask_b32_e64 v24, v12, v25, s[2:3]
	s_waitcnt vmcnt(5)
	v_pk_fma_f32 v[2:3], v[22:23], v[38:39], v[2:3] op_sel_hi:[0,1,1]
	v_cndmask_b32_e64 v26, v12, v26, s[4:5]
	s_waitcnt vmcnt(4)
	v_pk_fma_f32 v[2:3], v[24:25], v[40:41], v[2:3] op_sel_hi:[0,1,1]
	;; [unrolled: 3-line block ×4, first 2 shown]
	s_add_i32 s31, s31, 8
	s_add_i32 s27, s27, 64
	v_cndmask_b32_e64 v32, v12, v29, s[10:11]
	s_waitcnt vmcnt(1)
	v_pk_fma_f32 v[2:3], v[30:31], v[18:19], v[2:3] op_sel_hi:[0,1,1]
	v_lshl_add_u64 v[6:7], v[6:7], 0, s[22:23]
	s_cmp_eq_u32 s26, s31
	v_add_u32_e32 v8, 0x300, v8
	s_waitcnt vmcnt(0)
	v_pk_fma_f32 v[2:3], v[32:33], v[20:21], v[2:3] op_sel_hi:[0,1,1]
	s_cbranch_scc0 .LBB18_24
; %bb.25:
	s_and_b32 s2, s25, 7
	s_cmp_eq_u32 s2, 0
	s_cbranch_scc0 .LBB18_28
	s_branch .LBB18_30
.LBB18_26:
	s_waitcnt lgkmcnt(0)
	v_mov_b32_e32 v1, 0x7fc00000
	s_branch .LBB18_31
.LBB18_27:
	v_mov_b32_e32 v2, 0
	s_mov_b32 s26, 0
	v_mov_b32_e32 v3, v2
	s_and_b32 s2, s25, 7
	s_cmp_eq_u32 s2, 0
	s_cbranch_scc1 .LBB18_30
.LBB18_28:
	s_lshl_b64 s[0:1], s[18:19], 2
	s_mul_i32 s3, s26, 0x60
	s_add_u32 s0, s16, s0
	v_add_u32_e32 v4, s3, v0
	v_mov_b32_e32 v5, 0
	s_addc_u32 s1, s17, s1
	v_lshl_add_u64 v[4:5], v[4:5], 2, s[0:1]
	s_lshl_b32 s0, s26, 3
	s_add_i32 s3, s0, 0
	s_mov_b32 s4, 0x3fb8aa3b
	s_mov_b32 s5, 0xc2ce8ed0
	;; [unrolled: 1-line block ×3, first 2 shown]
	v_mov_b32_e32 v6, 0x7f800000
	s_mov_b64 s[0:1], 0x180
.LBB18_29:                              ; =>This Inner Loop Header: Depth=1
	global_load_dword v9, v[4:5], off
	v_mov_b32_e32 v7, s3
	ds_read_b64 v[10:11], v7
	s_add_i32 s3, s3, 8
	s_add_i32 s2, s2, -1
	v_lshl_add_u64 v[4:5], v[4:5], 0, s[0:1]
	s_cmp_lg_u32 s2, 0
	s_waitcnt lgkmcnt(0)
	v_sub_f32_e32 v7, v10, v1
	v_mul_f32_e32 v8, 0x3fb8aa3b, v7
	v_fma_f32 v10, v7, s4, -v8
	v_rndne_f32_e32 v12, v8
	v_fmac_f32_e32 v10, 0x32a5705f, v7
	v_sub_f32_e32 v8, v8, v12
	v_add_f32_e32 v8, v8, v10
	v_cvt_i32_f32_e32 v12, v12
	v_exp_f32_e32 v10, v8
	v_cmp_ngt_f32_e32 vcc, s5, v7
	v_mov_b32_e32 v8, v11
	v_ldexp_f32 v10, v10, v12
	v_cndmask_b32_e32 v10, 0, v10, vcc
	v_cmp_nlt_f32_e32 vcc, s6, v7
	s_nop 1
	v_cndmask_b32_e32 v10, v6, v10, vcc
	s_waitcnt vmcnt(0)
	v_pk_fma_f32 v[2:3], v[10:11], v[8:9], v[2:3] op_sel_hi:[0,1,1]
	s_cbranch_scc1 .LBB18_29
.LBB18_30:
	s_waitcnt lgkmcnt(0)
	v_div_scale_f32 v1, s[0:1], v2, v2, v3
	v_rcp_f32_e32 v4, v1
	v_div_scale_f32 v5, vcc, v3, v2, v3
	v_fma_f32 v6, -v1, v4, 1.0
	v_fmac_f32_e32 v4, v6, v4
	v_mul_f32_e32 v6, v5, v4
	v_fma_f32 v7, -v1, v6, v5
	v_fmac_f32_e32 v6, v7, v4
	v_fma_f32 v1, -v1, v6, v5
	v_div_fmas_f32 v1, v1, v4, v6
	v_div_fixup_f32 v1, v1, v2, v3
.LBB18_31:
	s_mul_i32 s0, s24, 0x60
	s_ashr_i32 s1, s0, 31
	s_lshl_b64 s[0:1], s[0:1], 2
	s_add_u32 s0, s14, s0
	s_addc_u32 s1, s15, s1
	v_lshlrev_b32_e32 v0, 2, v0
	global_store_dword v0, v1, s[0:1]
	s_endpgm
	.section	.rodata,"a",@progbits
	.p2align	6, 0x0
	.amdhsa_kernel _ZL26flash_attn_combine_resultsILi96EEvPKfPK15HIP_vector_typeIfLj2EEPfi
		.amdhsa_group_segment_fixed_size 0
		.amdhsa_private_segment_fixed_size 0
		.amdhsa_kernarg_size 288
		.amdhsa_user_sgpr_count 2
		.amdhsa_user_sgpr_dispatch_ptr 0
		.amdhsa_user_sgpr_queue_ptr 0
		.amdhsa_user_sgpr_kernarg_segment_ptr 1
		.amdhsa_user_sgpr_dispatch_id 0
		.amdhsa_user_sgpr_kernarg_preload_length 0
		.amdhsa_user_sgpr_kernarg_preload_offset 0
		.amdhsa_user_sgpr_private_segment_size 0
		.amdhsa_uses_dynamic_stack 0
		.amdhsa_enable_private_segment 0
		.amdhsa_system_sgpr_workgroup_id_x 1
		.amdhsa_system_sgpr_workgroup_id_y 1
		.amdhsa_system_sgpr_workgroup_id_z 1
		.amdhsa_system_sgpr_workgroup_info 0
		.amdhsa_system_vgpr_workitem_id 0
		.amdhsa_next_free_vgpr 57
		.amdhsa_next_free_sgpr 32
		.amdhsa_accum_offset 60
		.amdhsa_reserve_vcc 1
		.amdhsa_float_round_mode_32 0
		.amdhsa_float_round_mode_16_64 0
		.amdhsa_float_denorm_mode_32 3
		.amdhsa_float_denorm_mode_16_64 3
		.amdhsa_dx10_clamp 1
		.amdhsa_ieee_mode 1
		.amdhsa_fp16_overflow 0
		.amdhsa_tg_split 0
		.amdhsa_exception_fp_ieee_invalid_op 0
		.amdhsa_exception_fp_denorm_src 0
		.amdhsa_exception_fp_ieee_div_zero 0
		.amdhsa_exception_fp_ieee_overflow 0
		.amdhsa_exception_fp_ieee_underflow 0
		.amdhsa_exception_fp_ieee_inexact 0
		.amdhsa_exception_int_div_zero 0
	.end_amdhsa_kernel
	.section	.text._ZL26flash_attn_combine_resultsILi96EEvPKfPK15HIP_vector_typeIfLj2EEPfi,"axG",@progbits,_ZL26flash_attn_combine_resultsILi96EEvPKfPK15HIP_vector_typeIfLj2EEPfi,comdat
.Lfunc_end18:
	.size	_ZL26flash_attn_combine_resultsILi96EEvPKfPK15HIP_vector_typeIfLj2EEPfi, .Lfunc_end18-_ZL26flash_attn_combine_resultsILi96EEvPKfPK15HIP_vector_typeIfLj2EEPfi
                                        ; -- End function
	.set _ZL26flash_attn_combine_resultsILi96EEvPKfPK15HIP_vector_typeIfLj2EEPfi.num_vgpr, 57
	.set _ZL26flash_attn_combine_resultsILi96EEvPKfPK15HIP_vector_typeIfLj2EEPfi.num_agpr, 0
	.set _ZL26flash_attn_combine_resultsILi96EEvPKfPK15HIP_vector_typeIfLj2EEPfi.numbered_sgpr, 32
	.set _ZL26flash_attn_combine_resultsILi96EEvPKfPK15HIP_vector_typeIfLj2EEPfi.num_named_barrier, 0
	.set _ZL26flash_attn_combine_resultsILi96EEvPKfPK15HIP_vector_typeIfLj2EEPfi.private_seg_size, 0
	.set _ZL26flash_attn_combine_resultsILi96EEvPKfPK15HIP_vector_typeIfLj2EEPfi.uses_vcc, 1
	.set _ZL26flash_attn_combine_resultsILi96EEvPKfPK15HIP_vector_typeIfLj2EEPfi.uses_flat_scratch, 0
	.set _ZL26flash_attn_combine_resultsILi96EEvPKfPK15HIP_vector_typeIfLj2EEPfi.has_dyn_sized_stack, 0
	.set _ZL26flash_attn_combine_resultsILi96EEvPKfPK15HIP_vector_typeIfLj2EEPfi.has_recursion, 0
	.set _ZL26flash_attn_combine_resultsILi96EEvPKfPK15HIP_vector_typeIfLj2EEPfi.has_indirect_call, 0
	.section	.AMDGPU.csdata,"",@progbits
; Kernel info:
; codeLenInByte = 3064
; TotalNumSgprs: 38
; NumVgprs: 57
; NumAgprs: 0
; TotalNumVgprs: 57
; ScratchSize: 0
; MemoryBound: 0
; FloatMode: 240
; IeeeMode: 1
; LDSByteSize: 0 bytes/workgroup (compile time only)
; SGPRBlocks: 4
; VGPRBlocks: 7
; NumSGPRsForWavesPerEU: 38
; NumVGPRsForWavesPerEU: 57
; AccumOffset: 60
; Occupancy: 8
; WaveLimiterHint : 0
; COMPUTE_PGM_RSRC2:SCRATCH_EN: 0
; COMPUTE_PGM_RSRC2:USER_SGPR: 2
; COMPUTE_PGM_RSRC2:TRAP_HANDLER: 0
; COMPUTE_PGM_RSRC2:TGID_X_EN: 1
; COMPUTE_PGM_RSRC2:TGID_Y_EN: 1
; COMPUTE_PGM_RSRC2:TGID_Z_EN: 1
; COMPUTE_PGM_RSRC2:TIDIG_COMP_CNT: 0
; COMPUTE_PGM_RSRC3_GFX90A:ACCUM_OFFSET: 14
; COMPUTE_PGM_RSRC3_GFX90A:TG_SPLIT: 0
	.section	.text._ZL18flash_attn_ext_f16ILi112ELi112ELi32ELi1ELb0ELb0EEvPKcS1_S1_S1_S1_PKiPfP15HIP_vector_typeIfLj2EEffffjfiS5_IjLj3EEiiiiiiiiiiiliiliiiiil,"axG",@progbits,_ZL18flash_attn_ext_f16ILi112ELi112ELi32ELi1ELb0ELb0EEvPKcS1_S1_S1_S1_PKiPfP15HIP_vector_typeIfLj2EEffffjfiS5_IjLj3EEiiiiiiiiiiiliiliiiiil,comdat
	.globl	_ZL18flash_attn_ext_f16ILi112ELi112ELi32ELi1ELb0ELb0EEvPKcS1_S1_S1_S1_PKiPfP15HIP_vector_typeIfLj2EEffffjfiS5_IjLj3EEiiiiiiiiiiiliiliiiiil ; -- Begin function _ZL18flash_attn_ext_f16ILi112ELi112ELi32ELi1ELb0ELb0EEvPKcS1_S1_S1_S1_PKiPfP15HIP_vector_typeIfLj2EEffffjfiS5_IjLj3EEiiiiiiiiiiiliiliiiiil
	.p2align	8
	.type	_ZL18flash_attn_ext_f16ILi112ELi112ELi32ELi1ELb0ELb0EEvPKcS1_S1_S1_S1_PKiPfP15HIP_vector_typeIfLj2EEffffjfiS5_IjLj3EEiiiiiiiiiiiliiliiiiil,@function
_ZL18flash_attn_ext_f16ILi112ELi112ELi32ELi1ELb0ELb0EEvPKcS1_S1_S1_S1_PKiPfP15HIP_vector_typeIfLj2EEffffjfiS5_IjLj3EEiiiiiiiiiiiliiliiiiil: ; @_ZL18flash_attn_ext_f16ILi112ELi112ELi32ELi1ELb0ELb0EEvPKcS1_S1_S1_S1_PKiPfP15HIP_vector_typeIfLj2EEffffjfiS5_IjLj3EEiiiiiiiiiiiliiliiiiil
; %bb.0:
	s_load_dwordx2 s[10:11], s[0:1], 0x80
	s_load_dwordx4 s[76:79], s[0:1], 0x64
                                        ; implicit-def: $vgpr243 : SGPR spill to VGPR lane
	s_load_dword s65, s[0:1], 0xd0
	s_mov_b32 s64, s2
	s_mov_b32 s2, 0
	s_waitcnt lgkmcnt(0)
	s_abs_i32 s3, s11
	v_cvt_f32_u32_e32 v1, s3
	s_sub_i32 s6, 0, s3
	s_abs_i32 s5, s77
	s_xor_b32 s4, s77, s11
	v_rcp_iflag_f32_e32 v1, v1
	s_ashr_i32 s4, s4, 31
	v_mul_f32_e32 v1, 0x4f7ffffe, v1
	v_cvt_u32_f32_e32 v1, v1
	s_nop 0
	v_readfirstlane_b32 s7, v1
	s_mul_i32 s6, s6, s7
	s_mul_hi_u32 s6, s7, s6
	s_add_i32 s7, s7, s6
	s_mul_hi_u32 s6, s5, s7
	s_mul_i32 s7, s6, s3
	s_sub_i32 s5, s5, s7
	s_add_i32 s8, s6, 1
	s_sub_i32 s7, s5, s3
	s_cmp_ge_u32 s5, s3
	s_cselect_b32 s6, s8, s6
	s_cselect_b32 s5, s7, s5
	s_add_i32 s7, s6, 1
	s_cmp_ge_u32 s5, s3
	s_cselect_b32 s3, s7, s6
	s_add_i32 s5, s10, 63
	s_xor_b32 s3, s3, s4
	s_ashr_i32 s6, s5, 31
	s_sub_i32 s4, s3, s4
	s_lshr_b32 s3, s6, 26
	s_add_i32 s5, s5, s3
	s_add_i32 s3, s76, 31
	s_lshr_b32 s3, s3, 5
	s_ashr_i32 s5, s5, 6
	v_writelane_b32 v243, s3, 0
	v_writelane_b32 v243, s5, 1
	s_mul_i32 s3, s3, s5
	v_writelane_b32 v243, s4, 2
	v_writelane_b32 v243, s3, 3
	s_mul_i32 s3, s3, s4
	s_mov_b32 s4, s10
	v_writelane_b32 v243, s4, 4
	s_nop 1
	v_writelane_b32 v243, s5, 5
	v_writelane_b32 v243, s3, 6
	s_mul_i32 s3, s3, s11
	s_mul_i32 s10, s3, s78
	s_ashr_i32 s8, s10, 31
	v_writelane_b32 v243, s3, 7
	s_mul_i32 s3, s8, s64
	s_mul_hi_u32 s4, s10, s64
	s_add_i32 s3, s4, s3
	s_cmp_lg_u64 s[2:3], 0
	s_mul_i32 s2, s10, s64
	s_cbranch_scc0 .LBB19_2
; %bb.1:
	s_add_u32 s4, s65, 0
	s_addc_u32 s5, 0, 0
	s_xor_b64 s[6:7], s[4:5], 0
	v_cvt_f32_u32_e32 v1, s6
	v_cvt_f32_u32_e32 v2, s7
	s_sub_u32 s9, 0, s6
	s_subb_u32 s11, 0, s7
	s_mov_b64 s[4:5], 0
	v_fmamk_f32 v1, v2, 0x4f800000, v1
	v_rcp_f32_e32 v1, v1
	s_nop 0
	v_mul_f32_e32 v1, 0x5f7ffffc, v1
	v_mul_f32_e32 v2, 0x2f800000, v1
	v_trunc_f32_e32 v2, v2
	v_fmamk_f32 v1, v2, 0xcf800000, v1
	v_cvt_u32_f32_e32 v2, v2
	v_cvt_u32_f32_e32 v1, v1
	v_readfirstlane_b32 s14, v2
	v_readfirstlane_b32 s12, v1
	s_mul_i32 s13, s9, s14
	s_mul_hi_u32 s16, s9, s12
	s_mul_i32 s15, s11, s12
	s_add_i32 s13, s16, s13
	s_add_i32 s13, s13, s15
	s_mul_i32 s17, s9, s12
	s_mul_i32 s16, s12, s13
	s_mul_hi_u32 s18, s12, s17
	s_mul_hi_u32 s15, s12, s13
	s_add_u32 s16, s18, s16
	s_addc_u32 s15, 0, s15
	s_mul_hi_u32 s19, s14, s17
	s_mul_i32 s17, s14, s17
	s_add_u32 s16, s16, s17
	s_mul_hi_u32 s18, s14, s13
	s_addc_u32 s15, s15, s19
	s_addc_u32 s16, s18, 0
	s_mul_i32 s13, s14, s13
	s_add_u32 s13, s15, s13
	s_addc_u32 s15, 0, s16
	s_add_u32 s16, s12, s13
	s_cselect_b64 s[12:13], -1, 0
	s_cmp_lg_u64 s[12:13], 0
	s_addc_u32 s14, s14, s15
	s_mul_i32 s12, s9, s14
	s_mul_hi_u32 s13, s9, s16
	s_add_i32 s12, s13, s12
	s_mul_i32 s11, s11, s16
	s_add_i32 s12, s12, s11
	s_mul_i32 s9, s9, s16
	s_mul_hi_u32 s13, s14, s9
	s_mul_i32 s15, s14, s9
	s_mul_i32 s18, s16, s12
	s_mul_hi_u32 s9, s16, s9
	s_mul_hi_u32 s17, s16, s12
	s_add_u32 s9, s9, s18
	s_addc_u32 s17, 0, s17
	s_add_u32 s9, s9, s15
	s_mul_hi_u32 s11, s14, s12
	s_addc_u32 s9, s17, s13
	s_addc_u32 s11, s11, 0
	s_mul_i32 s12, s14, s12
	s_add_u32 s9, s9, s12
	s_addc_u32 s11, 0, s11
	s_add_u32 s9, s16, s9
	s_cselect_b64 s[12:13], -1, 0
	s_cmp_lg_u64 s[12:13], 0
	s_addc_u32 s11, s14, s11
	s_ashr_i32 s12, s3, 31
	s_add_u32 s14, s2, s12
	s_mov_b32 s13, s12
	s_addc_u32 s15, s3, s12
	s_xor_b64 s[14:15], s[14:15], s[12:13]
	s_mul_i32 s16, s14, s11
	s_mul_hi_u32 s17, s14, s9
	s_mul_hi_u32 s3, s14, s11
	s_add_u32 s16, s17, s16
	s_addc_u32 s3, 0, s3
	s_mul_hi_u32 s18, s15, s9
	s_mul_i32 s9, s15, s9
	s_add_u32 s9, s16, s9
	s_mul_hi_u32 s17, s15, s11
	s_addc_u32 s3, s3, s18
	s_addc_u32 s9, s17, 0
	s_mul_i32 s11, s15, s11
	s_add_u32 s3, s3, s11
	s_addc_u32 s9, 0, s9
	s_mul_i32 s11, s6, s9
	s_mul_hi_u32 s16, s6, s3
	s_add_i32 s11, s16, s11
	s_mul_i32 s16, s7, s3
	s_add_i32 s11, s11, s16
	s_sub_i32 s18, s15, s11
	s_mul_i32 s16, s6, s3
	s_sub_u32 s14, s14, s16
	s_cselect_b64 s[16:17], -1, 0
	s_cmp_lg_u64 s[16:17], 0
	s_subb_u32 s20, s18, s7
	s_sub_u32 s21, s14, s6
	s_cselect_b64 s[18:19], -1, 0
	s_cmp_lg_u64 s[18:19], 0
	s_subb_u32 s18, s20, 0
	s_cmp_ge_u32 s18, s7
	s_cselect_b32 s19, -1, 0
	s_cmp_ge_u32 s21, s6
	s_cselect_b32 s20, -1, 0
	s_cmp_eq_u32 s18, s7
	s_cselect_b32 s18, s20, s19
	s_add_u32 s19, s3, 1
	s_addc_u32 s20, s9, 0
	s_add_u32 s21, s3, 2
	s_addc_u32 s22, s9, 0
	s_cmp_lg_u32 s18, 0
	s_cselect_b32 s18, s21, s19
	s_cselect_b32 s19, s22, s20
	s_cmp_lg_u64 s[16:17], 0
	s_subb_u32 s11, s15, s11
	s_cmp_ge_u32 s11, s7
	s_cselect_b32 s15, -1, 0
	s_cmp_ge_u32 s14, s6
	s_cselect_b32 s6, -1, 0
	s_cmp_eq_u32 s11, s7
	s_cselect_b32 s6, s6, s15
	s_cmp_lg_u32 s6, 0
	s_cselect_b32 s7, s19, s9
	s_cselect_b32 s6, s18, s3
	s_xor_b64 s[12:13], s[12:13], 0
	s_xor_b64 s[6:7], s[6:7], s[12:13]
	s_sub_u32 s46, s6, s12
	s_branch .LBB19_3
.LBB19_2:
	s_mov_b64 s[4:5], -1
                                        ; implicit-def: $sgpr46_sgpr47
.LBB19_3:
	s_load_dwordx2 s[6:7], s[0:1], 0x74
	v_cvt_f32_u32_e32 v1, s65
	s_andn2_b64 vcc, exec, s[4:5]
	s_waitcnt lgkmcnt(0)
	v_writelane_b32 v243, s6, 8
	s_nop 1
	v_writelane_b32 v243, s7, 9
	s_cbranch_vccnz .LBB19_5
; %bb.4:
	v_rcp_iflag_f32_e32 v2, v1
	s_sub_i32 s3, 0, s65
	v_mul_f32_e32 v2, 0x4f7ffffe, v2
	v_cvt_u32_f32_e32 v2, v2
	s_nop 0
	v_readfirstlane_b32 s4, v2
	s_mul_i32 s3, s3, s4
	s_mul_hi_u32 s3, s4, s3
	s_add_i32 s4, s4, s3
	s_mul_hi_u32 s3, s2, s4
	s_mul_i32 s5, s3, s65
	s_sub_i32 s2, s2, s5
	s_add_i32 s4, s3, 1
	s_sub_i32 s5, s2, s65
	s_cmp_ge_u32 s2, s65
	s_cselect_b32 s3, s4, s3
	s_cselect_b32 s2, s5, s2
	s_add_i32 s4, s3, 1
	s_cmp_ge_u32 s2, s65
	s_cselect_b32 s46, s4, s3
.LBB19_5:
	s_add_i32 s2, s64, 1
	s_mul_i32 s3, s8, s2
	s_mul_hi_u32 s4, s10, s2
	s_add_i32 s9, s4, s3
	s_mov_b32 s8, 0
	s_cmp_lg_u64 s[8:9], 0
	s_mul_i32 s2, s10, s2
	s_cbranch_scc0 .LBB19_7
; %bb.6:
	s_add_u32 s4, s65, 0
	s_addc_u32 s5, 0, 0
	s_xor_b64 s[6:7], s[4:5], 0
	v_cvt_f32_u32_e32 v2, s6
	v_cvt_f32_u32_e32 v3, s7
	s_sub_u32 s3, 0, s6
	s_subb_u32 s8, 0, s7
	s_mov_b64 s[4:5], 0
	v_fmamk_f32 v2, v3, 0x4f800000, v2
	v_rcp_f32_e32 v2, v2
	s_nop 0
	v_mul_f32_e32 v2, 0x5f7ffffc, v2
	v_mul_f32_e32 v3, 0x2f800000, v2
	v_trunc_f32_e32 v3, v3
	v_fmamk_f32 v2, v3, 0xcf800000, v2
	v_cvt_u32_f32_e32 v3, v3
	v_cvt_u32_f32_e32 v2, v2
	v_readfirstlane_b32 s12, v3
	v_readfirstlane_b32 s10, v2
	s_mul_i32 s11, s3, s12
	s_mul_hi_u32 s14, s3, s10
	s_mul_i32 s13, s8, s10
	s_add_i32 s11, s14, s11
	s_add_i32 s11, s11, s13
	s_mul_i32 s15, s3, s10
	s_mul_i32 s14, s10, s11
	s_mul_hi_u32 s16, s10, s15
	s_mul_hi_u32 s13, s10, s11
	s_add_u32 s14, s16, s14
	s_addc_u32 s13, 0, s13
	s_mul_hi_u32 s17, s12, s15
	s_mul_i32 s15, s12, s15
	s_add_u32 s14, s14, s15
	s_mul_hi_u32 s16, s12, s11
	s_addc_u32 s13, s13, s17
	s_addc_u32 s14, s16, 0
	s_mul_i32 s11, s12, s11
	s_add_u32 s11, s13, s11
	s_addc_u32 s13, 0, s14
	s_add_u32 s14, s10, s11
	s_cselect_b64 s[10:11], -1, 0
	s_cmp_lg_u64 s[10:11], 0
	s_addc_u32 s12, s12, s13
	s_mul_i32 s10, s3, s12
	s_mul_hi_u32 s11, s3, s14
	s_add_i32 s10, s11, s10
	s_mul_i32 s8, s8, s14
	s_add_i32 s10, s10, s8
	s_mul_i32 s3, s3, s14
	s_mul_hi_u32 s11, s12, s3
	s_mul_i32 s13, s12, s3
	s_mul_i32 s16, s14, s10
	s_mul_hi_u32 s3, s14, s3
	s_mul_hi_u32 s15, s14, s10
	s_add_u32 s3, s3, s16
	s_addc_u32 s15, 0, s15
	s_add_u32 s3, s3, s13
	s_mul_hi_u32 s8, s12, s10
	s_addc_u32 s3, s15, s11
	s_addc_u32 s8, s8, 0
	s_mul_i32 s10, s12, s10
	s_add_u32 s3, s3, s10
	s_addc_u32 s8, 0, s8
	s_add_u32 s3, s14, s3
	s_cselect_b64 s[10:11], -1, 0
	s_cmp_lg_u64 s[10:11], 0
	s_addc_u32 s12, s12, s8
	s_ashr_i32 s10, s9, 31
	s_add_u32 s8, s2, s10
	s_mov_b32 s11, s10
	s_addc_u32 s9, s9, s10
	s_xor_b64 s[8:9], s[8:9], s[10:11]
	s_mul_i32 s14, s8, s12
	s_mul_hi_u32 s15, s8, s3
	s_mul_hi_u32 s13, s8, s12
	s_add_u32 s14, s15, s14
	s_addc_u32 s13, 0, s13
	s_mul_hi_u32 s16, s9, s3
	s_mul_i32 s3, s9, s3
	s_add_u32 s3, s14, s3
	s_mul_hi_u32 s15, s9, s12
	s_addc_u32 s3, s13, s16
	s_addc_u32 s13, s15, 0
	s_mul_i32 s12, s9, s12
	s_add_u32 s3, s3, s12
	s_addc_u32 s16, 0, s13
	s_mul_i32 s12, s6, s16
	s_mul_hi_u32 s13, s6, s3
	s_add_i32 s12, s13, s12
	s_mul_i32 s13, s7, s3
	s_add_i32 s17, s12, s13
	s_sub_i32 s14, s9, s17
	s_mul_i32 s12, s6, s3
	s_sub_u32 s8, s8, s12
	s_cselect_b64 s[12:13], -1, 0
	s_cmp_lg_u64 s[12:13], 0
	s_subb_u32 s18, s14, s7
	s_sub_u32 s19, s8, s6
	s_cselect_b64 s[14:15], -1, 0
	s_cmp_lg_u64 s[14:15], 0
	s_subb_u32 s14, s18, 0
	s_cmp_ge_u32 s14, s7
	s_cselect_b32 s15, -1, 0
	s_cmp_ge_u32 s19, s6
	s_cselect_b32 s18, -1, 0
	s_cmp_eq_u32 s14, s7
	s_cselect_b32 s14, s18, s15
	s_add_u32 s15, s3, 1
	s_addc_u32 s18, s16, 0
	s_add_u32 s19, s3, 2
	s_addc_u32 s20, s16, 0
	s_cmp_lg_u32 s14, 0
	s_cselect_b32 s14, s19, s15
	s_cselect_b32 s15, s20, s18
	s_cmp_lg_u64 s[12:13], 0
	s_subb_u32 s9, s9, s17
	s_cmp_ge_u32 s9, s7
	s_cselect_b32 s12, -1, 0
	s_cmp_ge_u32 s8, s6
	s_cselect_b32 s6, -1, 0
	s_cmp_eq_u32 s9, s7
	s_cselect_b32 s6, s6, s12
	s_cmp_lg_u32 s6, 0
	s_cselect_b32 s7, s15, s16
	s_cselect_b32 s6, s14, s3
	s_xor_b64 s[8:9], s[10:11], 0
	s_xor_b64 s[6:7], s[6:7], s[8:9]
	s_sub_u32 s6, s6, s8
	v_writelane_b32 v243, s6, 12
	s_nop 1
	v_writelane_b32 v243, s7, 13
	s_branch .LBB19_8
.LBB19_7:
	s_mov_b64 s[4:5], -1
                                        ; implicit-def: $sgpr6_sgpr7
                                        ; kill: killed $sgpr6_sgpr7
.LBB19_8:
	s_load_dwordx2 s[6:7], s[0:1], 0x5c
	s_andn2_b64 vcc, exec, s[4:5]
	s_waitcnt lgkmcnt(0)
	v_writelane_b32 v243, s6, 10
	s_nop 1
	v_writelane_b32 v243, s7, 11
	s_cbranch_vccnz .LBB19_10
; %bb.9:
	v_rcp_iflag_f32_e32 v1, v1
	s_sub_i32 s3, 0, s65
	v_mul_f32_e32 v1, 0x4f7ffffe, v1
	v_cvt_u32_f32_e32 v1, v1
	s_nop 0
	v_readfirstlane_b32 s4, v1
	s_mul_i32 s3, s3, s4
	s_mul_hi_u32 s3, s4, s3
	s_add_i32 s4, s4, s3
	s_mul_hi_u32 s3, s2, s4
	s_mul_i32 s5, s3, s65
	s_sub_i32 s2, s2, s5
	s_add_i32 s4, s3, 1
	s_sub_i32 s5, s2, s65
	s_cmp_ge_u32 s2, s65
	s_cselect_b32 s3, s4, s3
	s_cselect_b32 s2, s5, s2
	s_add_i32 s4, s3, 1
	s_cmp_ge_u32 s2, s65
	s_cselect_b32 s2, s4, s3
	v_writelane_b32 v243, s2, 12
	s_nop 1
	v_writelane_b32 v243, s3, 13
.LBB19_10:
	s_load_dwordx16 s[16:31], s[0:1], 0x0
	s_load_dwordx4 s[36:39], s[0:1], 0x40
	s_load_dword s2, s[0:1], 0x50
	s_ashr_i32 s69, s79, 3
	v_bfe_u32 v133, v0, 10, 10
	s_mov_b32 s85, 0
	s_waitcnt lgkmcnt(0)
	v_cvt_f16_f32_e32 v43, s36
	v_writelane_b32 v243, s2, 14
	s_load_dwordx2 s[2:3], s[0:1], 0x8c
	s_load_dwordx4 s[4:7], s[0:1], 0x98
	s_load_dwordx2 s[8:9], s[0:1], 0xa8
	s_load_dwordx2 s[12:13], s[0:1], 0xb8
	s_nop 0
	s_load_dwordx2 s[0:1], s[0:1], 0xc8
	v_bfe_u32 v134, v0, 5, 5
	s_waitcnt lgkmcnt(0)
	s_ashr_i32 s90, s2, 2
	s_ashr_i32 s78, s6, 2
	v_writelane_b32 v243, s8, 15
	s_ashr_i32 s56, s13, 1
	v_lshlrev_b32_e32 v132, 1, v133
	v_writelane_b32 v243, s9, 16
	v_writelane_b32 v243, s0, 17
	v_and_b32_e32 v38, 31, v0
	v_lshlrev_b32_e32 v39, 2, v133
	v_writelane_b32 v243, s1, 18
	s_mov_b32 s1, s3
	v_readlane_b32 s8, v243, 1
	s_abs_i32 s45, s8
	v_cvt_f32_u32_e32 v1, s45
	v_writelane_b32 v243, s0, 19
	s_mov_b32 s3, s7
	v_lshlrev_b32_e32 v136, 3, v133
	v_rcp_iflag_f32_e32 v1, v1
	v_writelane_b32 v243, s1, 20
	s_mov_b64 s[0:1], s[4:5]
	v_writelane_b32 v243, s0, 21
	v_mul_f32_e32 v1, 0x4f7ffffe, v1
	v_cvt_u32_f32_e32 v1, v1
	v_writelane_b32 v243, s1, 22
	v_writelane_b32 v243, s2, 23
	;; [unrolled: 1-line block ×3, first 2 shown]
	s_sub_i32 s2, 0, s45
	v_readfirstlane_b32 s3, v1
	s_mul_i32 s2, s2, s3
	s_ashr_i32 s1, s8, 31
	s_mul_hi_u32 s2, s3, s2
	v_writelane_b32 v243, s1, 25
	s_abs_i32 s1, s46
	s_add_i32 s47, s3, s2
	s_mul_hi_u32 s2, s1, s47
	s_mul_i32 s2, s2, s45
	s_sub_i32 s1, s1, s2
	s_ashr_i32 s0, s46, 31
	s_sub_i32 s2, s1, s45
	s_cmp_ge_u32 s1, s45
	s_cselect_b32 s1, s2, s1
	s_sub_i32 s2, s1, s45
	s_cmp_ge_u32 s1, s45
	s_cselect_b32 s1, s2, s1
	s_xor_b32 s1, s1, s0
	s_sub_i32 s44, s1, s0
	v_readlane_b32 s0, v243, 12
	v_readlane_b32 s1, v243, 13
	v_writelane_b32 v243, s16, 26
	s_mov_b32 s2, s0
	s_sub_i32 s0, s0, s46
	v_writelane_b32 v243, s17, 27
	v_writelane_b32 v243, s18, 28
	;; [unrolled: 1-line block ×6, first 2 shown]
	s_add_i32 s4, s0, s44
	v_writelane_b32 v243, s23, 33
	s_min_i32 s66, s8, s4
	v_writelane_b32 v243, s24, 34
	s_cmp_gt_i32 s2, s46
	v_writelane_b32 v243, s25, 35
	s_cselect_b64 s[0:1], -1, 0
	s_cmp_le_i32 s2, s46
	v_writelane_b32 v243, s26, 36
	s_cselect_b64 s[2:3], -1, 0
	s_cmp_gt_i32 s8, s4
	v_writelane_b32 v243, s27, 37
	s_cselect_b64 s[4:5], -1, 0
	v_writelane_b32 v243, s28, 38
	s_or_b64 s[2:3], s[4:5], s[2:3]
	v_writelane_b32 v243, s29, 39
	s_and_b64 vcc, exec, s[2:3]
	v_lshlrev_b32_e32 v135, 4, v133
	v_mbcnt_lo_u32_b32 v137, -1, 0
	v_writelane_b32 v243, s30, 40
	v_writelane_b32 v243, s31, 41
	s_cbranch_vccz .LBB19_13
; %bb.11:
	s_andn2_b64 vcc, exec, s[0:1]
	s_cbranch_vccz .LBB19_295
.LBB19_12:
	s_endpgm
.LBB19_13:
	v_and_b32_e32 v40, 15, v0
	v_bfe_u32 v4, v0, 1, 9
	v_and_b32_e32 v42, 0x3ff, v0
	v_mul_u32_u24_e32 v3, 0xf0, v40
	v_and_b32_e32 v5, 0x78, v4
	v_lshl_add_u32 v47, v133, 5, v4
	v_bfe_u32 v4, v0, 2, 8
	v_lshlrev_b32_e32 v7, 2, v42
	s_movk_i32 s0, 0xf0
	v_add3_u32 v45, 0, v3, v5
	v_and_b32_e32 v3, 8, v136
	s_movk_i32 s1, 0x1e0
	v_add_u32_e32 v53, v4, v135
	v_and_b32_e32 v44, 12, v7
	v_mad_u32_u24 v3, v3, s1, 0
	v_mad_u32_u24 v6, v53, s0, 0
	v_lshlrev_b32_e32 v8, 2, v44
	s_movk_i32 s1, 0x80
	v_and_b32_e32 v46, 4, v7
	v_bfe_u32 v2, v0, 3, 7
	v_add3_u32 v138, v6, v8, s1
	v_mad_u32_u24 v6, v47, s0, 0
	v_lshlrev_b32_e32 v8, 2, v46
	s_movk_i32 s1, 0xc0
	v_add3_u32 v139, v6, v8, s1
	v_lshlrev_b32_e32 v6, 1, v2
	v_or_b32_e32 v8, 3, v6
	v_or_b32_e32 v9, 2, v6
	v_and_b32_e32 v6, 60, v6
	v_mul_u32_u24_e32 v8, 0xf0, v8
	v_mul_u32_u24_e32 v9, 0xf0, v9
	;; [unrolled: 1-line block ×3, first 2 shown]
	v_lshlrev_b32_e32 v10, 1, v40
	v_add3_u32 v140, v3, v6, v10
	v_add3_u32 v141, v3, v9, v10
	;; [unrolled: 1-line block ×3, first 2 shown]
	v_bfe_u32 v3, v0, 10, 1
	v_writelane_b32 v243, s65, 42
	v_cmp_eq_u32_e64 s[2:3], 0, v3
	v_and_b32_e32 v3, 0x400, v0
	s_cmp_lg_u64 s[22:23], 0
	v_writelane_b32 v243, s2, 43
	v_add_u32_e32 v144, v134, v133
	v_and_b32_e32 v6, 15, v144
	v_writelane_b32 v243, s3, 44
	v_cmp_ne_u32_e64 s[2:3], 0, v3
	v_or_b32_e32 v3, v135, v40
	v_mul_u32_u24_e32 v3, 0xf0, v3
	v_writelane_b32 v243, s2, 45
	v_add3_u32 v143, 0, v3, v5
	v_lshlrev_b32_e32 v5, 1, v144
	v_writelane_b32 v243, s3, 46
	s_cselect_b64 s[2:3], -1, 0
	v_writelane_b32 v243, s2, 47
	s_cmp_eq_u64 s[24:25], 0
	s_movk_i32 s1, 0x3e0
	v_writelane_b32 v243, s3, 48
	s_cselect_b64 s[2:3], -1, 0
	v_writelane_b32 v243, s2, 49
	s_cmp_lg_u64 s[26:27], 0
	v_add_u32_e32 v147, 4, v144
	v_writelane_b32 v243, s3, 50
	s_cselect_b64 s[2:3], -1, 0
	v_writelane_b32 v243, s2, 51
	s_lshl_b32 s84, s64, 5
	s_ashr_i32 s57, s56, 31
	v_writelane_b32 v243, s3, 52
	s_ashr_i32 s91, s90, 31
	s_ashr_i32 s79, s78, 31
	v_writelane_b32 v243, s64, 53
	s_lshl_b64 s[2:3], s[84:85], 3
	s_add_u32 s2, s30, s2
	v_readlane_b32 s15, v243, 7
	s_addc_u32 s3, s31, s3
	s_abs_i32 s16, s15
	v_and_or_b32 v5, v5, s1, v6
	v_lshlrev_b32_e32 v8, 1, v147
	v_and_b32_e32 v9, 15, v147
	s_movk_i32 s1, 0x7e0
	v_add_u32_e32 v148, 8, v144
	v_cvt_f32_u32_e32 v19, s16
	v_and_or_b32 v8, v8, s1, v9
	v_lshlrev_b32_e32 v9, 1, v148
	v_and_b32_e32 v10, 15, v148
	v_add_u32_e32 v149, 12, v144
	v_and_or_b32 v9, v9, s1, v10
	v_lshlrev_b32_e32 v10, 1, v149
	v_and_b32_e32 v11, 15, v149
	v_add_u32_e32 v150, 16, v144
	v_and_or_b32 v10, v10, s1, v11
	v_lshlrev_b32_e32 v11, 1, v150
	v_add_u32_e32 v151, 20, v144
	v_and_or_b32 v6, v11, s1, v6
	v_lshlrev_b32_e32 v11, 1, v151
	v_and_b32_e32 v12, 15, v151
	v_add_u32_e32 v152, 24, v144
	v_rcp_iflag_f32_e32 v19, v19
	v_bfe_u32 v1, v0, 4, 6
	v_and_or_b32 v11, v11, s1, v12
	v_lshlrev_b32_e32 v12, 1, v152
	v_and_b32_e32 v13, 15, v152
	v_add_u32_e32 v153, 28, v144
	v_add_u32_e32 v145, v132, v1
	v_and_or_b32 v12, v12, s1, v13
	v_lshlrev_b32_e32 v13, 1, v153
	v_and_b32_e32 v14, 15, v153
	v_and_or_b32 v13, v13, s1, v14
	v_lshlrev_b32_e32 v14, 1, v145
	v_and_b32_e32 v15, 15, v145
	v_add_u32_e32 v154, 8, v145
	v_and_or_b32 v14, v14, s1, v15
	v_lshlrev_b32_e32 v16, 1, v154
	v_and_b32_e32 v17, 15, v154
	s_movk_i32 s1, 0xfe0
	v_add_u32_e32 v155, 16, v145
	v_mul_f32_e32 v19, 0x4f7ffffe, v19
	v_and_or_b32 v16, v16, s1, v17
	v_lshlrev_b32_e32 v17, 1, v155
	v_add_u32_e32 v156, 24, v145
	v_cvt_u32_f32_e32 v19, v19
	v_add_u32_e32 v146, v39, v2
	v_and_or_b32 v15, v17, s1, v15
	v_lshlrev_b32_e32 v17, 1, v156
	v_and_b32_e32 v18, 15, v156
	v_and_b32_e32 v3, 15, v146
	v_and_or_b32 v17, v17, s1, v18
	v_lshlrev_b32_e32 v18, 1, v146
	v_add_u32_e32 v157, 16, v146
	v_and_or_b32 v18, v18, s1, v3
	s_movk_i32 s1, 0x1fe0
	v_lshlrev_b32_e32 v21, 1, v157
	v_and_or_b32 v3, v21, s1, v3
	s_mov_b32 s6, s12
	v_readfirstlane_b32 s1, v19
	v_or_b32_e32 v19, v136, v42
	v_readlane_b32 s5, v243, 6
	v_readlane_b32 s4, v243, 3
	v_writelane_b32 v243, s6, 54
	v_lshlrev_b32_e32 v48, 3, v19
	v_mov_b32_e32 v49, 0
	v_add_u32_e32 v159, v136, v2
	v_writelane_b32 v243, s7, 55
	v_lshl_add_u64 v[50:51], s[2:3], 0, v[48:49]
	s_mul_i32 s2, s76, s77
	v_and_b32_e32 v52, 28, v7
	v_add_u32_e32 v160, 32, v159
	s_abs_i32 s17, s5
	v_writelane_b32 v243, s2, 56
	s_mov_b64 s[10:11], s[38:39]
	s_mov_b32 s9, s37
	v_add_u32_e32 v158, v39, v1
	v_lshlrev_b32_e32 v1, 2, v52
	v_mul_u32_u24_e32 v2, 0xf0, v160
	v_cvt_f32_u32_e32 v20, s17
	v_writelane_b32 v243, s8, 57
	v_add3_u32 v161, 0, v2, v1
	v_mad_u32_u24 v2, v159, s0, 0
	v_and_b32_e32 v54, 7, v0
	v_writelane_b32 v243, s9, 58
	v_add_u32_e32 v162, v2, v1
	v_lshlrev_b32_e32 v1, 2, v54
	v_writelane_b32 v243, s10, 59
	v_add_u32_e32 v163, v2, v1
	v_mul_u32_u24_e32 v2, 0x90, v133
	v_lshlrev_b32_e32 v56, 1, v42
	v_writelane_b32 v243, s11, 60
	v_cmp_nle_f32_e64 s[2:3], s37, 0
	v_add3_u32 v164, 0, v2, v56
	v_and_b32_e32 v2, 60, v4
	v_and_b32_e32 v4, 16, v135
	v_rcp_iflag_f32_e32 v20, v20
	s_abs_i32 s22, s4
	v_writelane_b32 v243, s2, 61
	v_add_u32_e32 v165, v2, v4
	v_add_u16_e32 v2, v2, v4
	v_mul_u32_u24_e32 v166, 0xf0, v4
	v_and_b32_e32 v4, 0x7f0, v136
	v_cvt_f32_u32_e32 v21, s22
	v_writelane_b32 v243, s3, 62
	s_movk_i32 s3, 0x90
	v_mad_u32_u24 v167, v4, s0, v45
	v_or_b32_e32 v4, v4, v40
	v_mad_u32_u24 v4, v4, s3, 0
	s_mul_i32 s3, s77, 56
	v_writelane_b32 v243, s3, 63
	s_ashr_i32 s3, s15, 31
                                        ; implicit-def: $vgpr242 : SGPR spill to VGPR lane
	s_abs_i32 s23, s12
	v_mul_f32_e32 v20, 0x4f7ffffe, v20
	v_writelane_b32 v242, s3, 0
	s_sub_i32 s3, 0, s16
	v_cvt_f32_u32_e32 v22, s23
	v_rcp_iflag_f32_e32 v21, v21
	v_cvt_u32_f32_e32 v20, v20
	s_mul_i32 s3, s3, s1
	s_mul_hi_u32 s3, s1, s3
	v_writelane_b32 v242, s16, 1
	s_add_i32 s1, s1, s3
	v_writelane_b32 v242, s1, 2
	s_ashr_i32 s1, s5, 31
	v_rcp_iflag_f32_e32 v22, v22
	v_mul_f32_e32 v21, 0x4f7ffffe, v21
	v_readfirstlane_b32 s12, v20
	v_writelane_b32 v242, s1, 3
	s_sub_i32 s1, 0, s17
	v_cvt_u32_f32_e32 v21, v21
	s_mul_i32 s1, s1, s12
	s_mul_hi_u32 s1, s12, s1
	v_writelane_b32 v242, s17, 4
	s_add_i32 s1, s12, s1
	v_mul_f32_e32 v22, 0x4f7ffffe, v22
	v_writelane_b32 v242, s1, 5
	s_ashr_i32 s1, s4, 31
	v_cvt_u32_f32_e32 v22, v22
	v_readfirstlane_b32 s13, v21
	v_writelane_b32 v242, s1, 6
	s_sub_i32 s1, 0, s22
	s_mul_i32 s1, s1, s13
	s_mul_hi_u32 s1, s13, s1
	v_writelane_b32 v242, s22, 7
	s_add_i32 s1, s13, s1
	v_readfirstlane_b32 s14, v22
	v_writelane_b32 v242, s1, 8
	s_sub_i32 s1, 0, s23
	s_mul_i32 s1, s1, s14
	v_lshrrev_b16_e32 v2, 1, v2
	s_mul_hi_u32 s1, s14, s1
	v_and_b32_e32 v19, 1, v0
	v_lshl_add_u32 v168, v2, 2, v4
	v_mul_lo_u32 v66, s78, v47
	v_add_u32_e32 v2, v135, v42
	v_writelane_b32 v242, s23, 9
	s_add_i32 s1, s14, s1
	v_lshl_add_u32 v193, v40, 2, 0
	v_lshlrev_b32_e32 v48, 4, v19
	v_ashrrev_i32_e32 v67, 31, v66
	v_mul_u32_u24_e32 v173, 0xf0, v2
	v_add_u32_e32 v2, v135, v38
	v_writelane_b32 v242, s1, 10
	v_mad_u32_u24 v218, v158, s0, v193
	v_cmp_gt_u32_e64 s[0:1], 16, v42
	v_mul_u32_u24_e32 v174, 0xf0, v2
	v_mul_u32_u24_e32 v189, 0xf0, v3
	v_lshl_add_u64 v[2:3], v[66:67], 2, v[48:49]
	v_writelane_b32 v242, s0, 11
	v_mul_lo_u32 v72, s78, v53
	v_add_u32_e32 v175, 0, v1
	v_lshl_add_u64 v[2:3], s[20:21], 0, v[2:3]
	s_mov_b64 s[4:5], 0xc0
	v_and_b32_e32 v1, 3, v0
	v_writelane_b32 v242, s1, 12
	v_cmp_gt_u32_e64 s[0:1], 32, v42
	v_mul_lo_u32 v58, s90, v53
	v_add_u32_e32 v169, 32, v165
	v_add_u32_e32 v171, 34, v165
	v_ashrrev_i32_e32 v73, 31, v72
	v_lshl_add_u64 v[74:75], v[2:3], 0, s[4:5]
	v_lshlrev_b32_e32 v2, 4, v1
	v_mov_b32_e32 v3, v49
	v_writelane_b32 v242, s0, 13
	v_ashrrev_i32_e32 v59, 31, v58
	v_lshl_add_u32 v170, v169, 1, v4
	v_lshl_add_u32 v172, v171, 1, v4
	v_mul_u32_u24_e32 v176, 0xf0, v5
	v_lshl_add_u64 v[4:5], v[72:73], 2, v[2:3]
	v_writelane_b32 v242, s1, 14
	s_mov_b32 s0, s56
	v_mul_lo_u32 v60, s90, v159
	v_lshl_add_u64 v[4:5], s[20:21], 0, v[4:5]
	s_mov_b64 s[88:89], 0x80
	v_lshl_add_u64 v[2:3], v[58:59], 2, v[2:3]
	v_writelane_b32 v242, s0, 15
	v_ashrrev_i32_e32 v61, 31, v60
	v_lshl_add_u32 v62, s90, 5, v60
	v_lshl_add_u64 v[76:77], v[4:5], 0, s[88:89]
	v_lshlrev_b32_e32 v4, 4, v54
	v_mov_b32_e32 v5, v49
	v_lshl_add_u64 v[2:3], s[18:19], 0, v[2:3]
	v_writelane_b32 v242, s1, 16
	s_lshl_b64 s[0:1], s[56:57], 1
	v_ashrrev_i32_e32 v63, 31, v62
	v_mul_lo_u32 v64, s90, v47
	v_mul_lo_u32 v70, s78, v159
	v_lshl_add_u64 v[82:83], v[2:3], 0, s[88:89]
	v_lshl_add_u64 v[2:3], v[60:61], 2, v[4:5]
	v_writelane_b32 v242, s0, 17
	v_ashrrev_i32_e32 v65, 31, v64
	v_mul_lo_u32 v68, s78, v160
	v_ashrrev_i32_e32 v71, 31, v70
	v_lshl_add_u64 v[84:85], s[18:19], 0, v[2:3]
	v_lshl_add_u64 v[2:3], v[62:63], 2, v[4:5]
	v_writelane_b32 v242, s1, 18
	v_ashrrev_i32_e32 v69, 31, v68
	v_mul_u32_u24_e32 v180, 0xf0, v6
	v_lshl_add_u64 v[6:7], v[70:71], 2, v[4:5]
	v_lshl_add_u64 v[86:87], s[18:19], 0, v[2:3]
	;; [unrolled: 1-line block ×3, first 2 shown]
	v_writelane_b32 v242, s45, 19
	s_mov_b64 s[86:87], src_private_base
	s_mov_b32 s2, 0x10001
	v_cmp_lt_u32_e64 s[48:49], 63, v42
	v_lshl_add_u64 v[78:79], s[20:21], 0, v[6:7]
	v_lshl_add_u64 v[6:7], v[68:69], 2, v[4:5]
	;; [unrolled: 1-line block ×3, first 2 shown]
	v_add_u32_e32 v191, v132, v134
	v_writelane_b32 v242, s47, 20
	v_cmp_gt_u32_e64 s[6:7], 64, v47
	v_cmp_gt_u32_e64 s[8:9], 64, v53
	;; [unrolled: 1-line block ×3, first 2 shown]
	v_mul_u32_u24_e32 v177, 0xf0, v8
	v_mul_u32_u24_e32 v178, 0xf0, v9
	;; [unrolled: 1-line block ×11, first 2 shown]
	v_mov_b32_e32 v41, v49
	v_mov_b32_e32 v55, v49
	;; [unrolled: 1-line block ×3, first 2 shown]
	v_lshl_add_u64 v[80:81], s[20:21], 0, v[6:7]
	v_lshl_add_u64 v[88:89], v[2:3], 0, s[4:5]
	s_mov_b32 s77, 0x42b17218
	s_mov_b32 s86, 0x3fb8aa3b
	;; [unrolled: 1-line block ×3, first 2 shown]
	v_mov_b32_e32 v234, v49
	v_mov_b32_e32 v235, v49
	;; [unrolled: 1-line block ×4, first 2 shown]
	s_mov_b32 s50, 0xc1a00000
	v_mul_lo_u32 v190, v43, s2
	v_lshl_add_u32 v192, v38, 2, 0
	v_add_u32_e32 v194, 4, v133
	v_add_u32_e32 v195, 0x240, v164
	;; [unrolled: 1-line block ×14, first 2 shown]
	v_or_b32_e32 v208, 1, v165
	v_or_b32_e32 v209, 2, v165
	v_or_b32_e32 v210, 3, v165
	v_add_u32_e32 v211, 33, v165
	v_add_u32_e32 v212, 35, v165
	v_mul_u32_u24_e32 v213, 0xf0, v191
	v_add_u32_e32 v214, 8, v191
	v_add_u32_e32 v215, 16, v191
	;; [unrolled: 1-line block ×3, first 2 shown]
	v_mul_u32_u24_e32 v217, 0xf0, v158
	s_mov_b32 s60, 0x5040100
	v_add_u32_e32 v219, 16, v158
	v_add_u32_e32 v220, 0xf00, v218
	v_mov_b32_e32 v221, 0x3e91f4c4
	v_mov_b32_e32 v222, 0x37000000
	;; [unrolled: 1-line block ×4, first 2 shown]
	v_mbcnt_hi_u32_b32 v225, -1, v137
	v_mov_b32_e32 v226, 0
	s_movk_i32 s61, 0x47
	v_cmp_gt_u32_e64 s[12:13], 32, v159
	v_cmp_gt_u32_e64 s[14:15], 64, v165
	;; [unrolled: 1-line block ×9, first 2 shown]
	s_lshl_b64 s[34:35], s[78:79], 8
	s_lshl_b64 s[92:93], s[90:91], 8
	v_writelane_b32 v242, s48, 21
                                        ; implicit-def: $vgpr1
	s_nop 1
	v_writelane_b32 v242, s49, 22
	s_branch .LBB19_16
.LBB19_14:                              ;   in Loop: Header=BB19_16 Depth=1
	s_or_b64 exec, exec, s[0:1]
	s_barrier
.LBB19_15:                              ;   in Loop: Header=BB19_16 Depth=1
	v_readlane_b32 s16, v243, 1
	v_readlane_b32 s0, v242, 23
	s_add_i32 s0, s0, s16
	s_abs_i32 s2, s0
	v_readlane_b32 s47, v242, 20
	s_mul_hi_u32 s3, s2, s47
	v_readlane_b32 s45, v242, 19
	s_mul_i32 s3, s3, s45
	v_readlane_b32 s1, v242, 24
	s_sub_i32 s2, s2, s3
	s_ashr_i32 s1, s0, 31
	s_sub_i32 s3, s2, s45
	s_cmp_ge_u32 s2, s45
	s_cselect_b32 s2, s3, s2
	s_sub_i32 s3, s2, s45
	s_cmp_ge_u32 s2, s45
	s_cselect_b32 s2, s3, s2
	s_xor_b32 s2, s2, s1
	s_sub_i32 s1, s1, s2
	s_add_i32 s46, s0, s1
	v_readlane_b32 s0, v243, 12
	s_sub_i32 s2, s0, s46
	s_min_i32 s66, s16, s2
	v_readlane_b32 s1, v243, 13
	s_cmp_gt_i32 s0, s46
	s_cselect_b64 s[0:1], -1, 0
	s_cmp_le_i32 s16, s2
	s_cselect_b64 s[2:3], -1, 0
	s_and_b64 s[2:3], s[2:3], s[0:1]
	s_mov_b32 s44, 0
	s_and_b64 vcc, exec, s[2:3]
	s_cbranch_vccz .LBB19_294
.LBB19_16:                              ; =>This Loop Header: Depth=1
                                        ;     Child Loop BB19_196 Depth 2
                                        ;     Child Loop BB19_54 Depth 2
	s_ashr_i32 s0, s46, 31
	v_readlane_b32 s1, v242, 0
	s_xor_b32 s0, s0, s1
	s_abs_i32 s1, s46
	v_readlane_b32 s2, v242, 2
	s_mul_hi_u32 s2, s1, s2
	v_readlane_b32 s16, v242, 1
	s_mul_i32 s3, s2, s16
	s_sub_i32 s1, s1, s3
	s_add_i32 s3, s2, 1
	s_sub_i32 s36, s1, s16
	s_cmp_ge_u32 s1, s16
	s_cselect_b32 s2, s3, s2
	s_cselect_b32 s1, s36, s1
	s_add_i32 s3, s2, 1
	s_cmp_ge_u32 s1, s16
	s_cselect_b32 s1, s3, s2
	s_xor_b32 s1, s1, s0
	s_sub_i32 s2, s1, s0
	v_readlane_b32 s0, v243, 47
	v_readlane_b32 s1, v243, 48
	s_ashr_i32 s3, s2, 31
	s_andn2_b64 vcc, exec, s[0:1]
	s_mov_b64 s[58:59], 0
	s_cbranch_vccnz .LBB19_18
; %bb.17:                               ;   in Loop: Header=BB19_16 Depth=1
	s_abs_i32 s0, s2
	v_readlane_b32 s1, v242, 10
	s_mul_hi_u32 s1, s0, s1
	v_readlane_b32 s16, v242, 9
	s_mul_i32 s1, s1, s16
	s_sub_i32 s0, s0, s1
	s_sub_i32 s1, s0, s16
	s_cmp_ge_u32 s0, s16
	s_cselect_b32 s0, s1, s0
	s_sub_i32 s1, s0, s16
	s_cmp_ge_u32 s0, s16
	s_cselect_b32 s0, s1, s0
	s_xor_b32 s0, s0, s3
	s_sub_i32 s0, s0, s3
	s_ashr_i32 s1, s0, 31
	v_readlane_b32 s16, v243, 17
	v_readlane_b32 s17, v243, 18
	s_mul_i32 s1, s16, s1
	s_mul_hi_u32 s36, s16, s0
	s_add_i32 s1, s36, s1
	s_mul_i32 s36, s17, s0
	s_mul_i32 s0, s16, s0
	v_readlane_b32 s16, v243, 26
	s_add_i32 s1, s1, s36
	v_readlane_b32 s22, v243, 32
	v_readlane_b32 s23, v243, 33
	s_add_u32 s58, s22, s0
	s_addc_u32 s59, s23, s1
	v_readlane_b32 s17, v243, 27
	v_readlane_b32 s18, v243, 28
	v_readlane_b32 s19, v243, 29
	v_readlane_b32 s20, v243, 30
	v_readlane_b32 s21, v243, 31
	v_readlane_b32 s24, v243, 34
	v_readlane_b32 s25, v243, 35
	v_readlane_b32 s26, v243, 36
	v_readlane_b32 s27, v243, 37
	v_readlane_b32 s28, v243, 38
	v_readlane_b32 s29, v243, 39
	v_readlane_b32 s30, v243, 40
	v_readlane_b32 s31, v243, 41
.LBB19_18:                              ;   in Loop: Header=BB19_16 Depth=1
	v_readlane_b32 s0, v243, 7
	s_mul_i32 s0, s2, s0
	s_sub_i32 s0, s46, s0
	s_ashr_i32 s1, s0, 31
	v_readlane_b32 s16, v242, 3
	s_xor_b32 s1, s1, s16
	s_abs_i32 s36, s0
	v_readlane_b32 s16, v242, 5
	s_mul_hi_u32 s37, s36, s16
	v_readlane_b32 s16, v242, 4
	s_mul_i32 s38, s37, s16
	s_sub_i32 s36, s36, s38
	s_add_i32 s38, s37, 1
	s_sub_i32 s39, s36, s16
	s_cmp_ge_u32 s36, s16
	s_cselect_b32 s37, s38, s37
	s_cselect_b32 s36, s39, s36
	s_add_i32 s38, s37, 1
	s_cmp_ge_u32 s36, s16
	s_cselect_b32 s36, s38, s37
	s_xor_b32 s36, s36, s1
	s_sub_i32 s40, s36, s1
	v_readlane_b32 s1, v243, 6
	s_mul_i32 s1, s40, s1
	s_sub_i32 s1, s0, s1
	s_ashr_i32 s0, s1, 31
	v_readlane_b32 s16, v242, 6
	s_xor_b32 s0, s0, s16
	s_abs_i32 s36, s1
	v_readlane_b32 s16, v242, 8
	s_mul_hi_u32 s37, s36, s16
	v_readlane_b32 s16, v242, 7
	s_mul_i32 s38, s37, s16
	s_sub_i32 s36, s36, s38
	s_add_i32 s38, s37, 1
	s_sub_i32 s39, s36, s16
	s_cmp_ge_u32 s36, s16
	s_cselect_b32 s37, s38, s37
	s_cselect_b32 s36, s39, s36
	s_add_i32 s38, s37, 1
	s_cmp_ge_u32 s36, s16
	s_cselect_b32 s36, s38, s37
	s_xor_b32 s36, s36, s0
	s_sub_i32 s41, s36, s0
	v_readlane_b32 s0, v243, 2
	v_readlane_b32 s16, v243, 61
	s_mul_i32 s0, s40, s0
	v_readlane_b32 s17, v243, 62
	s_add_i32 s0, s0, s41
	s_andn2_b64 vcc, exec, s[16:17]
	v_mov_b32_e32 v90, 1.0
	s_cbranch_vccnz .LBB19_20
; %bb.19:                               ;   in Loop: Header=BB19_16 Depth=1
	v_readlane_b32 s16, v243, 14
	s_add_i32 s36, s0, 1
	v_mov_b32_e32 v3, s36
	v_mov_b32_e32 v1, s16
	v_sub_co_u32_e32 v1, vcc, s0, v1
	v_lshlrev_b32_e32 v1, 1, v1
	v_or_b32_e32 v1, 1, v1
	v_readlane_b32 s16, v243, 57
	v_cndmask_b32_e32 v1, v1, v3, vcc
	v_readlane_b32 s18, v243, 59
	v_readlane_b32 s19, v243, 60
	v_cvt_f32_i32_e32 v1, v1
	v_mov_b32_e32 v3, s18
	v_mov_b32_e32 v2, s19
	v_cndmask_b32_e32 v2, v2, v3, vcc
	v_cmp_neq_f32_e32 vcc, 1.0, v2
	s_mov_b32 s36, 0x3f2aaaab
	s_movk_i32 s16, 0x204
	v_cndmask_b32_e32 v1, 1.0, v1, vcc
	v_cmp_neq_f32_e32 vcc, 0, v1
	v_readlane_b32 s17, v243, 58
	s_brev_b32 s17, -2
	v_cndmask_b32_e32 v18, 1.0, v2, vcc
	v_frexp_mant_f32_e64 v2, |v18|
	v_cmp_gt_f32_e32 vcc, s36, v2
	s_mov_b32 s36, 0x3f317218
	v_cmp_gt_f32_e64 s[38:39], 0, v1
	v_cndmask_b32_e64 v3, 1.0, 2.0, vcc
	v_mul_f32_e32 v2, v2, v3
	v_add_f32_e32 v5, 1.0, v2
	v_rcp_f32_e32 v10, v5
	v_add_f32_e32 v3, -1.0, v5
	v_sub_f32_e32 v7, v2, v3
	v_add_f32_e32 v3, -1.0, v2
	v_mul_f32_e32 v11, v3, v10
	v_mul_f32_e32 v4, v5, v11
	v_fma_f32 v6, v11, v5, -v4
	v_fmac_f32_e32 v6, v11, v7
	v_add_f32_e32 v2, v4, v6
	v_sub_f32_e32 v5, v3, v2
	v_pk_add_f32 v[8:9], v[2:3], v[4:5] neg_lo:[0,1] neg_hi:[0,1]
	v_mov_b32_e32 v7, v2
	v_pk_add_f32 v[2:3], v[8:9], v[6:7] neg_lo:[0,1] neg_hi:[0,1]
	v_cmp_class_f32_e64 s[42:43], v18, s16
	v_add_f32_e32 v2, v2, v3
	v_add_f32_e32 v2, v5, v2
	v_mul_f32_e32 v3, v10, v2
	v_add_f32_e32 v2, v11, v3
	v_sub_f32_e32 v4, v2, v11
	v_sub_f32_e32 v12, v3, v4
	v_mul_f32_e32 v3, v2, v2
	v_fma_f32 v5, v2, v2, -v3
	v_add_f32_e32 v4, v12, v12
	v_fmac_f32_e32 v5, v2, v4
	v_add_f32_e32 v4, v3, v5
	v_fmamk_f32 v6, v4, 0x3e76c4e1, v221
	v_fmaak_f32 v6, v4, v6, 0x3ecccdef
	v_sub_f32_e32 v3, v4, v3
	v_sub_f32_e32 v13, v5, v3
	v_mul_f32_e32 v3, v4, v6
	v_fma_f32 v5, v4, v6, -v3
	v_fmac_f32_e32 v5, v13, v6
	v_add_f32_e32 v6, v3, v5
	v_add_f32_e32 v7, 0x3f2aaaaa, v6
	v_sub_f32_e32 v3, v6, v3
	v_sub_f32_e32 v3, v5, v3
	v_add_f32_e32 v5, 0xbf2aaaaa, v7
	v_add_f32_e32 v3, 0x31739010, v3
	v_sub_f32_e32 v5, v6, v5
	v_pk_mul_f32 v[8:9], v[2:3], v[4:5]
	v_pk_add_f32 v[10:11], v[2:3], v[4:5]
	v_fma_f32 v6, v4, v2, -v8
	v_fmac_f32_e32 v6, v4, v12
	v_mov_b32_e32 v9, v11
	v_fmac_f32_e32 v6, v13, v2
	v_pk_add_f32 v[4:5], v[8:9], v[6:7]
	v_ldexp_f32 v14, v12, 1
	v_sub_f32_e32 v3, v4, v8
	v_sub_f32_e32 v3, v6, v3
	v_sub_f32_e32 v6, v7, v5
	v_add_f32_e32 v10, v11, v6
	v_pk_mul_f32 v[6:7], v[4:5], v[4:5] op_sel:[0,1] op_sel_hi:[1,0]
	v_cvt_f64_f32_e64 v[8:9], |v18|
	v_frexp_exp_i32_f64_e32 v7, v[8:9]
	v_subbrev_co_u32_e32 v7, vcc, 0, v7, vcc
	v_cvt_f32_i32_e32 v7, v7
	v_fma_f32 v8, v4, v5, -v6
	v_fmac_f32_e32 v8, v4, v10
	v_fmac_f32_e32 v8, v3, v5
	v_mul_f32_e32 v4, 0x3f317218, v7
	v_fma_f32 v10, v7, s36, -v4
	v_fmac_f32_e32 v10, 0xb102e308, v7
	v_ldexp_f32 v11, v2, 1
	v_add_f32_e32 v5, v6, v8
	v_pk_add_f32 v[2:3], v[4:5], v[10:11]
	v_mov_b32_e32 v12, v5
	v_mov_b32_e32 v13, v3
	;; [unrolled: 1-line block ×3, first 2 shown]
	v_pk_add_f32 v[6:7], v[12:13], v[6:7] neg_lo:[0,1] neg_hi:[0,1]
	v_mov_b32_e32 v9, v5
	v_pk_add_f32 v[6:7], v[8:9], v[6:7] neg_lo:[0,1] neg_hi:[0,1]
	v_mov_b32_e32 v11, v2
	v_add_f32_e32 v5, v14, v6
	v_add_f32_e32 v5, v5, v7
	v_pk_add_f32 v[6:7], v[2:3], v[4:5] neg_lo:[0,1] neg_hi:[0,1]
	v_pk_add_f32 v[8:9], v[2:3], v[4:5]
	v_mov_b32_e32 v16, v3
	v_mov_b32_e32 v7, v9
	v_pk_add_f32 v[12:13], v[10:11], v[6:7] neg_lo:[0,1] neg_hi:[0,1]
	v_pk_add_f32 v[6:7], v[10:11], v[6:7]
	v_mov_b32_e32 v4, v5
	v_pk_add_f32 v[10:11], v[6:7], v[2:3] op_sel:[1,0] op_sel_hi:[0,1] neg_lo:[0,1] neg_hi:[0,1]
	v_pk_add_f32 v[14:15], v[8:9], v[10:11] op_sel_hi:[1,0] neg_lo:[0,1] neg_hi:[0,1]
	v_mov_b32_e32 v8, v9
	v_mov_b32_e32 v9, v7
	;; [unrolled: 1-line block ×3, first 2 shown]
	v_pk_add_f32 v[8:9], v[8:9], v[16:17] neg_lo:[0,1] neg_hi:[0,1]
	v_mov_b32_e32 v5, v2
	v_pk_add_f32 v[2:3], v[4:5], v[8:9] neg_lo:[0,1] neg_hi:[0,1]
	v_mov_b32_e32 v14, v12
	v_pk_add_f32 v[4:5], v[14:15], v[2:3]
	v_mov_b32_e32 v13, v7
	v_pk_add_f32 v[8:9], v[4:5], v[4:5] op_sel:[0,1] op_sel_hi:[1,0]
	s_mov_b32 s36, 0x7f800000
	v_pk_add_f32 v[6:7], v[6:7], v[8:9] op_sel:[1,0] op_sel_hi:[0,1]
	v_mov_b32_e32 v5, v6
	v_pk_add_f32 v[10:11], v[4:5], v[12:13] neg_lo:[0,1] neg_hi:[0,1]
	v_mov_b32_e32 v3, v8
	v_sub_f32_e32 v4, v4, v10
	v_pk_add_f32 v[2:3], v[2:3], v[10:11] neg_lo:[0,1] neg_hi:[0,1]
	v_sub_f32_e32 v4, v12, v4
	v_add_f32_e32 v2, v2, v4
	v_add_f32_e32 v2, v2, v3
	v_add_f32_e32 v3, v6, v2
	v_sub_f32_e32 v4, v3, v6
	v_sub_f32_e32 v2, v2, v4
	v_mul_f32_e32 v4, v1, v3
	v_fma_f32 v3, v1, v3, -v4
	v_fmac_f32_e32 v3, v1, v2
	v_add_f32_e32 v2, v4, v3
	v_cmp_class_f32_e64 vcc, v4, s16
	v_sub_f32_e32 v5, v2, v4
	v_sub_f32_e32 v3, v3, v5
	v_cndmask_b32_e32 v2, v2, v4, vcc
	v_cmp_eq_f32_e32 vcc, s77, v2
	s_nop 1
	v_cndmask_b32_e32 v4, 0, v222, vcc
	v_sub_f32_e32 v5, v2, v4
	v_mul_f32_e32 v6, 0x3fb8aa3b, v5
	v_fma_f32 v7, v5, s86, -v6
	v_rndne_f32_e32 v8, v6
	v_fmac_f32_e32 v7, 0x32a5705f, v5
	v_sub_f32_e32 v6, v6, v8
	v_add_f32_e32 v6, v6, v7
	v_exp_f32_e32 v6, v6
	v_cvt_i32_f32_e32 v7, v8
	v_cmp_neq_f32_e64 vcc, |v2|, s36
	s_nop 1
	v_cndmask_b32_e32 v2, 0, v3, vcc
	v_ldexp_f32 v3, v6, v7
	v_cmp_ngt_f32_e32 vcc, s33, v5
	v_add_f32_e32 v2, v4, v2
	s_nop 0
	v_cndmask_b32_e32 v3, 0, v3, vcc
	v_cmp_nlt_f32_e32 vcc, s77, v5
	s_nop 1
	v_cndmask_b32_e32 v3, v223, v3, vcc
	v_fma_f32 v2, v3, v2, v3
	v_cmp_class_f32_e64 vcc, v3, s16
	s_nop 1
	v_cndmask_b32_e32 v2, v2, v3, vcc
	v_trunc_f32_e32 v3, v1
	v_cmp_eq_f32_e32 vcc, v3, v1
	v_mul_f32_e32 v3, 0.5, v1
	v_trunc_f32_e32 v4, v3
	v_cmp_neq_f32_e64 s[36:37], v4, v3
	s_and_b64 s[36:37], vcc, s[36:37]
	s_nop 0
	v_cndmask_b32_e64 v3, 1.0, v18, s[36:37]
	v_bfi_b32 v2, s17, v2, v3
	v_cndmask_b32_e32 v3, v224, v2, vcc
	v_cmp_gt_f32_e32 vcc, 0, v18
	s_nop 1
	v_cndmask_b32_e32 v2, v2, v3, vcc
	v_cmp_eq_f32_e32 vcc, 0, v18
	s_xor_b64 s[38:39], s[38:39], vcc
	v_cndmask_b32_e64 v1, v223, 0, s[38:39]
	v_cndmask_b32_e64 v3, 0, v18, s[36:37]
	v_bfi_b32 v1, s17, v1, v3
	s_or_b64 vcc, vcc, s[42:43]
	v_cndmask_b32_e32 v1, v2, v1, vcc
	v_cmp_o_f32_e32 vcc, v18, v18
	s_nop 1
	v_cndmask_b32_e32 v90, v224, v1, vcc
.LBB19_20:                              ;   in Loop: Header=BB19_16 Depth=1
	v_readlane_b32 s16, v243, 3
	s_mul_i32 s41, s41, s16
	s_sub_i32 s1, s1, s41
	s_ashr_i32 s36, s1, 31
	s_abs_i32 s1, s1
	s_mul_hi_u32 s37, s1, s47
	s_mul_i32 s38, s37, s45
	v_readlane_b32 s16, v243, 25
	s_sub_i32 s1, s1, s38
	s_xor_b32 s36, s36, s16
	s_add_i32 s38, s37, 1
	s_sub_i32 s39, s1, s45
	s_cmp_ge_u32 s1, s45
	s_cselect_b32 s37, s38, s37
	s_cselect_b32 s1, s39, s1
	s_add_i32 s38, s37, 1
	s_cmp_ge_u32 s1, s45
	s_cselect_b32 s1, s38, s37
	v_readlane_b32 s16, v243, 51
	s_xor_b32 s1, s1, s36
	v_readlane_b32 s17, v243, 52
	s_andn2_b64 vcc, exec, s[16:17]
	s_sub_i32 s67, s1, s36
	v_writelane_b32 v242, s46, 23
	s_nop 1
	v_writelane_b32 v242, s47, 24
	s_cbranch_vccnz .LBB19_22
; %bb.21:                               ;   in Loop: Header=BB19_16 Depth=1
	v_readlane_b32 s1, v243, 0
	s_mul_i32 s1, s2, s1
	s_add_i32 s36, s67, s1
	s_ashr_i32 s37, s36, 31
	v_readlane_b32 s16, v243, 26
	s_lshl_b64 s[36:37], s[36:37], 2
	v_readlane_b32 s26, v243, 36
	v_readlane_b32 s27, v243, 37
	s_add_u32 s36, s26, s36
	s_addc_u32 s37, s27, s37
	global_load_dword v1, v49, s[36:37]
	v_readlane_b32 s17, v243, 27
	v_readlane_b32 s18, v243, 28
	;; [unrolled: 1-line block ×13, first 2 shown]
	s_waitcnt vmcnt(0)
	v_readfirstlane_b32 s1, v1
	s_ashr_i32 s36, s1, 31
	s_lshr_b32 s36, s36, 26
	s_add_i32 s1, s1, s36
	s_ashr_i32 s1, s1, 6
	s_min_i32 s66, s66, s1
	s_branch .LBB19_23
.LBB19_22:                              ;   in Loop: Header=BB19_16 Depth=1
	v_readlane_b32 s16, v243, 26
	v_readlane_b32 s17, v243, 27
	;; [unrolled: 1-line block ×16, first 2 shown]
.LBB19_23:                              ;   in Loop: Header=BB19_16 Depth=1
	v_readlane_b32 s1, v243, 56
	s_mul_i32 s1, s1, s2
	s_add_i32 s1, s0, s1
	s_mul_i32 s84, s1, 56
	s_lshl_b64 s[36:37], s[84:85], 3
	v_readlane_b32 s22, v243, 15
	s_add_u32 s26, s28, s36
	v_readlane_b32 s23, v243, 16
	s_mul_i32 s1, s22, s3
	s_mul_hi_u32 s36, s22, s2
	s_addc_u32 s27, s29, s37
	s_add_i32 s1, s36, s1
	s_mul_i32 s36, s23, s2
	v_readlane_b32 s28, v243, 21
	s_add_i32 s23, s1, s36
	s_mul_i32 s22, s22, s2
	v_readlane_b32 s31, v243, 24
	s_add_u32 s1, s20, s22
	s_mul_i32 s98, s40, s31
	s_addc_u32 s36, s21, s23
	s_ashr_i32 s99, s98, 31
	s_add_u32 s62, s1, s98
	s_addc_u32 s63, s36, s99
	s_ashr_i32 s1, s0, 31
	s_lshl_b64 s[36:37], s[0:1], 2
	s_add_u32 s1, s24, s36
	v_readlane_b32 s20, v243, 49
	s_addc_u32 s38, s25, s37
	v_readlane_b32 s21, v243, 50
	s_and_b64 s[36:37], s[20:21], exec
	v_readlane_b32 s20, v243, 8
	v_readlane_b32 s21, v243, 9
	s_cselect_b32 s24, 0, s1
	s_mul_i32 s1, s2, s21
	s_cselect_b32 s25, 0, s38
	s_ashr_i32 s36, s1, 31
	s_add_u32 s1, s16, s1
	s_mul_i32 s0, s0, s20
	s_addc_u32 s36, s17, s36
	s_ashr_i32 s37, s0, 31
	v_readlane_b32 s29, v243, 22
	s_add_u32 s82, s1, s0
	s_mul_i32 s0, s28, s3
	s_mul_hi_u32 s1, s28, s2
	s_addc_u32 s83, s36, s37
	s_add_i32 s0, s1, s0
	s_mul_i32 s1, s29, s2
	s_mul_i32 s16, s28, s2
	v_readlane_b32 s2, v243, 19
	s_add_i32 s17, s0, s1
	v_readlane_b32 s3, v243, 20
	s_add_u32 s0, s18, s16
	s_mul_i32 s56, s40, s3
	s_addc_u32 s1, s19, s17
	s_ashr_i32 s57, s56, 31
	s_add_u32 s64, s0, s56
	s_addc_u32 s65, s1, s57
	s_cmp_lg_u32 s44, 0
	v_readlane_b32 s30, v243, 23
	s_cbranch_scc0 .LBB19_68
; %bb.24:                               ;   in Loop: Header=BB19_16 Depth=1
	s_lshl_b32 s68, s67, 5
	v_add_u32_e32 v1, s68, v191
	v_cmp_le_i32_e32 vcc, s76, v1
	s_and_saveexec_b64 s[0:1], vcc
	s_xor_b64 s[0:1], exec, s[0:1]
; %bb.25:                               ;   in Loop: Header=BB19_16 Depth=1
	v_add_u32_e32 v1, v192, v213
	ds_write_b32 v1, v49
                                        ; implicit-def: $vgpr1
; %bb.26:                               ;   in Loop: Header=BB19_16 Depth=1
	s_andn2_saveexec_b64 s[0:1], s[0:1]
	s_cbranch_execz .LBB19_28
; %bb.27:                               ;   in Loop: Header=BB19_16 Depth=1
	v_mad_u64_u32 v[2:3], s[2:3], v1, s69, v[38:39]
	v_ashrrev_i32_e32 v3, 31, v2
	v_lshl_add_u64 v[2:3], v[2:3], 3, s[82:83]
	global_load_dwordx2 v[2:3], v[2:3], off
	s_waitcnt vmcnt(0)
	v_cvt_pk_f16_f32 v1, v2, v3
	v_pk_mul_f16 v1, v1, v190
	v_add_u32_e32 v2, v192, v213
	ds_write_b32 v2, v1
.LBB19_28:                              ;   in Loop: Header=BB19_16 Depth=1
	s_or_b64 exec, exec, s[0:1]
	v_add_u32_e32 v1, s68, v214
	v_cmp_le_i32_e32 vcc, s76, v1
	s_and_saveexec_b64 s[0:1], vcc
	s_xor_b64 s[0:1], exec, s[0:1]
; %bb.29:                               ;   in Loop: Header=BB19_16 Depth=1
	v_add_u32_e32 v1, v192, v213
	ds_write_b32 v1, v49 offset:1920
                                        ; implicit-def: $vgpr1
; %bb.30:                               ;   in Loop: Header=BB19_16 Depth=1
	s_andn2_saveexec_b64 s[0:1], s[0:1]
	s_cbranch_execz .LBB19_32
; %bb.31:                               ;   in Loop: Header=BB19_16 Depth=1
	v_mad_u64_u32 v[2:3], s[2:3], v1, s69, v[38:39]
	v_ashrrev_i32_e32 v3, 31, v2
	v_lshl_add_u64 v[2:3], v[2:3], 3, s[82:83]
	global_load_dwordx2 v[2:3], v[2:3], off
	s_waitcnt vmcnt(0)
	v_cvt_pk_f16_f32 v1, v2, v3
	v_pk_mul_f16 v1, v1, v190
	v_add_u32_e32 v2, v192, v213
	ds_write_b32 v2, v1 offset:1920
.LBB19_32:                              ;   in Loop: Header=BB19_16 Depth=1
	s_or_b64 exec, exec, s[0:1]
	v_add_u32_e32 v1, s68, v215
	v_cmp_le_i32_e32 vcc, s76, v1
	s_and_saveexec_b64 s[0:1], vcc
	s_xor_b64 s[0:1], exec, s[0:1]
; %bb.33:                               ;   in Loop: Header=BB19_16 Depth=1
	v_add_u32_e32 v1, v192, v213
	ds_write_b32 v1, v49 offset:3840
                                        ; implicit-def: $vgpr1
; %bb.34:                               ;   in Loop: Header=BB19_16 Depth=1
	s_andn2_saveexec_b64 s[0:1], s[0:1]
	s_cbranch_execz .LBB19_36
; %bb.35:                               ;   in Loop: Header=BB19_16 Depth=1
	v_mad_u64_u32 v[2:3], s[2:3], v1, s69, v[38:39]
	v_ashrrev_i32_e32 v3, 31, v2
	v_lshl_add_u64 v[2:3], v[2:3], 3, s[82:83]
	global_load_dwordx2 v[2:3], v[2:3], off
	s_waitcnt vmcnt(0)
	v_cvt_pk_f16_f32 v1, v2, v3
	v_pk_mul_f16 v1, v1, v190
	v_add_u32_e32 v2, v192, v213
	ds_write_b32 v2, v1 offset:3840
.LBB19_36:                              ;   in Loop: Header=BB19_16 Depth=1
	;; [unrolled: 23-line block ×3, first 2 shown]
	s_or_b64 exec, exec, s[0:1]
	v_add_u32_e32 v1, s68, v158
	v_cmp_le_i32_e32 vcc, s76, v1
	s_and_saveexec_b64 s[0:1], vcc
	s_xor_b64 s[0:1], exec, s[0:1]
; %bb.41:                               ;   in Loop: Header=BB19_16 Depth=1
	ds_write_b32 v218, v49 offset:128
                                        ; implicit-def: $vgpr1
; %bb.42:                               ;   in Loop: Header=BB19_16 Depth=1
	s_andn2_saveexec_b64 s[0:1], s[0:1]
	s_cbranch_execz .LBB19_44
; %bb.43:                               ;   in Loop: Header=BB19_16 Depth=1
	v_mul_lo_u32 v2, v1, s69
	v_ashrrev_i32_e32 v3, 31, v2
	v_lshl_add_u64 v[2:3], v[2:3], 0, v[40:41]
	v_lshl_add_u64 v[2:3], v[2:3], 3, s[82:83]
	global_load_dwordx2 v[2:3], v[2:3], off offset:256
	s_waitcnt vmcnt(0)
	v_cvt_pk_f16_f32 v1, v2, v3
	v_pk_mul_f16 v1, v1, v190
	v_add_u32_e32 v2, v193, v217
	ds_write_b32 v2, v1 offset:128
.LBB19_44:                              ;   in Loop: Header=BB19_16 Depth=1
	s_or_b64 exec, exec, s[0:1]
	v_add_u32_e32 v1, s68, v219
	v_cmp_le_i32_e32 vcc, s76, v1
	s_and_saveexec_b64 s[0:1], vcc
	s_xor_b64 s[0:1], exec, s[0:1]
; %bb.45:                               ;   in Loop: Header=BB19_16 Depth=1
	ds_write_b32 v220, v49 offset:128
                                        ; implicit-def: $vgpr1
; %bb.46:                               ;   in Loop: Header=BB19_16 Depth=1
	s_andn2_saveexec_b64 s[0:1], s[0:1]
	s_cbranch_execz .LBB19_48
; %bb.47:                               ;   in Loop: Header=BB19_16 Depth=1
	v_mul_lo_u32 v2, v1, s69
	v_ashrrev_i32_e32 v3, 31, v2
	v_lshl_add_u64 v[2:3], v[2:3], 0, v[40:41]
	v_lshl_add_u64 v[2:3], v[2:3], 3, s[82:83]
	global_load_dwordx2 v[2:3], v[2:3], off offset:256
	s_waitcnt vmcnt(0)
	v_cvt_pk_f16_f32 v1, v2, v3
	v_pk_mul_f16 v1, v1, v190
	v_add_u32_e32 v2, v193, v217
	ds_write_b32 v2, v1 offset:3968
.LBB19_48:                              ;   in Loop: Header=BB19_16 Depth=1
	s_or_b64 exec, exec, s[0:1]
	v_add_u32_e32 v1, s68, v159
	v_cmp_le_i32_e32 vcc, s76, v1
	s_and_saveexec_b64 s[0:1], vcc
	s_xor_b64 s[0:1], exec, s[0:1]
; %bb.49:                               ;   in Loop: Header=BB19_16 Depth=1
	ds_write_b32 v163, v49 offset:192
                                        ; implicit-def: $vgpr1
; %bb.50:                               ;   in Loop: Header=BB19_16 Depth=1
	s_andn2_saveexec_b64 s[0:1], s[0:1]
	s_cbranch_execz .LBB19_52
; %bb.51:                               ;   in Loop: Header=BB19_16 Depth=1
	v_mul_lo_u32 v2, v1, s69
	v_ashrrev_i32_e32 v3, 31, v2
	v_lshl_add_u64 v[2:3], v[2:3], 0, v[54:55]
	v_lshl_add_u64 v[2:3], v[2:3], 3, s[82:83]
	global_load_dwordx2 v[2:3], v[2:3], off offset:384
	s_waitcnt vmcnt(0)
	v_cvt_pk_f16_f32 v1, v2, v3
	v_pk_mul_f16 v1, v1, v190
	ds_write_b32 v163, v1 offset:192
.LBB19_52:                              ;   in Loop: Header=BB19_16 Depth=1
	s_or_b64 exec, exec, s[0:1]
	s_waitcnt lgkmcnt(0)
	s_barrier
	ds_read2_b64 v[10:13], v167 offset1:4
	ds_read2_b64 v[6:9], v167 offset0:8 offset1:12
	ds_read2_b64 v[2:5], v167 offset0:16 offset1:20
	ds_read_b64 v[92:93], v167 offset:192
	s_add_i32 s42, s66, -1
	s_cmp_ge_i32 s44, s42
	s_waitcnt lgkmcnt(0)
	s_barrier
	s_cbranch_scc1 .LBB19_69
; %bb.53:                               ;   in Loop: Header=BB19_16 Depth=1
	v_add_u32_e32 v1, s68, v133
	v_readlane_b32 s2, v243, 10
	v_readlane_b32 s3, v243, 11
	;; [unrolled: 1-line block ×3, first 2 shown]
	v_mul_hi_u32 v14, s2, v1
	v_add_u32_e32 v14, v1, v14
	v_lshrrev_b32_e32 v14, s3, v14
	v_mul_lo_u32 v14, v14, s76
	v_sub_u32_e32 v1, v1, v14
	v_readlane_b32 s1, v242, 16
	s_mov_b32 s18, s0
	v_mad_i64_i32 v[96:97], s[0:1], v1, s18, 0
	v_add_u32_e32 v1, s68, v194
	v_mul_hi_u32 v14, s2, v1
	v_add_u32_e32 v14, v1, v14
	v_lshrrev_b32_e32 v14, s3, v14
	v_mul_lo_u32 v14, v14, s76
	v_sub_u32_e32 v1, v1, v14
	v_mad_i64_i32 v[98:99], s[0:1], v1, s18, 0
	v_add_u32_e32 v1, s68, v196
	v_mul_hi_u32 v14, s2, v1
	v_add_u32_e32 v14, v1, v14
	v_lshrrev_b32_e32 v14, s3, v14
	v_mul_lo_u32 v14, v14, s76
	v_sub_u32_e32 v1, v1, v14
	v_mad_i64_i32 v[100:101], s[0:1], v1, s18, 0
	v_add_u32_e32 v1, s68, v198
	v_mul_hi_u32 v14, s2, v1
	v_add_u32_e32 v14, v1, v14
	v_lshrrev_b32_e32 v14, s3, v14
	v_mul_lo_u32 v14, v14, s76
	v_sub_u32_e32 v1, v1, v14
	v_mad_i64_i32 v[102:103], s[0:1], v1, s18, 0
	v_add_u32_e32 v1, s68, v200
	v_mul_hi_u32 v14, s2, v1
	v_add_u32_e32 v14, v1, v14
	v_lshrrev_b32_e32 v14, s3, v14
	v_mul_lo_u32 v14, v14, s76
	v_sub_u32_e32 v1, v1, v14
	v_mad_i64_i32 v[104:105], s[0:1], v1, s18, 0
	v_add_u32_e32 v1, s68, v202
	v_mul_hi_u32 v14, s2, v1
	v_add_u32_e32 v14, v1, v14
	v_lshrrev_b32_e32 v14, s3, v14
	v_mul_lo_u32 v14, v14, s76
	v_sub_u32_e32 v1, v1, v14
	v_mad_i64_i32 v[106:107], s[0:1], v1, s18, 0
	v_add_u32_e32 v1, s68, v204
	v_mul_hi_u32 v14, s2, v1
	v_add_u32_e32 v14, v1, v14
	v_lshrrev_b32_e32 v14, s3, v14
	v_mul_lo_u32 v14, v14, s76
	v_sub_u32_e32 v1, v1, v14
	v_mad_i64_i32 v[108:109], s[0:1], v1, s18, 0
	v_add_u32_e32 v1, s68, v206
	v_mul_hi_u32 v14, s2, v1
	v_add_u32_e32 v14, v1, v14
	v_lshrrev_b32_e32 v14, s3, v14
	v_mul_lo_u32 v14, v14, s76
	v_sub_u32_e32 v1, v1, v14
	v_mad_i64_i32 v[110:111], s[0:1], v1, s18, 0
	v_and_b32_e32 v1, 64, v225
	v_add_u32_e32 v1, 64, v1
	v_xor_b32_e32 v14, 32, v225
	v_cmp_lt_i32_e32 vcc, v14, v1
	s_cmp_lg_u64 s[58:59], 0
	v_lshlrev_b32_e32 v48, 1, v42
	v_cndmask_b32_e32 v14, v225, v14, vcc
	v_lshlrev_b32_e32 v119, 2, v14
	v_xor_b32_e32 v14, 16, v225
	v_cmp_lt_i32_e32 vcc, v14, v1
	s_cselect_b64 s[38:39], -1, 0
	v_lshl_add_u64 v[94:95], s[58:59], 0, v[48:49]
	v_cndmask_b32_e32 v1, v225, v14, vcc
	v_lshlrev_b32_e32 v120, 2, v1
	v_mov_b32_e32 v112, v90
	v_mov_b32_e32 v113, v90
	s_lshl_b32 s40, s44, 6
	v_mov_b32_e32 v35, 0
	v_mov_b32_e32 v121, 0xfeffffff
	;; [unrolled: 1-line block ×16, first 2 shown]
.LBB19_54:                              ;   Parent Loop BB19_16 Depth=1
                                        ; =>  This Inner Loop Header: Depth=2
	v_cndmask_b32_e64 v1, 0, 1, s[38:39]
	v_cmp_ne_u32_e64 s[36:37], 1, v1
	s_andn2_b64 vcc, exec, s[38:39]
	s_ashr_i32 s41, s40, 31
	s_cbranch_vccnz .LBB19_60
; %bb.55:                               ;   in Loop: Header=BB19_54 Depth=2
	s_and_saveexec_b64 s[0:1], s[48:49]
	s_xor_b64 s[0:1], exec, s[0:1]
	s_cbranch_execz .LBB19_57
; %bb.56:                               ;   in Loop: Header=BB19_54 Depth=2
	ds_write_b16 v164, v49 offset:15360
	ds_write_b16 v195, v49 offset:15360
	;; [unrolled: 1-line block ×4, first 2 shown]
.LBB19_57:                              ;   in Loop: Header=BB19_54 Depth=2
	s_or_saveexec_b64 s[0:1], s[0:1]
	v_mov_b32_e32 v1, 0
	v_mov_b32_e32 v14, 0
	;; [unrolled: 1-line block ×4, first 2 shown]
	s_xor_b64 exec, exec, s[0:1]
	s_cbranch_execz .LBB19_59
; %bb.58:                               ;   in Loop: Header=BB19_54 Depth=2
	v_lshl_add_u64 v[16:17], s[40:41], 1, v[94:95]
	v_lshl_add_u64 v[14:15], v[96:97], 1, v[16:17]
	global_load_ushort v1, v[14:15], off
	v_lshl_add_u64 v[14:15], v[98:99], 1, v[16:17]
	global_load_ushort v18, v[14:15], off
	;; [unrolled: 2-line block ×4, first 2 shown]
	s_waitcnt vmcnt(3)
	ds_write_b16 v164, v1 offset:15360
	s_waitcnt vmcnt(2)
	ds_write_b16 v195, v18 offset:15360
	;; [unrolled: 2-line block ×4, first 2 shown]
	v_lshl_add_u64 v[14:15], v[104:105], 1, v[16:17]
	global_load_ushort v1, v[14:15], off
	v_lshl_add_u64 v[14:15], v[106:107], 1, v[16:17]
	v_lshl_add_u64 v[18:19], v[108:109], 1, v[16:17]
	;; [unrolled: 1-line block ×3, first 2 shown]
	global_load_ushort v14, v[14:15], off
	s_nop 0
	global_load_ushort v16, v[16:17], off
	s_nop 0
	global_load_ushort v15, v[18:19], off
.LBB19_59:                              ;   in Loop: Header=BB19_54 Depth=2
	s_or_b64 exec, exec, s[0:1]
	s_waitcnt vmcnt(3)
	ds_write_b16 v201, v1 offset:15360
	s_waitcnt vmcnt(2)
	ds_write_b16 v203, v14 offset:15360
	;; [unrolled: 2-line block ×3, first 2 shown]
	ds_write_b16 v207, v16 offset:15360
.LBB19_60:                              ;   in Loop: Header=BB19_54 Depth=2
	s_mul_hi_i32 s1, s40, s90
	s_mul_i32 s0, s40, s90
	s_lshl_b64 s[0:1], s[0:1], 2
	s_add_u32 s0, s64, s0
	s_addc_u32 s1, s65, s1
	scratch_store_dwordx4 off, v[234:237], off
	s_and_saveexec_b64 s[2:3], s[6:7]
	s_cbranch_execz .LBB19_62
; %bb.61:                               ;   in Loop: Header=BB19_54 Depth=2
	v_lshl_add_u64 v[14:15], v[64:65], 2, s[0:1]
	v_lshlrev_b32_e32 v48, 2, v46
	v_lshl_add_u64 v[14:15], v[14:15], 0, v[48:49]
	global_load_dwordx4 v[14:17], v[14:15], off offset:192
	s_waitcnt vmcnt(0)
	ds_write_b128 v139, v[14:17]
.LBB19_62:                              ;   in Loop: Header=BB19_54 Depth=2
	s_or_b64 exec, exec, s[2:3]
	v_lshl_add_u64 v[14:15], v[58:59], 2, s[0:1]
	v_lshlrev_b32_e32 v48, 2, v44
	v_lshl_add_u64 v[16:17], v[60:61], 2, s[0:1]
	v_lshlrev_b32_e32 v26, 2, v52
	v_mov_b32_e32 v27, v49
	v_lshl_add_u64 v[14:15], v[14:15], 0, v[48:49]
	v_mov_b32_e32 v1, s87
	v_lshl_add_u64 v[16:17], v[16:17], 0, v[26:27]
	v_lshl_add_u64 v[14:15], v[14:15], 0, s[88:89]
	v_cndmask_b32_e64 v19, v1, v17, s[10:11]
	v_cndmask_b32_e64 v18, v226, v16, s[10:11]
	v_lshl_add_u64 v[16:17], v[62:63], 2, s[0:1]
	v_cndmask_b32_e64 v15, v1, v15, s[8:9]
	v_cndmask_b32_e64 v14, v226, v14, s[8:9]
	;; [unrolled: 3-line block ×3, first 2 shown]
	flat_load_dwordx4 v[14:17], v[14:15]
	v_add_u32_e32 v1, v45, v166
	s_and_b64 vcc, exec, s[36:37]
	s_waitcnt vmcnt(0) lgkmcnt(0)
	ds_write_b128 v138, v[14:17]
	flat_load_dwordx4 v[14:17], v[18:19]
	s_waitcnt vmcnt(0) lgkmcnt(0)
	ds_write_b128 v162, v[14:17]
	flat_load_dwordx4 v[14:17], v[22:23]
	s_waitcnt vmcnt(0) lgkmcnt(0)
	ds_write_b128 v161, v[14:17]
	s_waitcnt lgkmcnt(0)
	s_barrier
	ds_read2_b64 v[14:17], v1 offset1:4
	s_waitcnt lgkmcnt(0)
	v_mfma_f32_16x16x16_f16 v[22:25], v[14:15], v[10:11], 0
	ds_read_b64 v[18:19], v1 offset:192
	v_mfma_f32_16x16x16_f16 v[14:17], v[16:17], v[12:13], v[22:25]
	s_nop 5
	ds_read2_b64 v[22:25], v1 offset0:8 offset1:12
	s_waitcnt lgkmcnt(0)
	v_mfma_f32_16x16x16_f16 v[14:17], v[22:23], v[6:7], v[14:17]
	v_mfma_f32_16x16x16_f16 v[14:17], v[24:25], v[8:9], v[14:17]
	ds_read2_b64 v[22:25], v1 offset0:16 offset1:20
	s_waitcnt lgkmcnt(0)
	v_mfma_f32_16x16x16_f16 v[14:17], v[22:23], v[2:3], v[14:17]
	v_mfma_f32_16x16x16_f16 v[14:17], v[24:25], v[4:5], v[14:17]
	;; [unrolled: 1-line block ×3, first 2 shown]
	s_nop 6
	v_add_u32_e32 v14, 0x1800, v1
	ds_read2_b64 v[22:25], v14 offset0:192 offset1:196
	s_waitcnt lgkmcnt(0)
	v_mfma_f32_16x16x16_f16 v[122:125], v[22:23], v[10:11], 0
	v_mfma_f32_16x16x16_f16 v[22:25], v[24:25], v[12:13], v[122:125]
	s_nop 6
	ds_read2_b64 v[122:125], v14 offset0:200 offset1:204
	s_waitcnt lgkmcnt(0)
	v_mfma_f32_16x16x16_f16 v[22:25], v[122:123], v[6:7], v[22:25]
	v_mfma_f32_16x16x16_f16 v[22:25], v[124:125], v[8:9], v[22:25]
	ds_read2_b64 v[122:125], v14 offset0:208 offset1:212
	ds_read_b64 v[14:15], v1 offset:7872
	s_waitcnt lgkmcnt(0)
	v_mfma_f32_16x16x16_f16 v[22:25], v[122:123], v[2:3], v[22:25]
	s_barrier
	v_mfma_f32_16x16x16_f16 v[22:25], v[124:125], v[4:5], v[22:25]
	v_mfma_f32_16x16x16_f16 v[22:25], v[14:15], v[92:93], v[22:25]
	s_cbranch_vccnz .LBB19_64
; %bb.63:                               ;   in Loop: Header=BB19_54 Depth=2
	v_add_u32_e32 v1, 0x3c00, v168
	ds_read2_b32 v[14:15], v1 offset1:1
	ds_read_b32 v1, v170 offset:15360
	v_mov_b32_e32 v91, v90
	s_waitcnt lgkmcnt(1)
	v_cvt_f32_f16_e32 v122, v14
	v_cvt_f32_f16_sdwa v123, v14 dst_sel:DWORD dst_unused:UNUSED_PAD src0_sel:WORD_1
	v_cvt_f32_f16_e32 v14, v15
	v_cvt_f32_f16_sdwa v15, v15 dst_sel:DWORD dst_unused:UNUSED_PAD src0_sel:WORD_1
	v_pk_fma_f32 v[16:17], v[112:113], v[122:123], v[16:17]
	v_pk_fma_f32 v[18:19], v[90:91], v[14:15], v[18:19]
	s_waitcnt lgkmcnt(0)
	v_cvt_f32_f16_sdwa v15, v1 dst_sel:DWORD dst_unused:UNUSED_PAD src0_sel:WORD_1
	v_cvt_f32_f16_e32 v14, v1
	ds_read_b32 v1, v172 offset:15360
	v_pk_fma_f32 v[22:23], v[112:113], v[14:15], v[22:23]
	s_waitcnt lgkmcnt(0)
	v_cvt_f32_f16_sdwa v123, v1 dst_sel:DWORD dst_unused:UNUSED_PAD src0_sel:WORD_1
	v_cvt_f32_f16_e32 v122, v1
	v_pk_fma_f32 v[24:25], v[90:91], v[122:123], v[24:25]
.LBB19_64:                              ;   in Loop: Header=BB19_54 Depth=2
	v_add_f32_e32 v1, 0x40051340, v16
	v_max_f32_e32 v14, v121, v121
	v_max_f32_e32 v1, v14, v1
	v_cndmask_b32_e64 v1, v121, v1, s[14:15]
	v_add_f32_e32 v14, 0x40051340, v17
	v_max_f32_e32 v15, v1, v1
	v_max_f32_e32 v14, v15, v14
	v_cndmask_b32_e64 v1, v1, v14, s[72:73]
	;; [unrolled: 4-line block ×8, first 2 shown]
	ds_bpermute_b32 v14, v119, v1
	v_max_f32_e32 v1, v1, v1
	s_mul_hi_i32 s1, s40, s78
	s_mul_i32 s0, s40, s78
	s_lshl_b64 s[0:1], s[0:1], 2
	s_waitcnt lgkmcnt(0)
	v_max_f32_e32 v14, v14, v14
	v_max_f32_e32 v1, v1, v14
	ds_bpermute_b32 v14, v120, v1
	s_add_u32 s36, s62, s0
	s_addc_u32 s37, s63, s1
	scratch_store_dwordx4 off, v[234:237], off
	s_and_saveexec_b64 s[0:1], s[6:7]
	s_cbranch_execz .LBB19_66
; %bb.65:                               ;   in Loop: Header=BB19_54 Depth=2
	v_lshl_add_u64 v[122:123], v[66:67], 2, s[36:37]
	v_lshlrev_b32_e32 v124, 2, v46
	v_mov_b32_e32 v125, v49
	v_lshl_add_u64 v[122:123], v[122:123], 0, v[124:125]
	global_load_dwordx4 v[122:125], v[122:123], off offset:192
	s_waitcnt vmcnt(0)
	ds_write_b128 v139, v[122:125]
.LBB19_66:                              ;   in Loop: Header=BB19_54 Depth=2
	s_or_b64 exec, exec, s[0:1]
	s_waitcnt lgkmcnt(0)
	v_max_f32_e32 v14, v14, v14
	v_max_f32_e32 v1, v1, v1
	;; [unrolled: 1-line block ×3, first 2 shown]
	v_sub_f32_e32 v1, v16, v118
	v_mul_f32_e32 v14, 0x3fb8aa3b, v1
	v_fma_f32 v15, v1, s86, -v14
	v_rndne_f32_e32 v16, v14
	v_fmac_f32_e32 v15, 0x32a5705f, v1
	v_sub_f32_e32 v14, v14, v16
	v_add_f32_e32 v14, v14, v15
	v_exp_f32_e32 v14, v14
	v_cvt_i32_f32_e32 v15, v16
	v_cmp_ngt_f32_e32 vcc, s33, v1
	s_add_i32 s44, s44, 1
	s_add_i32 s40, s40, 64
	v_ldexp_f32 v14, v14, v15
	v_cndmask_b32_e32 v14, 0, v14, vcc
	v_cmp_nlt_f32_e32 vcc, s77, v1
	s_cmp_lt_i32 s44, s42
	s_nop 0
	v_cndmask_b32_e32 v1, v223, v14, vcc
	v_cndmask_b32_e64 v16, 0, v1, s[14:15]
	v_sub_f32_e32 v1, v17, v118
	v_mul_f32_e32 v14, 0x3fb8aa3b, v1
	v_fma_f32 v15, v1, s86, -v14
	v_rndne_f32_e32 v17, v14
	v_fmac_f32_e32 v15, 0x32a5705f, v1
	v_sub_f32_e32 v14, v14, v17
	v_add_f32_e32 v14, v14, v15
	v_exp_f32_e32 v14, v14
	v_cvt_i32_f32_e32 v15, v17
	v_cmp_ngt_f32_e32 vcc, s33, v1
	v_ldexp_f32 v14, v14, v15
	s_nop 0
	v_cndmask_b32_e32 v14, 0, v14, vcc
	v_cmp_nlt_f32_e32 vcc, s77, v1
	v_mov_b32_e32 v1, s85
	s_nop 0
	v_cndmask_b32_e32 v14, v223, v14, vcc
	v_add_f32_e32 v17, v14, v16
	v_cndmask_b32_e64 v15, v1, v14, s[72:73]
	v_sub_f32_e32 v14, v18, v118
	v_cndmask_b32_e64 v1, v16, v17, s[72:73]
	v_mul_f32_e32 v17, 0x3fb8aa3b, v14
	v_fma_f32 v18, v14, s86, -v17
	v_rndne_f32_e32 v20, v17
	v_fmac_f32_e32 v18, 0x32a5705f, v14
	v_sub_f32_e32 v17, v17, v20
	v_add_f32_e32 v17, v17, v18
	v_exp_f32_e32 v17, v17
	v_cvt_i32_f32_e32 v18, v20
	v_cmp_ngt_f32_e32 vcc, s33, v14
	v_ldexp_f32 v17, v17, v18
	s_nop 0
	v_cndmask_b32_e32 v17, 0, v17, vcc
	v_cmp_nlt_f32_e32 vcc, s77, v14
	v_mov_b32_e32 v14, s85
	s_nop 0
	v_cndmask_b32_e32 v17, v223, v17, vcc
	v_cndmask_b32_e64 v20, v14, v17, s[74:75]
	v_sub_f32_e32 v14, v19, v118
	v_add_f32_e32 v18, v1, v17
	v_mul_f32_e32 v17, 0x3fb8aa3b, v14
	v_cndmask_b32_e64 v1, v1, v18, s[74:75]
	v_fma_f32 v18, v14, s86, -v17
	v_rndne_f32_e32 v19, v17
	v_fmac_f32_e32 v18, 0x32a5705f, v14
	v_sub_f32_e32 v17, v17, v19
	v_add_f32_e32 v17, v17, v18
	v_exp_f32_e32 v17, v17
	v_cvt_i32_f32_e32 v18, v19
	v_cmp_ngt_f32_e32 vcc, s33, v14
	v_ldexp_f32 v17, v17, v18
	s_nop 0
	v_cndmask_b32_e32 v17, 0, v17, vcc
	v_cmp_nlt_f32_e32 vcc, s77, v14
	s_nop 1
	v_cndmask_b32_e32 v27, v223, v17, vcc
	v_add_f32_e32 v14, v1, v27
	v_cndmask_b32_e64 v1, v1, v14, s[70:71]
	v_sub_f32_e32 v14, v22, v118
	v_mul_f32_e32 v17, 0x3fb8aa3b, v14
	v_fma_f32 v18, v14, s86, -v17
	v_rndne_f32_e32 v19, v17
	v_fmac_f32_e32 v18, 0x32a5705f, v14
	v_sub_f32_e32 v17, v17, v19
	v_add_f32_e32 v17, v17, v18
	v_exp_f32_e32 v17, v17
	v_cvt_i32_f32_e32 v18, v19
	v_cmp_ngt_f32_e32 vcc, s33, v14
	v_ldexp_f32 v17, v17, v18
	s_nop 0
	v_cndmask_b32_e32 v17, 0, v17, vcc
	v_cmp_nlt_f32_e32 vcc, s77, v14
	v_mov_b32_e32 v14, s85
	s_nop 0
	v_cndmask_b32_e32 v17, v223, v17, vcc
	v_add_f32_e32 v18, v17, v1
	v_cndmask_b32_e64 v14, v14, v17, s[96:97]
	v_cndmask_b32_e64 v17, v1, v18, s[96:97]
	v_sub_f32_e32 v1, v23, v118
	v_mul_f32_e32 v18, 0x3fb8aa3b, v1
	v_fma_f32 v19, v1, s86, -v18
	v_rndne_f32_e32 v22, v18
	v_fmac_f32_e32 v19, 0x32a5705f, v1
	v_sub_f32_e32 v18, v18, v22
	v_add_f32_e32 v18, v18, v19
	v_exp_f32_e32 v18, v18
	v_cvt_i32_f32_e32 v19, v22
	v_cmp_ngt_f32_e32 vcc, s33, v1
	v_ldexp_f32 v18, v18, v19
	s_nop 0
	v_cndmask_b32_e32 v18, 0, v18, vcc
	v_cmp_nlt_f32_e32 vcc, s77, v1
	v_mov_b32_e32 v1, s85
	s_nop 0
	v_cndmask_b32_e32 v18, v223, v18, vcc
	v_add_f32_e32 v19, v18, v17
	v_cndmask_b32_e64 v1, v1, v18, s[4:5]
	v_sub_f32_e32 v18, v24, v118
	v_cndmask_b32_e64 v17, v17, v19, s[4:5]
	v_mul_f32_e32 v19, 0x3fb8aa3b, v18
	v_fma_f32 v22, v18, s86, -v19
	v_rndne_f32_e32 v23, v19
	v_fmac_f32_e32 v22, 0x32a5705f, v18
	v_sub_f32_e32 v19, v19, v23
	v_add_f32_e32 v19, v19, v22
	v_exp_f32_e32 v19, v19
	v_cvt_i32_f32_e32 v22, v23
	v_cmp_ngt_f32_e32 vcc, s33, v18
	v_ldexp_f32 v19, v19, v22
	s_nop 0
	v_cndmask_b32_e32 v19, 0, v19, vcc
	v_cmp_nlt_f32_e32 vcc, s77, v18
	v_mov_b32_e32 v18, s85
	s_nop 0
	v_cndmask_b32_e32 v19, v223, v19, vcc
	v_add_f32_e32 v22, v19, v17
	v_cndmask_b32_e64 v18, v18, v19, s[94:95]
	v_sub_f32_e32 v19, v25, v118
	v_cndmask_b32_e64 v17, v17, v22, s[94:95]
	v_mul_f32_e32 v22, 0x3fb8aa3b, v19
	v_fma_f32 v23, v19, s86, -v22
	v_rndne_f32_e32 v24, v22
	v_fmac_f32_e32 v23, 0x32a5705f, v19
	v_sub_f32_e32 v22, v22, v24
	v_add_f32_e32 v22, v22, v23
	v_exp_f32_e32 v22, v22
	v_cvt_i32_f32_e32 v23, v24
	v_cmp_ngt_f32_e32 vcc, s33, v19
	v_ldexp_f32 v22, v22, v23
	s_nop 0
	v_cndmask_b32_e32 v22, 0, v22, vcc
	v_cmp_nlt_f32_e32 vcc, s77, v19
	s_nop 1
	v_cndmask_b32_e32 v22, v223, v22, vcc
	v_add_f32_e32 v19, v22, v17
	v_cndmask_b32_e64 v91, v17, v19, s[80:81]
	v_sub_f32_e32 v17, v121, v118
	v_mul_f32_e32 v19, 0x3fb8aa3b, v17
	v_fma_f32 v23, v17, s86, -v19
	v_rndne_f32_e32 v24, v19
	v_fmac_f32_e32 v23, 0x32a5705f, v17
	v_sub_f32_e32 v19, v19, v24
	v_add_f32_e32 v19, v19, v23
	v_exp_f32_e32 v19, v19
	v_cvt_i32_f32_e32 v23, v24
	v_cmp_ngt_f32_e32 vcc, s33, v17
	v_ldexp_f32 v19, v19, v23
	s_nop 0
	v_cndmask_b32_e32 v19, 0, v19, vcc
	v_cmp_nlt_f32_e32 vcc, s77, v17
	v_mov_b32_e32 v23, s85
	s_nop 0
	v_cndmask_b32_e32 v19, v223, v19, vcc
	v_cmp_le_f32_e32 vcc, s50, v17
	s_nop 1
	v_cndmask_b32_e32 v17, 0, v19, vcc
	v_fmac_f32_e32 v91, v21, v17
	v_cvt_f16_f32_e32 v17, v17
	v_mul_u32_u24_e32 v17, 0x10001, v17
	v_pk_mul_f16 v24, v117, v17
	v_pk_mul_f16 v25, v116, v17
	;; [unrolled: 1-line block ×14, first 2 shown]
	v_mov_b32_e32 v17, s85
	v_cndmask_b32_e64 v17, v17, v22, s[80:81]
	v_cndmask_b32_e64 v28, v23, v27, s[70:71]
	v_lshl_add_u64 v[22:23], v[72:73], 2, s[36:37]
	v_lshl_add_u64 v[22:23], v[22:23], 0, v[48:49]
	;; [unrolled: 1-line block ×3, first 2 shown]
	v_mov_b32_e32 v29, s87
	v_cndmask_b32_e64 v23, v29, v23, s[8:9]
	v_cndmask_b32_e64 v22, v226, v22, s[8:9]
	flat_load_dwordx4 v[114:117], v[22:23]
	v_lshl_add_u64 v[22:23], v[70:71], 2, s[36:37]
	v_mov_b32_e32 v27, v49
	v_lshl_add_u64 v[22:23], v[22:23], 0, v[26:27]
	v_cndmask_b32_e64 v23, v29, v23, s[10:11]
	v_cndmask_b32_e64 v22, v226, v22, s[10:11]
	v_cvt_f32_f16_sdwa v125, v31 dst_sel:DWORD dst_unused:UNUSED_PAD src0_sel:WORD_1
	v_cvt_f32_f16_e32 v126, v30
	v_cvt_f32_f16_sdwa v127, v30 dst_sel:DWORD dst_unused:UNUSED_PAD src0_sel:WORD_1
	s_waitcnt vmcnt(0) lgkmcnt(0)
	ds_write_b128 v138, v[114:117]
	flat_load_dwordx4 v[114:117], v[22:23]
	v_lshl_add_u64 v[22:23], v[68:69], 2, s[36:37]
	v_lshl_add_u64 v[22:23], v[22:23], 0, v[26:27]
	v_cndmask_b32_e64 v23, v29, v23, s[12:13]
	v_cndmask_b32_e64 v22, v226, v22, s[12:13]
	s_waitcnt vmcnt(0) lgkmcnt(0)
	ds_write_b128 v162, v[114:117]
	flat_load_dwordx4 v[114:117], v[22:23]
	v_cvt_f32_f16_e32 v22, v24
	v_cvt_f32_f16_sdwa v23, v24 dst_sel:DWORD dst_unused:UNUSED_PAD src0_sel:WORD_1
	v_cvt_f32_f16_e32 v24, v25
	v_cvt_f32_f16_sdwa v25, v25 dst_sel:DWORD dst_unused:UNUSED_PAD src0_sel:WORD_1
	s_waitcnt vmcnt(0) lgkmcnt(0)
	ds_write_b128 v161, v[114:117]
	s_waitcnt lgkmcnt(0)
	s_barrier
	ds_read_u16 v26, v140 offset:240
	ds_read_u16 v27, v141
	ds_read_u16 v29, v141 offset:32
	ds_read_u16 v48, v142
	ds_read_u16 v123, v142 offset:32
	v_cvt_pk_f16_f32 v117, v20, v28
	v_cvt_pk_f16_f32 v116, v16, v15
	;; [unrolled: 1-line block ×3, first 2 shown]
	s_waitcnt lgkmcnt(1)
	v_perm_b32 v27, v48, v27, s60
	ds_read_u16 v48, v140
	ds_read_u16 v124, v140 offset:32
	v_cvt_pk_f16_f32 v115, v18, v17
	s_waitcnt lgkmcnt(1)
	v_perm_b32 v26, v26, v48, s60
	s_nop 1
	v_mfma_f32_16x16x16_f16 v[22:25], v[26:27], v[116:117], v[22:25]
	ds_read_u16 v26, v140 offset:7680
	ds_read_u16 v28, v140 offset:7920
	;; [unrolled: 1-line block ×5, first 2 shown]
	s_nop 2
	v_cvt_f16_f32_e32 v15, v22
	v_cvt_f16_f32_e32 v16, v23
	;; [unrolled: 1-line block ×4, first 2 shown]
	s_waitcnt lgkmcnt(1)
	v_perm_b32 v27, v48, v27, s60
	v_perm_b32 v26, v28, v26, s60
	v_cvt_f32_f16_e32 v22, v15
	v_cvt_f32_f16_e32 v23, v16
	v_cvt_f32_f16_e32 v24, v20
	v_cvt_f32_f16_e32 v25, v25
	s_waitcnt lgkmcnt(0)
	v_perm_b32 v18, v1, v124, s60
	v_cvt_f32_f16_e32 v20, v21
	v_mfma_f32_16x16x16_f16 v[14:17], v[26:27], v[114:115], v[22:25]
	v_cvt_f32_f16_sdwa v21, v21 dst_sel:DWORD dst_unused:UNUSED_PAD src0_sel:WORD_1
	v_cvt_f32_f16_e32 v124, v31
	s_nop 0
	v_cvt_f32_f16_e32 v22, v19
	v_cvt_f32_f16_sdwa v23, v19 dst_sel:DWORD dst_unused:UNUSED_PAD src0_sel:WORD_1
	v_perm_b32 v19, v123, v29, s60
	s_nop 1
	v_mfma_f32_16x16x16_f16 v[18:21], v[18:19], v[116:117], v[20:23]
	s_nop 2
	ds_read_u16 v22, v140 offset:7712
	ds_read_u16 v24, v140 offset:7952
	;; [unrolled: 1-line block ×4, first 2 shown]
	s_nop 0
	v_cvt_f16_f32_e32 v1, v18
	v_cvt_f16_f32_e32 v19, v19
	;; [unrolled: 1-line block ×4, first 2 shown]
	v_cvt_f32_f16_e32 v18, v1
	ds_read_u16 v1, v140 offset:64
	ds_read_u16 v26, v140 offset:304
	;; [unrolled: 1-line block ×4, first 2 shown]
	s_waitcnt lgkmcnt(4)
	v_perm_b32 v23, v25, v23, s60
	v_perm_b32 v22, v24, v22, s60
	v_cvt_f32_f16_e32 v19, v19
	v_cvt_f32_f16_e32 v20, v20
	;; [unrolled: 1-line block ×3, first 2 shown]
	s_waitcnt lgkmcnt(0)
	v_perm_b32 v27, v28, v27, s60
	v_perm_b32 v26, v26, v1, s60
	v_mfma_f32_16x16x16_f16 v[18:21], v[22:23], v[114:115], v[18:21]
	v_cvt_f32_f16_e32 v22, v37
	v_cvt_f32_f16_sdwa v23, v37 dst_sel:DWORD dst_unused:UNUSED_PAD src0_sel:WORD_1
	v_cvt_f32_f16_e32 v24, v36
	v_cvt_f32_f16_sdwa v25, v36 dst_sel:DWORD dst_unused:UNUSED_PAD src0_sel:WORD_1
	s_nop 1
	v_mfma_f32_16x16x16_f16 v[22:25], v[26:27], v[116:117], v[22:25]
	ds_read_u16 v26, v140 offset:7744
	ds_read_u16 v28, v140 offset:7984
	;; [unrolled: 1-line block ×4, first 2 shown]
	s_nop 3
	v_cvt_f16_f32_e32 v1, v22
	v_cvt_f16_f32_e32 v23, v23
	;; [unrolled: 1-line block ×4, first 2 shown]
	v_cvt_f32_f16_e32 v22, v1
	s_waitcnt lgkmcnt(0)
	v_perm_b32 v27, v29, v27, s60
	v_perm_b32 v26, v28, v26, s60
	ds_read_u16 v1, v140 offset:96
	ds_read_u16 v36, v140 offset:336
	;; [unrolled: 1-line block ×4, first 2 shown]
	v_cvt_f32_f16_e32 v23, v23
	v_cvt_f32_f16_e32 v24, v24
	;; [unrolled: 1-line block ×4, first 2 shown]
	v_cvt_f32_f16_sdwa v29, v32 dst_sel:DWORD dst_unused:UNUSED_PAD src0_sel:WORD_1
	v_mfma_f32_16x16x16_f16 v[22:25], v[26:27], v[114:115], v[22:25]
	v_cvt_f32_f16_e32 v26, v33
	v_cvt_f32_f16_sdwa v27, v33 dst_sel:DWORD dst_unused:UNUSED_PAD src0_sel:WORD_1
	s_waitcnt lgkmcnt(0)
	v_perm_b32 v33, v48, v37, s60
	v_perm_b32 v32, v36, v1, s60
	s_nop 1
	v_mfma_f32_16x16x16_f16 v[26:29], v[32:33], v[116:117], v[26:29]
	ds_read_u16 v32, v140 offset:7776
	ds_read_u16 v36, v140 offset:8016
	;; [unrolled: 1-line block ×4, first 2 shown]
	s_nop 3
	v_cvt_f16_f32_e32 v1, v26
	v_cvt_f16_f32_e32 v27, v27
	;; [unrolled: 1-line block ×4, first 2 shown]
	s_waitcnt lgkmcnt(0)
	v_perm_b32 v33, v37, v33, s60
	v_perm_b32 v32, v36, v32, s60
	v_cvt_f32_f16_e32 v26, v1
	v_cvt_f32_f16_e32 v27, v27
	;; [unrolled: 1-line block ×4, first 2 shown]
	s_nop 1
	v_mfma_f32_16x16x16_f16 v[26:29], v[32:33], v[114:115], v[26:29]
	ds_read_u16 v1, v140 offset:128
	ds_read_u16 v32, v140 offset:368
	;; [unrolled: 1-line block ×4, first 2 shown]
	s_waitcnt lgkmcnt(2)
	v_perm_b32 v30, v32, v1, s60
	s_waitcnt lgkmcnt(0)
	v_perm_b32 v31, v36, v33, s60
	ds_read_u16 v36, v140 offset:7808
	ds_read_u16 v48, v140 offset:8048
	;; [unrolled: 1-line block ×4, first 2 shown]
	v_mfma_f32_16x16x16_f16 v[30:33], v[30:31], v[116:117], v[124:127]
	s_waitcnt lgkmcnt(0)
	v_perm_b32 v37, v123, v37, s60
	v_perm_b32 v36, v48, v36, s60
	v_cvt_f32_f16_e32 v124, v35
	s_nop 3
	v_cvt_f16_f32_e32 v1, v30
	v_cvt_f16_f32_e32 v31, v31
	;; [unrolled: 1-line block ×4, first 2 shown]
	v_cvt_f32_f16_e32 v30, v1
	v_cvt_f32_f16_e32 v31, v31
	;; [unrolled: 1-line block ×4, first 2 shown]
	v_cvt_f32_f16_sdwa v125, v35 dst_sel:DWORD dst_unused:UNUSED_PAD src0_sel:WORD_1
	v_cvt_f32_f16_e32 v126, v34
	v_mfma_f32_16x16x16_f16 v[30:33], v[36:37], v[114:115], v[30:33]
	ds_read_u16 v1, v140 offset:160
	ds_read_u16 v36, v140 offset:400
	;; [unrolled: 1-line block ×4, first 2 shown]
	v_cvt_f32_f16_sdwa v127, v34 dst_sel:DWORD dst_unused:UNUSED_PAD src0_sel:WORD_1
	s_waitcnt lgkmcnt(2)
	v_perm_b32 v34, v36, v1, s60
	s_nop 0
	v_cvt_pk_f16_f32 v31, v30, v31
	s_waitcnt lgkmcnt(0)
	v_perm_b32 v35, v48, v37, s60
	v_cvt_pk_f16_f32 v30, v32, v33
	v_cvt_pk_f16_f32 v33, v26, v27
	v_mfma_f32_16x16x16_f16 v[34:37], v[34:35], v[116:117], v[124:127]
	ds_read_u16 v48, v140 offset:7840
	ds_read_u16 v123, v140 offset:8080
	s_nop 0
	ds_read_u16 v124, v141 offset:7840
	ds_read_u16 v125, v142 offset:7840
	v_cvt_f32_f16_e32 v126, v121
	v_cvt_f32_f16_sdwa v127, v121 dst_sel:DWORD dst_unused:UNUSED_PAD src0_sel:WORD_1
	s_nop 0
	v_cvt_f16_f32_e32 v1, v34
	v_cvt_f16_f32_e32 v35, v35
	;; [unrolled: 1-line block ×4, first 2 shown]
	v_cvt_f32_f16_e32 v34, v1
	s_waitcnt lgkmcnt(0)
	v_perm_b32 v125, v125, v124, s60
	v_perm_b32 v124, v123, v48, s60
	ds_read_u16 v1, v140 offset:192
	ds_read_u16 v48, v140 offset:432
	;; [unrolled: 1-line block ×4, first 2 shown]
	v_cvt_f32_f16_e32 v35, v35
	v_cvt_f32_f16_e32 v36, v36
	;; [unrolled: 1-line block ×3, first 2 shown]
	v_cvt_pk_f16_f32 v32, v28, v29
	s_waitcnt lgkmcnt(0)
	v_perm_b32 v123, v128, v123, s60
	v_mfma_f32_16x16x16_f16 v[34:37], v[124:125], v[114:115], v[34:37]
	v_cvt_f32_f16_e32 v124, v122
	v_cvt_f32_f16_sdwa v125, v122 dst_sel:DWORD dst_unused:UNUSED_PAD src0_sel:WORD_1
	v_perm_b32 v122, v48, v1, s60
	s_nop 1
	v_mfma_f32_16x16x16_f16 v[122:125], v[122:123], v[116:117], v[124:127]
	ds_read_u16 v1, v140 offset:7872
	ds_read_u16 v48, v140 offset:8112
	;; [unrolled: 1-line block ×4, first 2 shown]
	v_cvt_pk_f16_f32 v35, v34, v35
	v_cvt_pk_f16_f32 v34, v36, v37
	s_nop 1
	v_cvt_f16_f32_e32 v117, v122
	v_cvt_f16_f32_e32 v121, v123
	;; [unrolled: 1-line block ×4, first 2 shown]
	v_cvt_f32_f16_e32 v124, v117
	s_waitcnt lgkmcnt(0)
	v_perm_b32 v117, v128, v116, s60
	v_perm_b32 v116, v48, v1, s60
	v_cvt_f32_f16_e32 v125, v121
	v_cvt_f32_f16_e32 v126, v122
	;; [unrolled: 1-line block ×3, first 2 shown]
	v_cvt_pk_f16_f32 v37, v22, v23
	v_cvt_pk_f16_f32 v36, v24, v25
	v_mfma_f32_16x16x16_f16 v[122:125], v[116:117], v[114:115], v[124:127]
	v_cvt_pk_f16_f32 v115, v18, v19
	v_cvt_pk_f16_f32 v114, v20, v21
	;; [unrolled: 1-line block ×4, first 2 shown]
	s_nop 3
	v_cvt_pk_f16_f32 v29, v122, v123
	v_cvt_pk_f16_f32 v28, v124, v125
	s_barrier
	s_cbranch_scc0 .LBB19_70
; %bb.67:                               ;   in Loop: Header=BB19_54 Depth=2
	v_mov_b32_e32 v21, v91
	v_mov_b32_e32 v121, v118
	s_branch .LBB19_54
.LBB19_68:                              ;   in Loop: Header=BB19_16 Depth=1
	s_cbranch_execz .LBB19_15
	s_branch .LBB19_161
.LBB19_69:                              ;   in Loop: Header=BB19_16 Depth=1
	v_mov_b32_e32 v118, 0xfeffffff
	v_mov_b32_e32 v91, 0
	v_mov_b32_e32 v28, 0
	v_mov_b32_e32 v29, 0
	v_mov_b32_e32 v116, 0
	v_mov_b32_e32 v117, 0
	v_mov_b32_e32 v114, 0
	v_mov_b32_e32 v115, 0
	v_mov_b32_e32 v36, 0
	v_mov_b32_e32 v37, 0
	v_mov_b32_e32 v32, 0
	v_mov_b32_e32 v33, 0
	v_mov_b32_e32 v30, 0
	v_mov_b32_e32 v31, 0
	v_mov_b32_e32 v34, 0
	v_mov_b32_e32 v35, 0
.LBB19_70:                              ;   in Loop: Header=BB19_16 Depth=1
	s_lshl_b32 s0, s44, 6
	v_readlane_b32 s2, v243, 4
	s_mov_b32 s21, s69
	s_sub_i32 s69, s2, s0
	s_cmp_lg_u64 s[58:59], 0
	s_cselect_b64 s[36:37], -1, 0
	s_ashr_i32 s1, s0, 31
	s_cmp_eq_u64 s[58:59], 0
	v_readlane_b32 s3, v243, 5
	s_cbranch_scc1 .LBB19_80
; %bb.71:                               ;   in Loop: Header=BB19_16 Depth=1
	s_lshl_b64 s[2:3], s[0:1], 1
	s_add_u32 s2, s58, s2
	s_addc_u32 s3, s59, s3
	v_cmp_le_i32_e32 vcc, s69, v42
	s_and_saveexec_b64 s[38:39], vcc
	s_xor_b64 s[38:39], exec, s[38:39]
	s_cbranch_execz .LBB19_73
; %bb.72:                               ;   in Loop: Header=BB19_16 Depth=1
	ds_write_b16 v164, v49 offset:15360
	ds_write_b16 v195, v49 offset:15360
.LBB19_73:                              ;   in Loop: Header=BB19_16 Depth=1
	s_or_saveexec_b64 s[38:39], s[38:39]
	v_lshlrev_b32_e32 v48, 1, v42
	v_lshl_add_u64 v[14:15], s[2:3], 0, v[48:49]
	v_mov_b32_e32 v1, 0
	v_mov_b32_e32 v16, 0
	s_xor_b64 exec, exec, s[38:39]
	s_cbranch_execz .LBB19_75
; %bb.74:                               ;   in Loop: Header=BB19_16 Depth=1
	v_add_u32_e32 v1, s68, v133
	v_readlane_b32 s18, v243, 10
	v_readlane_b32 s19, v243, 11
	;; [unrolled: 1-line block ×3, first 2 shown]
	v_mul_hi_u32 v16, s18, v1
	v_add_u32_e32 v16, v1, v16
	v_lshrrev_b32_e32 v16, s19, v16
	v_mul_lo_u32 v16, v16, s76
	v_sub_u32_e32 v1, v1, v16
	v_readlane_b32 s3, v242, 16
	s_mov_b32 s20, s2
	v_mad_i64_i32 v[16:17], s[2:3], v1, s20, 0
	v_lshl_add_u64 v[16:17], v[16:17], 1, v[14:15]
	global_load_ushort v1, v[16:17], off
	v_add_u32_e32 v16, s68, v194
	v_mul_hi_u32 v17, s18, v16
	v_add_u32_e32 v17, v16, v17
	v_lshrrev_b32_e32 v17, s19, v17
	v_mul_lo_u32 v17, v17, s76
	v_sub_u32_e32 v16, v16, v17
	v_mad_i64_i32 v[16:17], s[2:3], v16, s20, 0
	v_lshl_add_u64 v[16:17], v[16:17], 1, v[14:15]
	global_load_ushort v16, v[16:17], off
	s_waitcnt vmcnt(1)
	ds_write_b16 v164, v1 offset:15360
	s_waitcnt vmcnt(0)
	ds_write_b16 v195, v16 offset:15360
	v_add_u32_e32 v1, s68, v196
	v_mul_hi_u32 v16, s18, v1
	v_add_u32_e32 v16, v1, v16
	v_lshrrev_b32_e32 v16, s19, v16
	v_mul_lo_u32 v16, v16, s76
	v_sub_u32_e32 v1, v1, v16
	v_mad_i64_i32 v[16:17], s[2:3], v1, s20, 0
	v_lshl_add_u64 v[16:17], v[16:17], 1, v[14:15]
	global_load_ushort v1, v[16:17], off
	v_add_u32_e32 v16, s68, v198
	v_mul_hi_u32 v17, s18, v16
	v_add_u32_e32 v17, v16, v17
	v_lshrrev_b32_e32 v17, s19, v17
	v_mul_lo_u32 v17, v17, s76
	v_sub_u32_e32 v16, v16, v17
	v_mad_i64_i32 v[16:17], s[2:3], v16, s20, 0
	v_lshl_add_u64 v[16:17], v[16:17], 1, v[14:15]
	global_load_ushort v16, v[16:17], off
.LBB19_75:                              ;   in Loop: Header=BB19_16 Depth=1
	s_or_b64 exec, exec, s[38:39]
	s_waitcnt vmcnt(1)
	ds_write_b16 v197, v1 offset:15360
	s_waitcnt vmcnt(0)
	ds_write_b16 v199, v16 offset:15360
	s_and_saveexec_b64 s[2:3], vcc
	s_xor_b64 s[2:3], exec, s[2:3]
	s_cbranch_execz .LBB19_77
; %bb.76:                               ;   in Loop: Header=BB19_16 Depth=1
	ds_write_b16 v201, v49 offset:15360
	ds_write_b16 v203, v49 offset:15360
                                        ; implicit-def: $vgpr14_vgpr15
.LBB19_77:                              ;   in Loop: Header=BB19_16 Depth=1
	s_or_saveexec_b64 s[38:39], s[2:3]
	v_mov_b32_e32 v1, 0
	v_mov_b32_e32 v16, 0
	s_xor_b64 exec, exec, s[38:39]
	s_cbranch_execz .LBB19_79
; %bb.78:                               ;   in Loop: Header=BB19_16 Depth=1
	v_add_u32_e32 v1, s68, v200
	v_readlane_b32 s18, v243, 10
	v_readlane_b32 s19, v243, 11
	v_readlane_b32 s2, v242, 15
	v_mul_hi_u32 v16, s18, v1
	v_add_u32_e32 v16, v1, v16
	v_lshrrev_b32_e32 v16, s19, v16
	v_mul_lo_u32 v16, v16, s76
	v_sub_u32_e32 v1, v1, v16
	v_readlane_b32 s3, v242, 16
	s_mov_b32 s20, s2
	v_mad_i64_i32 v[16:17], s[2:3], v1, s20, 0
	v_lshl_add_u64 v[16:17], v[16:17], 1, v[14:15]
	global_load_ushort v1, v[16:17], off
	v_add_u32_e32 v16, s68, v202
	v_mul_hi_u32 v17, s18, v16
	v_add_u32_e32 v17, v16, v17
	v_lshrrev_b32_e32 v17, s19, v17
	v_mul_lo_u32 v17, v17, s76
	v_sub_u32_e32 v16, v16, v17
	v_mad_i64_i32 v[16:17], s[2:3], v16, s20, 0
	v_lshl_add_u64 v[16:17], v[16:17], 1, v[14:15]
	global_load_ushort v16, v[16:17], off
	s_waitcnt vmcnt(1)
	ds_write_b16 v201, v1 offset:15360
	s_waitcnt vmcnt(0)
	ds_write_b16 v203, v16 offset:15360
	v_add_u32_e32 v1, s68, v204
	v_mul_hi_u32 v16, s18, v1
	v_add_u32_e32 v16, v1, v16
	v_lshrrev_b32_e32 v16, s19, v16
	v_mul_lo_u32 v16, v16, s76
	v_sub_u32_e32 v1, v1, v16
	v_mad_i64_i32 v[16:17], s[2:3], v1, s20, 0
	v_lshl_add_u64 v[16:17], v[16:17], 1, v[14:15]
	global_load_ushort v1, v[16:17], off
	v_add_u32_e32 v16, s68, v206
	v_mul_hi_u32 v17, s18, v16
	v_add_u32_e32 v17, v16, v17
	v_lshrrev_b32_e32 v17, s19, v17
	v_mul_lo_u32 v17, v17, s76
	v_sub_u32_e32 v16, v16, v17
	v_mad_i64_i32 v[16:17], s[2:3], v16, s20, 0
	v_lshl_add_u64 v[14:15], v[16:17], 1, v[14:15]
	global_load_ushort v16, v[14:15], off
.LBB19_79:                              ;   in Loop: Header=BB19_16 Depth=1
	s_or_b64 exec, exec, s[38:39]
	s_waitcnt vmcnt(1)
	ds_write_b16 v205, v1 offset:15360
	s_waitcnt vmcnt(0)
	ds_write_b16 v207, v16 offset:15360
.LBB19_80:                              ;   in Loop: Header=BB19_16 Depth=1
	s_mul_hi_i32 s3, s0, s90
	s_mul_i32 s2, s0, s90
	s_lshl_b64 s[2:3], s[2:3], 2
	s_add_u32 s38, s64, s2
	s_addc_u32 s39, s65, s3
	scratch_store_dwordx4 off, v[234:237], off
	s_and_saveexec_b64 s[40:41], s[6:7]
	s_cbranch_execz .LBB19_82
; %bb.81:                               ;   in Loop: Header=BB19_16 Depth=1
	v_lshl_add_u64 v[14:15], v[64:65], 2, s[38:39]
	v_lshlrev_b32_e32 v48, 2, v46
	v_lshl_add_u64 v[14:15], v[14:15], 0, v[48:49]
	s_mov_b64 s[2:3], 0xc0
	v_lshl_add_u64 v[14:15], v[14:15], 0, s[2:3]
	v_mov_b32_e32 v1, s87
	v_cmp_gt_i32_e32 vcc, s69, v47
	s_nop 1
	v_cndmask_b32_e32 v15, v1, v15, vcc
	v_cndmask_b32_e32 v14, v226, v14, vcc
	flat_load_dwordx4 v[14:17], v[14:15]
	s_waitcnt vmcnt(0) lgkmcnt(0)
	ds_write_b128 v139, v[14:17]
.LBB19_82:                              ;   in Loop: Header=BB19_16 Depth=1
	s_or_b64 exec, exec, s[40:41]
	v_lshl_add_u64 v[14:15], v[58:59], 2, s[38:39]
	v_lshlrev_b32_e32 v48, 2, v44
	v_lshl_add_u64 v[14:15], v[14:15], 0, v[48:49]
	v_lshl_add_u64 v[14:15], v[14:15], 0, s[88:89]
	v_mov_b32_e32 v1, s87
	v_cmp_gt_i32_e64 s[54:55], s69, v53
	v_lshl_add_u64 v[20:21], v[60:61], 2, s[38:39]
	v_cmp_gt_i32_e64 s[50:51], s69, v159
	v_cndmask_b32_e64 v15, v1, v15, s[54:55]
	v_cndmask_b32_e64 v14, v226, v14, s[54:55]
	flat_load_dwordx4 v[16:19], v[14:15]
	v_lshlrev_b32_e32 v14, 2, v52
	v_mov_b32_e32 v15, v49
	v_lshl_add_u64 v[20:21], v[20:21], 0, v[14:15]
	v_cndmask_b32_e64 v21, v1, v21, s[50:51]
	v_cndmask_b32_e64 v20, v226, v20, s[50:51]
	v_cmp_gt_i32_e64 s[52:53], s69, v160
	s_andn2_b64 vcc, exec, s[36:37]
	s_mov_b64 s[28:29], s[58:59]
	s_waitcnt vmcnt(0) lgkmcnt(0)
	ds_write_b128 v138, v[16:19]
	flat_load_dwordx4 v[16:19], v[20:21]
	v_lshl_add_u64 v[20:21], v[62:63], 2, s[38:39]
	v_lshl_add_u64 v[20:21], v[20:21], 0, v[14:15]
	v_cndmask_b32_e64 v21, v1, v21, s[52:53]
	v_cndmask_b32_e64 v20, v226, v20, s[52:53]
	v_add_u32_e32 v1, v45, v166
	v_add_u32_e32 v15, 0x1800, v1
	s_waitcnt vmcnt(0) lgkmcnt(0)
	ds_write_b128 v162, v[16:19]
	flat_load_dwordx4 v[16:19], v[20:21]
	s_waitcnt vmcnt(0) lgkmcnt(0)
	ds_write_b128 v161, v[16:19]
	s_waitcnt lgkmcnt(0)
	s_barrier
	ds_read2_b64 v[16:19], v1 offset1:4
	ds_read2_b64 v[24:27], v15 offset0:192 offset1:196
	s_waitcnt lgkmcnt(1)
	v_mfma_f32_16x16x16_f16 v[20:23], v[16:17], v[10:11], 0
	s_waitcnt lgkmcnt(0)
	v_mfma_f32_16x16x16_f16 v[94:97], v[24:25], v[10:11], 0
	v_mfma_f32_16x16x16_f16 v[16:19], v[18:19], v[12:13], v[20:23]
	;; [unrolled: 1-line block ×3, first 2 shown]
	s_nop 3
	ds_read2_b64 v[20:23], v1 offset0:8 offset1:12
	ds_read2_b64 v[24:27], v15 offset0:200 offset1:204
	s_waitcnt lgkmcnt(1)
	v_mfma_f32_16x16x16_f16 v[16:19], v[20:21], v[6:7], v[16:19]
	s_waitcnt lgkmcnt(0)
	v_mfma_f32_16x16x16_f16 v[10:13], v[24:25], v[6:7], v[10:13]
	v_mfma_f32_16x16x16_f16 v[16:19], v[22:23], v[8:9], v[16:19]
	ds_read2_b64 v[20:23], v15 offset0:208 offset1:212
	v_mfma_f32_16x16x16_f16 v[6:9], v[26:27], v[8:9], v[10:13]
	s_nop 4
	ds_read2_b64 v[10:13], v1 offset0:16 offset1:20
	s_waitcnt lgkmcnt(0)
	v_mfma_f32_16x16x16_f16 v[16:19], v[10:11], v[2:3], v[16:19]
	v_mfma_f32_16x16x16_f16 v[6:9], v[20:21], v[2:3], v[6:9]
	ds_read_b64 v[2:3], v1 offset:192
	v_mfma_f32_16x16x16_f16 v[10:13], v[12:13], v[4:5], v[16:19]
	v_mfma_f32_16x16x16_f16 v[16:19], v[22:23], v[4:5], v[6:9]
	s_nop 4
	ds_read_b64 v[8:9], v1 offset:7872
	s_waitcnt lgkmcnt(1)
	v_mfma_f32_16x16x16_f16 v[4:7], v[2:3], v[92:93], v[10:13]
	s_waitcnt lgkmcnt(0)
	s_barrier
	v_mfma_f32_16x16x16_f16 v[8:11], v[8:9], v[92:93], v[16:19]
	s_cbranch_vccnz .LBB19_84
; %bb.83:                               ;   in Loop: Header=BB19_16 Depth=1
	v_add_u32_e32 v1, 0x3c00, v168
	ds_read2_b32 v[2:3], v1 offset1:1
	ds_read_b32 v1, v170 offset:15360
	s_waitcnt lgkmcnt(1)
	v_cvt_f32_f16_e32 v12, v2
	v_cvt_f32_f16_sdwa v13, v2 dst_sel:DWORD dst_unused:UNUSED_PAD src0_sel:WORD_1
	v_cvt_f32_f16_e32 v2, v3
	v_cvt_f32_f16_sdwa v3, v3 dst_sel:DWORD dst_unused:UNUSED_PAD src0_sel:WORD_1
	v_pk_fma_f32 v[4:5], v[90:91], v[12:13], v[4:5] op_sel_hi:[0,1,1]
	v_pk_fma_f32 v[6:7], v[90:91], v[2:3], v[6:7] op_sel_hi:[0,1,1]
	s_waitcnt lgkmcnt(0)
	v_cvt_f32_f16_sdwa v3, v1 dst_sel:DWORD dst_unused:UNUSED_PAD src0_sel:WORD_1
	v_cvt_f32_f16_e32 v2, v1
	ds_read_b32 v1, v172 offset:15360
	v_pk_fma_f32 v[8:9], v[90:91], v[2:3], v[8:9] op_sel_hi:[0,1,1]
	s_waitcnt lgkmcnt(0)
	v_cvt_f32_f16_sdwa v13, v1 dst_sel:DWORD dst_unused:UNUSED_PAD src0_sel:WORD_1
	v_cvt_f32_f16_e32 v12, v1
	v_pk_fma_f32 v[10:11], v[90:91], v[12:13], v[10:11] op_sel_hi:[0,1,1]
.LBB19_84:                              ;   in Loop: Header=BB19_16 Depth=1
	s_nop 3
	v_add_f32_e32 v1, 0x40051340, v4
	v_max_f32_e32 v2, v118, v118
	v_max_f32_e32 v1, v2, v1
	v_cmp_gt_u32_e64 s[48:49], s69, v165
	v_add_f32_e32 v2, 0x40051340, v5
	v_cmp_gt_u32_e64 s[38:39], s69, v208
	v_cndmask_b32_e64 v1, v118, v1, s[48:49]
	v_max_f32_e32 v3, v1, v1
	v_max_f32_e32 v2, v3, v2
	v_cndmask_b32_e64 v1, v1, v2, s[38:39]
	v_add_f32_e32 v2, 0x40051340, v6
	v_max_f32_e32 v3, v1, v1
	v_max_f32_e32 v2, v3, v2
	v_cmp_gt_u32_e64 s[42:43], s69, v209
	v_cmp_gt_u32_e64 s[44:45], s69, v210
	;; [unrolled: 1-line block ×3, first 2 shown]
	v_cndmask_b32_e64 v1, v1, v2, s[42:43]
	v_add_f32_e32 v2, 0x40051340, v7
	v_max_f32_e32 v3, v1, v1
	v_max_f32_e32 v2, v3, v2
	v_cndmask_b32_e64 v1, v1, v2, s[44:45]
	v_add_f32_e32 v2, 0x40051340, v8
	v_max_f32_e32 v3, v1, v1
	v_max_f32_e32 v2, v3, v2
	;; [unrolled: 4-line block ×3, first 2 shown]
	v_cmp_gt_u32_e64 s[40:41], s69, v211
	v_cmp_gt_u32_e64 s[46:47], s69, v171
	v_cmp_gt_u32_e32 vcc, s69, v212
	v_cndmask_b32_e64 v1, v1, v2, s[40:41]
	v_add_f32_e32 v2, 0x40051340, v10
	v_max_f32_e32 v3, v1, v1
	v_max_f32_e32 v2, v3, v2
	v_cndmask_b32_e64 v1, v1, v2, s[46:47]
	v_add_f32_e32 v2, 0x40051340, v11
	v_max_f32_e32 v3, v1, v1
	v_max_f32_e32 v2, v3, v2
	v_cndmask_b32_e32 v1, v1, v2, vcc
	v_and_b32_e32 v2, 64, v225
	v_add_u32_e32 v2, 64, v2
	v_xor_b32_e32 v3, 32, v225
	v_cmp_lt_i32_e64 s[58:59], v3, v2
	s_mul_hi_i32 s1, s0, s78
	s_mul_i32 s0, s0, s78
	v_cndmask_b32_e64 v3, v225, v3, s[58:59]
	v_lshlrev_b32_e32 v23, 2, v3
	ds_bpermute_b32 v3, v23, v1
	v_max_f32_e32 v1, v1, v1
	s_lshl_b64 s[0:1], s[0:1], 2
	s_add_u32 s0, s62, s0
	s_addc_u32 s1, s63, s1
	s_waitcnt lgkmcnt(0)
	v_max_f32_e32 v3, v3, v3
	v_max_f32_e32 v1, v1, v3
	v_xor_b32_e32 v3, 16, v225
	v_cmp_lt_i32_e64 s[58:59], v3, v2
	scratch_store_dwordx4 off, v[234:237], off
	s_nop 0
	v_cndmask_b32_e64 v2, v225, v3, s[58:59]
	v_lshlrev_b32_e32 v24, 2, v2
	ds_bpermute_b32 v2, v24, v1
	s_and_saveexec_b64 s[2:3], s[6:7]
	s_cbranch_execz .LBB19_86
; %bb.85:                               ;   in Loop: Header=BB19_16 Depth=1
	v_lshl_add_u64 v[12:13], v[66:67], 2, s[0:1]
	v_lshlrev_b32_e32 v16, 2, v46
	v_mov_b32_e32 v17, v49
	v_lshl_add_u64 v[12:13], v[12:13], 0, v[16:17]
	s_mov_b64 s[18:19], 0xc0
	v_lshl_add_u64 v[12:13], v[12:13], 0, s[18:19]
	v_mov_b32_e32 v3, s87
	v_cmp_gt_i32_e64 s[58:59], s69, v47
	s_nop 1
	v_cndmask_b32_e64 v13, v3, v13, s[58:59]
	v_cndmask_b32_e64 v12, v226, v12, s[58:59]
	flat_load_dwordx4 v[16:19], v[12:13]
	s_waitcnt vmcnt(0) lgkmcnt(0)
	ds_write_b128 v139, v[16:19]
.LBB19_86:                              ;   in Loop: Header=BB19_16 Depth=1
	s_or_b64 exec, exec, s[2:3]
	v_lshl_add_u64 v[12:13], v[72:73], 2, s[0:1]
	v_lshl_add_u64 v[12:13], v[12:13], 0, v[48:49]
	;; [unrolled: 1-line block ×3, first 2 shown]
	v_mov_b32_e32 v25, s87
	v_cndmask_b32_e64 v13, v25, v13, s[54:55]
	v_cndmask_b32_e64 v12, v226, v12, s[54:55]
	flat_load_dwordx4 v[16:19], v[12:13]
	s_waitcnt lgkmcnt(0)
	v_max_f32_e32 v22, v2, v2
	v_max_f32_e32 v48, v1, v1
	v_lshl_add_u64 v[26:27], v[70:71], 2, s[0:1]
	v_mov_b32_e32 v15, v49
	v_lshl_add_u64 v[92:93], v[68:69], 2, s[0:1]
	v_max_f32_e32 v22, v48, v22
	v_lshl_add_u64 v[26:27], v[26:27], 0, v[14:15]
	v_lshl_add_u64 v[14:15], v[92:93], 0, v[14:15]
	v_sub_f32_e32 v48, v4, v22
	v_sub_f32_e32 v92, v5, v22
	v_cndmask_b32_e64 v5, v25, v27, s[50:51]
	v_cndmask_b32_e64 v4, v226, v26, s[50:51]
	v_sub_f32_e32 v93, v6, v22
	v_sub_f32_e32 v94, v7, v22
	;; [unrolled: 1-line block ×4, first 2 shown]
	v_cndmask_b32_e64 v9, v25, v15, s[52:53]
	v_cndmask_b32_e64 v8, v226, v14, s[52:53]
	v_mul_f32_e32 v14, 0x3fb8aa3b, v48
	v_mul_f32_e32 v15, 0x3fb8aa3b, v92
	v_fma_f32 v98, v48, s86, -v14
	v_rndne_f32_e32 v99, v14
	v_fma_f32 v100, v92, s86, -v15
	v_rndne_f32_e32 v101, v15
	v_fmac_f32_e32 v98, 0x32a5705f, v48
	v_sub_f32_e32 v14, v14, v99
	v_fmac_f32_e32 v100, 0x32a5705f, v92
	v_sub_f32_e32 v15, v15, v101
	v_add_f32_e32 v14, v14, v98
	v_add_f32_e32 v15, v15, v100
	v_cvt_i32_f32_e32 v99, v99
	v_cvt_i32_f32_e32 v101, v101
	v_exp_f32_e32 v14, v14
	v_exp_f32_e32 v15, v15
	v_sub_f32_e32 v10, v10, v22
	v_mul_f32_e32 v25, 0x3fb8aa3b, v10
	v_ldexp_f32 v98, v14, v99
	v_ldexp_f32 v99, v15, v101
	v_fma_f32 v110, v10, s86, -v25
	v_rndne_f32_e32 v111, v25
	v_sub_f32_e32 v11, v11, v22
	v_fmac_f32_e32 v110, 0x32a5705f, v10
	v_sub_f32_e32 v25, v25, v111
	v_sub_f32_e32 v97, v118, v22
	v_mul_f32_e32 v26, 0x3fb8aa3b, v11
	v_add_f32_e32 v25, v25, v110
	v_mul_f32_e32 v27, 0x3fb8aa3b, v97
	v_fma_f32 v112, v11, s86, -v26
	v_rndne_f32_e32 v113, v26
	v_cvt_i32_f32_e32 v111, v111
	v_exp_f32_e32 v25, v25
	v_cmp_ngt_f32_e64 s[50:51], s33, v48
	v_fma_f32 v118, v97, s86, -v27
	v_rndne_f32_e32 v119, v27
	v_fmac_f32_e32 v112, 0x32a5705f, v11
	v_sub_f32_e32 v26, v26, v113
	v_fmac_f32_e32 v118, 0x32a5705f, v97
	v_sub_f32_e32 v27, v27, v119
	v_add_f32_e32 v26, v26, v112
	v_cvt_i32_f32_e32 v113, v113
	v_add_f32_e32 v27, v27, v118
	v_exp_f32_e32 v26, v26
	v_cvt_i32_f32_e32 v119, v119
	v_exp_f32_e32 v27, v27
	v_mov_b32_e32 v1, s85
	v_mov_b32_e32 v2, s85
	;; [unrolled: 1-line block ×7, first 2 shown]
	s_cmp_lg_u64 s[24:25], 0
	v_readlane_b32 s18, v243, 43
	s_cselect_b64 s[0:1], -1, 0
	v_readlane_b32 s19, v243, 44
	s_and_b64 s[2:3], s[18:19], s[0:1]
	s_waitcnt vmcnt(0)
	ds_write_b128 v138, v[16:19]
	flat_load_dwordx4 v[4:7], v[4:5]
	v_mul_f32_e32 v16, 0x3fb8aa3b, v93
	v_mul_f32_e32 v17, 0x3fb8aa3b, v94
	v_fma_f32 v102, v93, s86, -v16
	v_rndne_f32_e32 v103, v16
	v_fma_f32 v104, v94, s86, -v17
	v_rndne_f32_e32 v105, v17
	v_fmac_f32_e32 v102, 0x32a5705f, v93
	v_sub_f32_e32 v16, v16, v103
	v_fmac_f32_e32 v104, 0x32a5705f, v94
	v_sub_f32_e32 v17, v17, v105
	v_add_f32_e32 v16, v16, v102
	v_add_f32_e32 v17, v17, v104
	v_cvt_i32_f32_e32 v103, v103
	v_cvt_i32_f32_e32 v105, v105
	v_exp_f32_e32 v16, v16
	v_exp_f32_e32 v17, v17
	v_mul_f32_e32 v18, 0x3fb8aa3b, v95
	v_mul_f32_e32 v19, 0x3fb8aa3b, v96
	v_ldexp_f32 v100, v16, v103
	v_ldexp_f32 v101, v17, v105
	v_fma_f32 v106, v95, s86, -v18
	v_rndne_f32_e32 v107, v18
	v_fma_f32 v108, v96, s86, -v19
	v_rndne_f32_e32 v109, v19
	v_fmac_f32_e32 v106, 0x32a5705f, v95
	v_sub_f32_e32 v18, v18, v107
	v_fmac_f32_e32 v108, 0x32a5705f, v96
	v_sub_f32_e32 v19, v19, v109
	v_add_f32_e32 v18, v18, v106
	v_cvt_i32_f32_e32 v107, v107
	v_add_f32_e32 v19, v19, v108
	v_exp_f32_e32 v18, v18
	v_cvt_i32_f32_e32 v109, v109
	v_exp_f32_e32 v19, v19
	v_ldexp_f32 v18, v18, v107
	v_ldexp_f32 v19, v19, v109
	s_waitcnt vmcnt(0) lgkmcnt(0)
	ds_write_b128 v162, v[4:7]
	flat_load_dwordx4 v[14:17], v[8:9]
	v_cndmask_b32_e64 v7, 0, v98, s[50:51]
	v_cmp_ngt_f32_e64 s[50:51], s33, v92
	v_ldexp_f32 v4, v25, v111
	v_ldexp_f32 v5, v26, v113
	v_cndmask_b32_e64 v8, 0, v99, s[50:51]
	v_cmp_ngt_f32_e64 s[50:51], s33, v93
	v_ldexp_f32 v6, v27, v119
	s_waitcnt vmcnt(0) lgkmcnt(0)
	ds_write_b128 v161, v[14:17]
	v_cndmask_b32_e64 v9, 0, v100, s[50:51]
	v_cmp_ngt_f32_e64 s[50:51], s33, v94
	s_waitcnt lgkmcnt(0)
	s_barrier
	v_cndmask_b32_e64 v25, 0, v101, s[50:51]
	v_cmp_ngt_f32_e64 s[50:51], s33, v95
	s_nop 1
	v_cndmask_b32_e64 v18, 0, v18, s[50:51]
	v_cmp_ngt_f32_e64 s[50:51], s33, v96
	s_nop 1
	;; [unrolled: 3-line block ×5, first 2 shown]
	v_cndmask_b32_e64 v6, 0, v6, s[50:51]
	v_cmp_nlt_f32_e64 s[50:51], s77, v48
	s_nop 1
	v_cndmask_b32_e64 v7, v223, v7, s[50:51]
	v_cmp_nlt_f32_e64 s[50:51], s77, v92
	s_nop 1
	;; [unrolled: 3-line block ×3, first 2 shown]
	v_cndmask_b32_e64 v9, v223, v9, s[50:51]
	v_cmp_nlt_f32_e64 s[50:51], s77, v94
	v_cndmask_b32_e64 v8, v2, v9, s[42:43]
	s_nop 0
	v_cndmask_b32_e64 v25, v223, v25, s[50:51]
	v_cmp_nlt_f32_e64 s[50:51], s77, v95
	s_nop 1
	v_cndmask_b32_e64 v18, v223, v18, s[50:51]
	v_cmp_nlt_f32_e64 s[50:51], s77, v96
	v_cndmask_b32_e64 v2, v12, v18, s[36:37]
	v_cndmask_b32_e64 v12, v13, v25, s[44:45]
	;; [unrolled: 1-line block ×3, first 2 shown]
	v_cmp_nlt_f32_e64 s[50:51], s77, v10
	s_nop 1
	v_cndmask_b32_e64 v10, v223, v4, s[50:51]
	v_cmp_nlt_f32_e64 s[50:51], s77, v11
	v_cndmask_b32_e64 v4, v20, v10, s[46:47]
	s_nop 0
	v_cndmask_b32_e64 v5, v223, v5, s[50:51]
	v_cmp_nlt_f32_e64 s[50:51], s77, v97
	v_cndmask_b32_e32 v3, v3, v5, vcc
	s_nop 0
	v_cndmask_b32_e64 v11, v223, v6, s[50:51]
	v_cndmask_b32_e64 v6, 0, v7, s[48:49]
	v_cndmask_b32_e64 v7, v1, v26, s[38:39]
	v_add_f32_e32 v13, v26, v6
	v_cvt_pk_f16_f32 v20, v6, v7
	v_cndmask_b32_e64 v6, v6, v13, s[38:39]
	v_add_f32_e32 v7, v6, v9
	v_cndmask_b32_e64 v6, v6, v7, s[42:43]
	v_add_f32_e32 v7, v6, v25
	v_cndmask_b32_e64 v1, v21, v19, s[40:41]
	s_mov_b32 s50, 0xc1a00000
	v_cvt_pk_f16_f32 v21, v8, v12
	v_cndmask_b32_e64 v12, v6, v7, s[44:45]
	v_cmp_le_f32_e64 s[48:49], s50, v97
	v_add_f32_e32 v13, v18, v12
	v_cndmask_b32_e64 v12, v12, v13, s[36:37]
	v_cndmask_b32_e64 v11, 0, v11, s[48:49]
	v_cvt_f16_f32_e32 v26, v11
	v_add_f32_e32 v13, v19, v12
	v_cndmask_b32_e64 v12, v12, v13, s[40:41]
	v_add_f32_e32 v10, v10, v12
	v_cndmask_b32_e64 v10, v12, v10, s[46:47]
	v_mul_u32_u24_e32 v25, 0x10001, v26
	v_add_f32_e32 v12, v5, v10
	v_pk_mul_f16 v93, v32, v25
	v_cndmask_b32_e32 v32, v10, v12, vcc
	v_pk_mul_f16 v7, v117, v25
	v_pk_mul_f16 v9, v116, v25
	;; [unrolled: 1-line block ×5, first 2 shown]
	v_fmac_f32_e32 v32, v91, v11
	ds_read_u16 v10, v140 offset:240
	ds_read_u16 v12, v140
	ds_read_u16 v14, v140 offset:32
	ds_read_u16 v16, v140 offset:64
	;; [unrolled: 1-line block ×22, first 2 shown]
	ds_read_u16 v11, v141
	ds_read_u16 v108, v141 offset:32
	ds_read_u16 v109, v141 offset:64
	;; [unrolled: 1-line block ×7, first 2 shown]
	ds_read_u16 v36, v142
	ds_read_u16 v115, v142 offset:32
	ds_read_u16 v116, v142 offset:64
	;; [unrolled: 1-line block ×7, first 2 shown]
	s_waitcnt lgkmcnt(7)
	v_perm_b32 v11, v36, v11, s60
	v_perm_b32 v10, v10, v12, s60
	v_cvt_f32_f16_e32 v6, v7
	v_cvt_f32_f16_sdwa v7, v7 dst_sel:DWORD dst_unused:UNUSED_PAD src0_sel:WORD_1
	v_cvt_f32_f16_e32 v8, v9
	v_cvt_f32_f16_sdwa v9, v9 dst_sel:DWORD dst_unused:UNUSED_PAD src0_sel:WORD_1
	ds_read_u16 v12, v142 offset:7680
	ds_read_u16 v122, v142 offset:7712
	ds_read_u16 v123, v142 offset:7744
	ds_read_u16 v124, v142 offset:7776
	ds_read_u16 v125, v142 offset:7808
	ds_read_u16 v126, v142 offset:7840
	ds_read_u16 v127, v142 offset:7872
	ds_read_u16 v128, v142 offset:192
	v_mfma_f32_16x16x16_f16 v[6:9], v[10:11], v[20:21], v[6:9]
	s_waitcnt lgkmcnt(7)
	v_perm_b32 v13, v12, v13, s60
	ds_read_u16 v10, v140 offset:7920
	ds_read_u16 v129, v140 offset:7952
	;; [unrolled: 1-line block ×8, first 2 shown]
	s_waitcnt lgkmcnt(7)
	v_perm_b32 v12, v10, v15, s60
	v_cvt_f16_f32_e32 v6, v6
	v_cvt_f16_f32_e32 v7, v7
	;; [unrolled: 1-line block ×4, first 2 shown]
	v_cvt_f32_f16_e32 v6, v6
	v_cvt_f32_f16_e32 v7, v7
	;; [unrolled: 1-line block ×4, first 2 shown]
	v_pk_mul_f16 v48, v37, v25
	v_cvt_pk_f16_f32 v37, v4, v3
	v_cvt_pk_f16_f32 v36, v2, v1
	v_perm_b32 v11, v115, v108, s60
	v_perm_b32 v10, v18, v14, s60
	v_mfma_f32_16x16x16_f16 v[2:5], v[12:13], v[36:37], v[6:9]
	v_perm_b32 v15, v116, v109, s60
	v_perm_b32 v14, v96, v16, s60
	v_cvt_f32_f16_e32 v12, v92
	v_cvt_f32_f16_e32 v6, v26
	v_cvt_f32_f16_sdwa v7, v26 dst_sel:DWORD dst_unused:UNUSED_PAD src0_sel:WORD_1
	v_cvt_f32_f16_e32 v8, v27
	v_cvt_f32_f16_sdwa v9, v27 dst_sel:DWORD dst_unused:UNUSED_PAD src0_sel:WORD_1
	v_cvt_f32_f16_sdwa v13, v92 dst_sel:DWORD dst_unused:UNUSED_PAD src0_sel:WORD_1
	v_cvt_f16_f32_e32 v16, v5
	v_mfma_f32_16x16x16_f16 v[6:9], v[10:11], v[20:21], v[6:9]
	v_perm_b32 v11, v122, v101, s60
	s_waitcnt lgkmcnt(6)
	v_perm_b32 v10, v129, v95, s60
	v_pk_mul_f16 v33, v33, v25
	v_pk_mul_f16 v18, v31, v25
	s_nop 2
	v_cvt_f16_f32_e32 v1, v6
	v_cvt_f16_f32_e32 v7, v7
	;; [unrolled: 1-line block ×4, first 2 shown]
	v_cvt_f32_f16_e32 v6, v1
	v_cvt_f32_f16_e32 v7, v7
	;; [unrolled: 1-line block ×4, first 2 shown]
	v_cvt_f16_f32_e32 v1, v4
	v_pk_mul_f16 v26, v30, v25
	v_mfma_f32_16x16x16_f16 v[6:9], v[10:11], v[36:37], v[6:9]
	v_cvt_f32_f16_e32 v10, v48
	v_cvt_f32_f16_sdwa v11, v48 dst_sel:DWORD dst_unused:UNUSED_PAD src0_sel:WORD_1
	v_perm_b32 v1, v16, v1, s60
	v_cvt_f32_f16_e32 v16, v93
	v_mfma_f32_16x16x16_f16 v[10:13], v[14:15], v[20:21], v[10:13]
	v_cvt_f32_f16_e32 v14, v33
	v_cvt_f32_f16_sdwa v15, v33 dst_sel:DWORD dst_unused:UNUSED_PAD src0_sel:WORD_1
	s_nop 0
	v_cvt_f16_f32_e32 v8, v8
	v_cvt_f16_f32_e32 v9, v9
	s_nop 2
	v_cvt_f16_f32_e32 v4, v10
	v_cvt_f16_f32_e32 v5, v11
	;; [unrolled: 1-line block ×4, first 2 shown]
	v_cvt_f32_f16_e32 v10, v4
	v_cvt_f32_f16_e32 v11, v5
	v_perm_b32 v5, v123, v102, s60
	s_waitcnt lgkmcnt(4)
	v_perm_b32 v4, v131, v130, s60
	v_cvt_f32_f16_e32 v12, v12
	v_cvt_f32_f16_e32 v13, v13
	v_pk_mul_f16 v27, v35, v25
	v_pk_mul_f16 v30, v34, v25
	v_mfma_f32_16x16x16_f16 v[10:13], v[4:5], v[36:37], v[10:13]
	v_perm_b32 v5, v117, v110, s60
	v_perm_b32 v4, v97, v17, s60
	v_cvt_f32_f16_sdwa v17, v93 dst_sel:DWORD dst_unused:UNUSED_PAD src0_sel:WORD_1
	v_pk_mul_f16 v31, v29, v25
	v_pk_mul_f16 v34, v28, v25
	v_mfma_f32_16x16x16_f16 v[14:17], v[4:5], v[20:21], v[14:17]
	v_perm_b32 v8, v9, v8, s60
	s_nop 0
	v_cvt_f16_f32_e32 v9, v12
	v_cvt_f16_f32_e32 v25, v13
	v_cvt_f32_f16_e32 v28, v30
	s_nop 2
	v_cvt_f16_f32_e32 v4, v14
	v_cvt_f16_f32_e32 v5, v15
	;; [unrolled: 1-line block ×4, first 2 shown]
	v_cvt_f32_f16_e32 v14, v4
	v_cvt_f32_f16_e32 v15, v5
	v_perm_b32 v5, v124, v103, s60
	s_waitcnt lgkmcnt(3)
	v_perm_b32 v4, v111, v227, s60
	v_cvt_f32_f16_e32 v16, v16
	v_cvt_f32_f16_e32 v17, v17
	v_perm_b32 v9, v25, v9, s60
	v_cvt_f32_f16_sdwa v29, v30 dst_sel:DWORD dst_unused:UNUSED_PAD src0_sel:WORD_1
	v_mfma_f32_16x16x16_f16 v[12:15], v[4:5], v[36:37], v[14:17]
	v_perm_b32 v5, v118, v104, s60
	v_perm_b32 v4, v98, v19, s60
	s_nop 0
	v_cvt_f32_f16_e32 v16, v18
	v_cvt_f32_f16_sdwa v17, v18 dst_sel:DWORD dst_unused:UNUSED_PAD src0_sel:WORD_1
	v_cvt_f32_f16_e32 v18, v26
	v_cvt_f32_f16_sdwa v19, v26 dst_sel:DWORD dst_unused:UNUSED_PAD src0_sel:WORD_1
	s_nop 0
	v_cvt_f16_f32_e32 v25, v14
	v_cvt_f16_f32_e32 v97, v15
	v_mfma_f32_16x16x16_f16 v[16:19], v[4:5], v[20:21], v[16:19]
	v_cvt_f32_f16_e32 v26, v27
	v_cvt_f32_f16_sdwa v27, v27 dst_sel:DWORD dst_unused:UNUSED_PAD src0_sel:WORD_1
	v_cvt_f32_f16_e32 v30, v34
	v_cvt_f16_f32_e32 v35, v2
	s_nop 3
	v_cvt_f16_f32_e32 v4, v16
	v_cvt_f16_f32_e32 v5, v17
	;; [unrolled: 1-line block ×4, first 2 shown]
	v_cvt_f32_f16_e32 v16, v4
	v_cvt_f32_f16_e32 v17, v5
	v_perm_b32 v5, v125, v105, s60
	s_waitcnt lgkmcnt(2)
	v_perm_b32 v4, v112, v228, s60
	v_cvt_f32_f16_e32 v18, v18
	v_cvt_f32_f16_e32 v19, v19
	v_cvt_f16_f32_e32 v48, v3
	v_cvt_f16_f32_e32 v92, v6
	v_mfma_f32_16x16x16_f16 v[14:17], v[4:5], v[36:37], v[16:19]
	v_perm_b32 v5, v119, v106, s60
	v_perm_b32 v4, v99, v91, s60
	v_cvt_f16_f32_e32 v33, v7
	v_cvt_f16_f32_e32 v93, v10
	v_mfma_f32_16x16x16_f16 v[26:29], v[4:5], v[20:21], v[26:29]
	s_nop 2
	v_cvt_f16_f32_e32 v99, v16
	v_cvt_f16_f32_e32 v101, v17
	;; [unrolled: 1-line block ×3, first 2 shown]
	s_nop 1
	v_cvt_f16_f32_e32 v4, v26
	v_cvt_f16_f32_e32 v5, v27
	;; [unrolled: 1-line block ×4, first 2 shown]
	v_cvt_f32_f16_e32 v26, v4
	v_cvt_f32_f16_e32 v27, v5
	v_perm_b32 v5, v126, v120, s60
	s_waitcnt lgkmcnt(1)
	v_perm_b32 v4, v113, v229, s60
	v_cvt_f32_f16_e32 v28, v18
	v_cvt_f32_f16_e32 v29, v19
	v_cvt_f16_f32_e32 v96, v12
	v_cvt_f16_f32_e32 v91, v13
	v_mfma_f32_16x16x16_f16 v[16:19], v[4:5], v[36:37], v[26:29]
	v_perm_b32 v5, v128, v107, s60
	v_perm_b32 v4, v100, v94, s60
	s_nop 0
	v_cvt_f32_f16_e32 v28, v31
	v_cvt_f32_f16_sdwa v29, v31 dst_sel:DWORD dst_unused:UNUSED_PAD src0_sel:WORD_1
	v_cvt_f32_f16_sdwa v31, v34 dst_sel:DWORD dst_unused:UNUSED_PAD src0_sel:WORD_1
	s_nop 1
	v_cvt_f16_f32_e32 v27, v18
	v_cvt_f16_f32_e32 v34, v19
	v_mfma_f32_16x16x16_f16 v[18:21], v[4:5], v[20:21], v[28:31]
	v_perm_b32 v25, v97, v25, s60
	v_cvt_f16_f32_e32 v97, v14
	v_cvt_f16_f32_e32 v98, v15
	;; [unrolled: 1-line block ×3, first 2 shown]
	s_nop 3
	v_cvt_f16_f32_e32 v4, v18
	v_cvt_f16_f32_e32 v5, v19
	;; [unrolled: 1-line block ×4, first 2 shown]
	v_cvt_f32_f16_e32 v18, v4
	v_cvt_f32_f16_e32 v19, v5
	v_perm_b32 v5, v127, v121, s60
	s_waitcnt lgkmcnt(0)
	v_perm_b32 v4, v114, v230, s60
	v_cvt_f32_f16_e32 v20, v20
	v_cvt_f32_f16_e32 v21, v21
	v_cvt_f16_f32_e32 v29, v17
	v_perm_b32 v27, v34, v27, s60
	v_mfma_f32_16x16x16_f16 v[18:21], v[4:5], v[36:37], v[18:21]
	ds_bpermute_b32 v4, v23, v32
	v_perm_b32 v26, v101, v99, s60
	v_perm_b32 v30, v95, v93, s60
	;; [unrolled: 1-line block ×3, first 2 shown]
	s_nop 3
	v_cvt_f16_f32_e32 v5, v18
	s_waitcnt lgkmcnt(0)
	v_add_f32_e32 v4, v32, v4
	ds_bpermute_b32 v23, v24, v4
	v_cvt_f16_f32_e32 v20, v20
	v_cvt_f16_f32_e32 v21, v21
	v_cvt_f16_f32_e32 v34, v19
	v_perm_b32 v32, v48, v35, s60
	s_waitcnt lgkmcnt(0)
	v_add_f32_e32 v23, v4, v23
	v_perm_b32 v20, v21, v20, s60
	v_perm_b32 v21, v29, v28, s60
	;; [unrolled: 1-line block ×5, first 2 shown]
	s_barrier
	s_and_saveexec_b64 s[0:1], s[2:3]
	s_cbranch_execz .LBB19_88
; %bb.87:                               ;   in Loop: Header=BB19_16 Depth=1
	v_cvt_pk_f16_f32 v4, v6, v7
	v_cvt_pk_f16_f32 v6, v12, v13
	global_load_dword v12, v49, s[24:25]
	v_cvt_pk_f16_f32 v3, v2, v3
	v_max_f32_e32 v13, v22, v22
	v_cvt_pk_f16_f32 v7, v14, v15
	v_cvt_pk_f16_f32 v5, v10, v11
	;; [unrolled: 1-line block ×4, first 2 shown]
	s_waitcnt vmcnt(0)
	v_max_f32_e32 v2, v12, v12
	v_max_f32_e32 v2, v13, v2
	v_sub_f32_e32 v13, v22, v2
	v_mul_f32_e32 v14, 0x3fb8aa3b, v13
	v_fma_f32 v15, v13, s86, -v14
	v_rndne_f32_e32 v16, v14
	v_fmac_f32_e32 v15, 0x32a5705f, v13
	v_sub_f32_e32 v14, v14, v16
	v_add_f32_e32 v14, v14, v15
	v_exp_f32_e32 v14, v14
	v_cvt_i32_f32_e32 v15, v16
	v_cmp_ngt_f32_e32 vcc, s33, v13
	v_sub_f32_e32 v12, v12, v2
	v_ldexp_f32 v14, v14, v15
	v_cndmask_b32_e32 v14, 0, v14, vcc
	v_cmp_nlt_f32_e32 vcc, s77, v13
	s_nop 1
	v_cndmask_b32_e32 v14, v223, v14, vcc
	v_cmp_le_f32_e32 vcc, s50, v13
	s_nop 1
	v_cndmask_b32_e32 v13, 0, v14, vcc
	v_cvt_f16_f32_e32 v14, v13
	v_cmp_ngt_f32_e32 vcc, s33, v12
	v_mul_u32_u24_e32 v14, 0x10001, v14
	v_pk_mul_f16 v32, v3, v14
	v_mul_f32_e32 v3, 0x3fb8aa3b, v12
	v_pk_mul_f16 v31, v4, v14
	v_pk_mul_f16 v30, v5, v14
	v_fma_f32 v4, v12, s86, -v3
	v_rndne_f32_e32 v5, v3
	v_fmac_f32_e32 v4, 0x32a5705f, v12
	v_sub_f32_e32 v3, v3, v5
	v_add_f32_e32 v3, v3, v4
	v_exp_f32_e32 v3, v3
	v_cvt_i32_f32_e32 v4, v5
	v_pk_mul_f16 v1, v1, v14
	v_pk_mul_f16 v8, v8, v14
	;; [unrolled: 1-line block ×3, first 2 shown]
	v_ldexp_f32 v3, v3, v4
	v_cndmask_b32_e32 v3, 0, v3, vcc
	v_cmp_nlt_f32_e32 vcc, s77, v12
	v_pk_mul_f16 v29, v6, v14
	v_pk_mul_f16 v25, v25, v14
	v_cndmask_b32_e32 v3, v223, v3, vcc
	v_fmac_f32_e32 v3, v23, v13
	v_pk_mul_f16 v28, v7, v14
	v_pk_mul_f16 v26, v26, v14
	;; [unrolled: 1-line block ×6, first 2 shown]
	v_mov_b64_e32 v[22:23], v[2:3]
.LBB19_88:                              ;   in Loop: Header=BB19_16 Depth=1
	s_or_b64 exec, exec, s[0:1]
	s_mov_b64 s[0:1], exec
	v_readlane_b32 s2, v242, 11
	v_readlane_b32 s3, v242, 12
	;; [unrolled: 1-line block ×3, first 2 shown]
	s_and_b64 s[2:3], s[0:1], s[2:3]
	s_mov_b32 s69, s21
	v_readlane_b32 s49, v242, 22
	s_mov_b64 s[58:59], s[28:29]
	s_mov_b64 exec, s[2:3]
; %bb.89:                               ;   in Loop: Header=BB19_16 Depth=1
	v_add_u32_e32 v2, 0, v173
	ds_write2_b32 v2, v22, v23 offset0:56 offset1:57
; %bb.90:                               ;   in Loop: Header=BB19_16 Depth=1
	s_or_b64 exec, exec, s[0:1]
	s_waitcnt lgkmcnt(0)
	s_barrier
	s_mov_b64 s[0:1], exec
	v_readlane_b32 s2, v243, 45
	v_readlane_b32 s3, v243, 46
	s_and_b64 s[2:3], s[0:1], s[2:3]
	s_xor_b64 s[0:1], s[2:3], s[0:1]
	s_mov_b64 exec, s[2:3]
	s_cbranch_execz .LBB19_92
; %bb.91:                               ;   in Loop: Header=BB19_16 Depth=1
	s_barrier
                                        ; implicit-def: $vgpr24
.LBB19_92:                              ;   in Loop: Header=BB19_16 Depth=1
	s_andn2_saveexec_b64 s[0:1], s[0:1]
	s_cbranch_execz .LBB19_98
; %bb.93:                               ;   in Loop: Header=BB19_16 Depth=1
	v_add_u32_e32 v3, 0, v174
	ds_read_b64 v[6:7], v3 offset:224
	v_readlane_b32 s20, v242, 13
	v_readlane_b32 s21, v242, 14
	s_waitcnt lgkmcnt(0)
	s_barrier
	ds_bpermute_b32 v2, v24, v6
	v_max_f32_e32 v4, v6, v6
	s_waitcnt lgkmcnt(0)
	v_max_f32_e32 v2, v2, v2
	v_max_f32_e32 v2, v4, v2
	v_sub_f32_e32 v4, v6, v2
	v_mul_f32_e32 v5, 0x3fb8aa3b, v4
	v_fma_f32 v6, v4, s86, -v5
	v_rndne_f32_e32 v10, v5
	v_fmac_f32_e32 v6, 0x32a5705f, v4
	v_sub_f32_e32 v5, v5, v10
	v_add_f32_e32 v5, v5, v6
	v_cvt_i32_f32_e32 v10, v10
	v_exp_f32_e32 v5, v5
	v_cmp_ngt_f32_e32 vcc, s33, v4
	v_ldexp_f32 v5, v5, v10
	s_nop 0
	v_cndmask_b32_e32 v5, 0, v5, vcc
	v_cmp_nlt_f32_e32 vcc, s77, v4
	s_nop 1
	v_cndmask_b32_e32 v4, v223, v5, vcc
	v_mul_f32_e32 v5, v7, v4
	ds_bpermute_b32 v5, v24, v5
	s_waitcnt lgkmcnt(0)
	v_fmac_f32_e32 v5, v7, v4
	s_and_saveexec_b64 s[2:3], s[20:21]
; %bb.94:                               ;   in Loop: Header=BB19_16 Depth=1
	ds_write_b64 v3, v[4:5] offset:224
; %bb.95:                               ;   in Loop: Header=BB19_16 Depth=1
	s_or_b64 exec, exec, s[2:3]
	v_readlane_b32 s20, v242, 11
	v_readlane_b32 s21, v242, 12
	s_and_saveexec_b64 s[2:3], s[20:21]
	s_cbranch_execz .LBB19_97
; %bb.96:                               ;   in Loop: Header=BB19_16 Depth=1
	v_mov_b32_e32 v3, v5
	global_store_dwordx2 v[50:51], v[2:3], off
.LBB19_97:                              ;   in Loop: Header=BB19_16 Depth=1
	s_or_b64 exec, exec, s[2:3]
.LBB19_98:                              ;   in Loop: Header=BB19_16 Depth=1
	s_or_b64 exec, exec, s[0:1]
	ds_write2_b32 v143, v32, v1 offset1:1
	ds_write2_b32 v143, v31, v8 offset0:8 offset1:9
	ds_write2_b32 v143, v30, v9 offset0:16 offset1:17
	;; [unrolled: 1-line block ×6, first 2 shown]
	s_waitcnt lgkmcnt(0)
	s_barrier
	s_and_saveexec_b64 s[36:37], s[18:19]
	s_cbranch_execz .LBB19_160
; %bb.99:                               ;   in Loop: Header=BB19_16 Depth=1
	v_add_u32_e32 v1, s68, v144
	v_cmp_gt_i32_e32 vcc, s76, v1
	v_mov_b32_e32 v2, 0x47
	s_and_saveexec_b64 s[0:1], vcc
	s_cbranch_execz .LBB19_101
; %bb.100:                              ;   in Loop: Header=BB19_16 Depth=1
	v_add_u32_e32 v4, v192, v176
	ds_read2st64_b32 v[4:5], v4 offset1:15
	v_add_u32_e32 v2, 0, v176
	v_add_u32_e32 v2, 0xe0, v2
	ds_read2st64_b32 v[2:3], v2 offset1:15
	v_readlane_b32 s2, v243, 63
	s_waitcnt lgkmcnt(1)
	v_cvt_f32_f16_e32 v8, v4
	v_cvt_f32_f16_sdwa v9, v4 dst_sel:DWORD dst_unused:UNUSED_PAD src0_sel:WORD_1
	v_cvt_f32_f16_e32 v4, v5
	v_cvt_f32_f16_sdwa v5, v5 dst_sel:DWORD dst_unused:UNUSED_PAD src0_sel:WORD_1
	v_mad_u64_u32 v[6:7], s[2:3], v1, s2, v[38:39]
	v_ashrrev_i32_e32 v7, 31, v6
	s_waitcnt lgkmcnt(0)
	v_pk_fma_f32 v[8:9], v[2:3], v[8:9], 0 op_sel_hi:[0,1,0]
	v_mov_b32_e32 v2, v3
	v_lshl_add_u64 v[6:7], v[6:7], 3, s[26:27]
	v_pk_fma_f32 v[2:3], v[2:3], v[4:5], v[8:9] op_sel_hi:[0,1,1]
	global_store_dwordx2 v[6:7], v[2:3], off
	v_mov_b32_e32 v2, 0
.LBB19_101:                             ;   in Loop: Header=BB19_16 Depth=1
	s_or_b64 exec, exec, s[0:1]
	v_cmp_gt_i32_e32 vcc, s61, v2
	s_mov_b64 s[0:1], -1
	s_and_saveexec_b64 s[2:3], vcc
; %bb.102:                              ;   in Loop: Header=BB19_16 Depth=1
	v_cmp_eq_u32_e32 vcc, 0, v2
	s_orn2_b64 s[0:1], vcc, exec
; %bb.103:                              ;   in Loop: Header=BB19_16 Depth=1
	s_or_b64 exec, exec, s[2:3]
	s_and_saveexec_b64 s[38:39], s[0:1]
	s_cbranch_execz .LBB19_136
; %bb.104:                              ;   in Loop: Header=BB19_16 Depth=1
	v_add_u32_e32 v1, s68, v147
	v_cmp_gt_i32_e32 vcc, s76, v1
	v_mov_b32_e32 v2, 0x47
	s_and_saveexec_b64 s[0:1], vcc
	s_cbranch_execz .LBB19_106
; %bb.105:                              ;   in Loop: Header=BB19_16 Depth=1
	v_add_u32_e32 v4, v192, v177
	ds_read2st64_b32 v[4:5], v4 offset1:15
	v_add_u32_e32 v2, 0, v177
	v_add_u32_e32 v2, 0xe0, v2
	ds_read2st64_b32 v[2:3], v2 offset1:15
	v_readlane_b32 s2, v243, 63
	s_waitcnt lgkmcnt(1)
	v_cvt_f32_f16_e32 v8, v4
	v_cvt_f32_f16_sdwa v9, v4 dst_sel:DWORD dst_unused:UNUSED_PAD src0_sel:WORD_1
	v_cvt_f32_f16_e32 v4, v5
	v_cvt_f32_f16_sdwa v5, v5 dst_sel:DWORD dst_unused:UNUSED_PAD src0_sel:WORD_1
	v_mad_u64_u32 v[6:7], s[2:3], v1, s2, v[38:39]
	v_ashrrev_i32_e32 v7, 31, v6
	s_waitcnt lgkmcnt(0)
	v_pk_fma_f32 v[8:9], v[2:3], v[8:9], 0 op_sel_hi:[0,1,0]
	v_mov_b32_e32 v2, v3
	v_lshl_add_u64 v[6:7], v[6:7], 3, s[26:27]
	v_pk_fma_f32 v[2:3], v[2:3], v[4:5], v[8:9] op_sel_hi:[0,1,1]
	global_store_dwordx2 v[6:7], v[2:3], off
	v_mov_b32_e32 v2, 0
.LBB19_106:                             ;   in Loop: Header=BB19_16 Depth=1
	s_or_b64 exec, exec, s[0:1]
	v_cmp_gt_i32_e32 vcc, s61, v2
	s_mov_b64 s[0:1], -1
	s_and_saveexec_b64 s[2:3], vcc
; %bb.107:                              ;   in Loop: Header=BB19_16 Depth=1
	v_cmp_eq_u32_e32 vcc, 0, v2
	s_orn2_b64 s[0:1], vcc, exec
; %bb.108:                              ;   in Loop: Header=BB19_16 Depth=1
	s_or_b64 exec, exec, s[2:3]
	s_and_b64 exec, exec, s[0:1]
	s_cbranch_execz .LBB19_136
; %bb.109:                              ;   in Loop: Header=BB19_16 Depth=1
	v_add_u32_e32 v1, s68, v148
	v_cmp_gt_i32_e32 vcc, s76, v1
	v_mov_b32_e32 v2, 0x47
	s_and_saveexec_b64 s[0:1], vcc
	s_cbranch_execz .LBB19_111
; %bb.110:                              ;   in Loop: Header=BB19_16 Depth=1
	v_add_u32_e32 v4, v192, v178
	ds_read2st64_b32 v[4:5], v4 offset1:15
	v_add_u32_e32 v2, 0, v178
	v_add_u32_e32 v2, 0xe0, v2
	ds_read2st64_b32 v[2:3], v2 offset1:15
	v_readlane_b32 s2, v243, 63
	s_waitcnt lgkmcnt(1)
	v_cvt_f32_f16_e32 v8, v4
	v_cvt_f32_f16_sdwa v9, v4 dst_sel:DWORD dst_unused:UNUSED_PAD src0_sel:WORD_1
	v_cvt_f32_f16_e32 v4, v5
	v_cvt_f32_f16_sdwa v5, v5 dst_sel:DWORD dst_unused:UNUSED_PAD src0_sel:WORD_1
	v_mad_u64_u32 v[6:7], s[2:3], v1, s2, v[38:39]
	v_ashrrev_i32_e32 v7, 31, v6
	s_waitcnt lgkmcnt(0)
	v_pk_fma_f32 v[8:9], v[2:3], v[8:9], 0 op_sel_hi:[0,1,0]
	v_mov_b32_e32 v2, v3
	v_lshl_add_u64 v[6:7], v[6:7], 3, s[26:27]
	v_pk_fma_f32 v[2:3], v[2:3], v[4:5], v[8:9] op_sel_hi:[0,1,1]
	global_store_dwordx2 v[6:7], v[2:3], off
	v_mov_b32_e32 v2, 0
.LBB19_111:                             ;   in Loop: Header=BB19_16 Depth=1
	s_or_b64 exec, exec, s[0:1]
	v_cmp_gt_i32_e32 vcc, s61, v2
	s_mov_b64 s[0:1], -1
	s_and_saveexec_b64 s[2:3], vcc
; %bb.112:                              ;   in Loop: Header=BB19_16 Depth=1
	v_cmp_eq_u32_e32 vcc, 0, v2
	s_orn2_b64 s[0:1], vcc, exec
; %bb.113:                              ;   in Loop: Header=BB19_16 Depth=1
	s_or_b64 exec, exec, s[2:3]
	s_and_b64 exec, exec, s[0:1]
	;; [unrolled: 39-line block ×6, first 2 shown]
	s_cbranch_execz .LBB19_136
; %bb.134:                              ;   in Loop: Header=BB19_16 Depth=1
	v_add_u32_e32 v1, s68, v153
	v_cmp_gt_i32_e32 vcc, s76, v1
	s_and_b64 exec, exec, vcc
	s_cbranch_execz .LBB19_136
; %bb.135:                              ;   in Loop: Header=BB19_16 Depth=1
	v_add_u32_e32 v4, v192, v183
	ds_read2st64_b32 v[4:5], v4 offset1:15
	v_add_u32_e32 v2, 0, v183
	v_add_u32_e32 v2, 0xe0, v2
	ds_read2st64_b32 v[2:3], v2 offset1:15
	v_readlane_b32 s0, v243, 63
	s_waitcnt lgkmcnt(1)
	v_cvt_f32_f16_e32 v8, v4
	v_cvt_f32_f16_sdwa v9, v4 dst_sel:DWORD dst_unused:UNUSED_PAD src0_sel:WORD_1
	v_cvt_f32_f16_e32 v4, v5
	v_cvt_f32_f16_sdwa v5, v5 dst_sel:DWORD dst_unused:UNUSED_PAD src0_sel:WORD_1
	v_mad_u64_u32 v[6:7], s[0:1], v1, s0, v[38:39]
	v_ashrrev_i32_e32 v7, 31, v6
	s_waitcnt lgkmcnt(0)
	v_pk_fma_f32 v[8:9], v[2:3], v[8:9], 0 op_sel_hi:[0,1,0]
	v_mov_b32_e32 v2, v3
	v_lshl_add_u64 v[6:7], v[6:7], 3, s[26:27]
	v_pk_fma_f32 v[2:3], v[2:3], v[4:5], v[8:9] op_sel_hi:[0,1,1]
	global_store_dwordx2 v[6:7], v[2:3], off
.LBB19_136:                             ;   in Loop: Header=BB19_16 Depth=1
	s_or_b64 exec, exec, s[38:39]
	v_add_u32_e32 v2, s68, v145
	v_cmp_gt_i32_e32 vcc, s76, v2
	v_mov_b32_e32 v1, 0x47
	s_and_saveexec_b64 s[0:1], vcc
	s_cbranch_execz .LBB19_138
; %bb.137:                              ;   in Loop: Header=BB19_16 Depth=1
	v_add_u32_e32 v1, 0, v184
	v_add_u32_e32 v1, 0xe0, v1
	ds_read2st64_b32 v[4:5], v1 offset1:15
	v_add_u32_e32 v1, v193, v184
	v_add_u32_e32 v1, 0x80, v1
	ds_read2st64_b32 v[6:7], v1 offset1:15
	v_readlane_b32 s2, v243, 63
	v_mov_b32_e32 v1, 0
	s_waitcnt lgkmcnt(0)
	v_cvt_f32_f16_e32 v8, v6
	v_cvt_f32_f16_sdwa v9, v6 dst_sel:DWORD dst_unused:UNUSED_PAD src0_sel:WORD_1
	v_cvt_f32_f16_e32 v6, v7
	v_cvt_f32_f16_sdwa v7, v7 dst_sel:DWORD dst_unused:UNUSED_PAD src0_sel:WORD_1
	v_mul_lo_u32 v2, v2, s2
	v_ashrrev_i32_e32 v3, 31, v2
	v_lshl_add_u64 v[2:3], v[2:3], 0, v[40:41]
	v_pk_fma_f32 v[8:9], v[4:5], v[8:9], 0 op_sel_hi:[0,1,0]
	v_mov_b32_e32 v4, v5
	v_lshl_add_u64 v[2:3], v[2:3], 3, s[26:27]
	v_pk_fma_f32 v[4:5], v[4:5], v[6:7], v[8:9] op_sel_hi:[0,1,1]
	global_store_dwordx2 v[2:3], v[4:5], off offset:256
.LBB19_138:                             ;   in Loop: Header=BB19_16 Depth=1
	s_or_b64 exec, exec, s[0:1]
	v_cmp_gt_i32_e32 vcc, s61, v1
	s_mov_b64 s[2:3], -1
	s_and_saveexec_b64 s[0:1], vcc
; %bb.139:                              ;   in Loop: Header=BB19_16 Depth=1
	v_cmp_eq_u32_e32 vcc, 0, v1
	s_orn2_b64 s[2:3], vcc, exec
; %bb.140:                              ;   in Loop: Header=BB19_16 Depth=1
	s_or_b64 exec, exec, s[0:1]
	s_and_saveexec_b64 s[0:1], s[2:3]
	s_cbranch_execz .LBB19_153
; %bb.141:                              ;   in Loop: Header=BB19_16 Depth=1
	v_add_u32_e32 v2, s68, v154
	v_cmp_gt_i32_e32 vcc, s76, v2
	v_mov_b32_e32 v1, 0x47
	s_and_saveexec_b64 s[38:39], vcc
	s_cbranch_execz .LBB19_143
; %bb.142:                              ;   in Loop: Header=BB19_16 Depth=1
	v_add_u32_e32 v1, 0, v185
	v_add_u32_e32 v1, 0xe0, v1
	ds_read2st64_b32 v[4:5], v1 offset1:15
	v_add_u32_e32 v1, v193, v185
	v_add_u32_e32 v1, 0x80, v1
	ds_read2st64_b32 v[6:7], v1 offset1:15
	v_readlane_b32 s2, v243, 63
	v_mov_b32_e32 v1, 0
	s_waitcnt lgkmcnt(0)
	v_cvt_f32_f16_e32 v8, v6
	v_cvt_f32_f16_sdwa v9, v6 dst_sel:DWORD dst_unused:UNUSED_PAD src0_sel:WORD_1
	v_cvt_f32_f16_e32 v6, v7
	v_cvt_f32_f16_sdwa v7, v7 dst_sel:DWORD dst_unused:UNUSED_PAD src0_sel:WORD_1
	v_mul_lo_u32 v2, v2, s2
	v_ashrrev_i32_e32 v3, 31, v2
	v_lshl_add_u64 v[2:3], v[2:3], 0, v[40:41]
	v_pk_fma_f32 v[8:9], v[4:5], v[8:9], 0 op_sel_hi:[0,1,0]
	v_mov_b32_e32 v4, v5
	v_lshl_add_u64 v[2:3], v[2:3], 3, s[26:27]
	v_pk_fma_f32 v[4:5], v[4:5], v[6:7], v[8:9] op_sel_hi:[0,1,1]
	global_store_dwordx2 v[2:3], v[4:5], off offset:256
.LBB19_143:                             ;   in Loop: Header=BB19_16 Depth=1
	s_or_b64 exec, exec, s[38:39]
	v_cmp_gt_i32_e32 vcc, s61, v1
	s_mov_b64 s[2:3], -1
	s_and_saveexec_b64 s[38:39], vcc
; %bb.144:                              ;   in Loop: Header=BB19_16 Depth=1
	v_cmp_eq_u32_e32 vcc, 0, v1
	s_orn2_b64 s[2:3], vcc, exec
; %bb.145:                              ;   in Loop: Header=BB19_16 Depth=1
	s_or_b64 exec, exec, s[38:39]
	s_and_b64 exec, exec, s[2:3]
	s_cbranch_execz .LBB19_153
; %bb.146:                              ;   in Loop: Header=BB19_16 Depth=1
	v_add_u32_e32 v2, s68, v155
	v_cmp_gt_i32_e32 vcc, s76, v2
	v_mov_b32_e32 v1, 0x47
	s_and_saveexec_b64 s[38:39], vcc
	s_cbranch_execz .LBB19_148
; %bb.147:                              ;   in Loop: Header=BB19_16 Depth=1
	v_add_u32_e32 v1, 0, v186
	v_add_u32_e32 v1, 0xe0, v1
	ds_read2st64_b32 v[4:5], v1 offset1:15
	v_add_u32_e32 v1, v193, v186
	v_add_u32_e32 v1, 0x80, v1
	ds_read2st64_b32 v[6:7], v1 offset1:15
	v_readlane_b32 s2, v243, 63
	v_mov_b32_e32 v1, 0
	s_waitcnt lgkmcnt(0)
	v_cvt_f32_f16_e32 v8, v6
	v_cvt_f32_f16_sdwa v9, v6 dst_sel:DWORD dst_unused:UNUSED_PAD src0_sel:WORD_1
	v_cvt_f32_f16_e32 v6, v7
	v_cvt_f32_f16_sdwa v7, v7 dst_sel:DWORD dst_unused:UNUSED_PAD src0_sel:WORD_1
	v_mul_lo_u32 v2, v2, s2
	v_ashrrev_i32_e32 v3, 31, v2
	v_lshl_add_u64 v[2:3], v[2:3], 0, v[40:41]
	v_pk_fma_f32 v[8:9], v[4:5], v[8:9], 0 op_sel_hi:[0,1,0]
	v_mov_b32_e32 v4, v5
	v_lshl_add_u64 v[2:3], v[2:3], 3, s[26:27]
	v_pk_fma_f32 v[4:5], v[4:5], v[6:7], v[8:9] op_sel_hi:[0,1,1]
	global_store_dwordx2 v[2:3], v[4:5], off offset:256
.LBB19_148:                             ;   in Loop: Header=BB19_16 Depth=1
	s_or_b64 exec, exec, s[38:39]
	v_cmp_gt_i32_e32 vcc, s61, v1
	s_mov_b64 s[2:3], -1
	s_and_saveexec_b64 s[38:39], vcc
; %bb.149:                              ;   in Loop: Header=BB19_16 Depth=1
	v_cmp_eq_u32_e32 vcc, 0, v1
	s_orn2_b64 s[2:3], vcc, exec
; %bb.150:                              ;   in Loop: Header=BB19_16 Depth=1
	s_or_b64 exec, exec, s[38:39]
	s_and_b64 exec, exec, s[2:3]
	s_cbranch_execz .LBB19_153
; %bb.151:                              ;   in Loop: Header=BB19_16 Depth=1
	v_add_u32_e32 v1, s68, v156
	v_cmp_gt_i32_e32 vcc, s76, v1
	s_and_b64 exec, exec, vcc
	s_cbranch_execz .LBB19_153
; %bb.152:                              ;   in Loop: Header=BB19_16 Depth=1
	v_readlane_b32 s2, v243, 63
	s_nop 1
	v_mul_lo_u32 v2, v1, s2
	v_add_u32_e32 v1, 0, v187
	v_add_u32_e32 v1, 0xe0, v1
	ds_read2st64_b32 v[4:5], v1 offset1:15
	v_add_u32_e32 v1, v193, v187
	v_add_u32_e32 v1, 0x80, v1
	ds_read2st64_b32 v[6:7], v1 offset1:15
	v_ashrrev_i32_e32 v3, 31, v2
	v_lshl_add_u64 v[2:3], v[2:3], 0, v[40:41]
	v_lshl_add_u64 v[2:3], v[2:3], 3, s[26:27]
	s_waitcnt lgkmcnt(0)
	v_cvt_f32_f16_e32 v8, v6
	v_cvt_f32_f16_sdwa v9, v6 dst_sel:DWORD dst_unused:UNUSED_PAD src0_sel:WORD_1
	v_cvt_f32_f16_e32 v6, v7
	v_cvt_f32_f16_sdwa v7, v7 dst_sel:DWORD dst_unused:UNUSED_PAD src0_sel:WORD_1
	v_pk_fma_f32 v[8:9], v[4:5], v[8:9], 0 op_sel_hi:[0,1,0]
	v_mov_b32_e32 v4, v5
	v_pk_fma_f32 v[4:5], v[4:5], v[6:7], v[8:9] op_sel_hi:[0,1,1]
	global_store_dwordx2 v[2:3], v[4:5], off offset:256
.LBB19_153:                             ;   in Loop: Header=BB19_16 Depth=1
	s_or_b64 exec, exec, s[0:1]
	v_add_u32_e32 v2, s68, v146
	v_cmp_gt_i32_e32 vcc, s76, v2
	v_mov_b32_e32 v1, 0x47
	s_and_saveexec_b64 s[0:1], vcc
	s_cbranch_execz .LBB19_155
; %bb.154:                              ;   in Loop: Header=BB19_16 Depth=1
	v_add_u32_e32 v1, 0, v188
	v_add_u32_e32 v1, 0xe0, v1
	ds_read2st64_b32 v[4:5], v1 offset1:15
	v_add_u32_e32 v1, v175, v188
	v_add_u32_e32 v1, 0xc0, v1
	ds_read2st64_b32 v[6:7], v1 offset1:15
	v_readlane_b32 s2, v243, 63
	v_mov_b32_e32 v1, 0
	s_waitcnt lgkmcnt(0)
	v_cvt_f32_f16_e32 v8, v6
	v_cvt_f32_f16_sdwa v9, v6 dst_sel:DWORD dst_unused:UNUSED_PAD src0_sel:WORD_1
	v_cvt_f32_f16_e32 v6, v7
	v_cvt_f32_f16_sdwa v7, v7 dst_sel:DWORD dst_unused:UNUSED_PAD src0_sel:WORD_1
	v_mul_lo_u32 v2, v2, s2
	v_ashrrev_i32_e32 v3, 31, v2
	v_lshl_add_u64 v[2:3], v[2:3], 0, v[54:55]
	v_pk_fma_f32 v[8:9], v[4:5], v[8:9], 0 op_sel_hi:[0,1,0]
	v_mov_b32_e32 v4, v5
	v_lshl_add_u64 v[2:3], v[2:3], 3, s[26:27]
	v_pk_fma_f32 v[4:5], v[4:5], v[6:7], v[8:9] op_sel_hi:[0,1,1]
	global_store_dwordx2 v[2:3], v[4:5], off offset:384
.LBB19_155:                             ;   in Loop: Header=BB19_16 Depth=1
	s_or_b64 exec, exec, s[0:1]
	v_cmp_gt_i32_e32 vcc, s61, v1
	s_mov_b64 s[0:1], -1
	s_and_saveexec_b64 s[2:3], vcc
; %bb.156:                              ;   in Loop: Header=BB19_16 Depth=1
	v_cmp_eq_u32_e32 vcc, 0, v1
	s_orn2_b64 s[0:1], vcc, exec
; %bb.157:                              ;   in Loop: Header=BB19_16 Depth=1
	s_or_b64 exec, exec, s[2:3]
	s_and_b64 exec, exec, s[0:1]
	s_cbranch_execz .LBB19_160
; %bb.158:                              ;   in Loop: Header=BB19_16 Depth=1
	v_add_u32_e32 v1, s68, v157
	v_cmp_gt_i32_e32 vcc, s76, v1
	s_and_b64 exec, exec, vcc
	s_cbranch_execz .LBB19_160
; %bb.159:                              ;   in Loop: Header=BB19_16 Depth=1
	v_readlane_b32 s0, v243, 63
	s_nop 1
	v_mul_lo_u32 v2, v1, s0
	v_add_u32_e32 v1, 0, v189
	v_add_u32_e32 v1, 0xe0, v1
	ds_read2st64_b32 v[4:5], v1 offset1:15
	v_add_u32_e32 v1, v175, v189
	v_add_u32_e32 v1, 0xc0, v1
	ds_read2st64_b32 v[6:7], v1 offset1:15
	v_ashrrev_i32_e32 v3, 31, v2
	v_lshl_add_u64 v[2:3], v[2:3], 0, v[54:55]
	v_lshl_add_u64 v[2:3], v[2:3], 3, s[26:27]
	s_waitcnt lgkmcnt(0)
	v_cvt_f32_f16_e32 v8, v6
	v_cvt_f32_f16_sdwa v9, v6 dst_sel:DWORD dst_unused:UNUSED_PAD src0_sel:WORD_1
	v_cvt_f32_f16_e32 v6, v7
	v_cvt_f32_f16_sdwa v7, v7 dst_sel:DWORD dst_unused:UNUSED_PAD src0_sel:WORD_1
	v_pk_fma_f32 v[8:9], v[4:5], v[8:9], 0 op_sel_hi:[0,1,0]
	v_mov_b32_e32 v4, v5
	v_pk_fma_f32 v[4:5], v[4:5], v[6:7], v[8:9] op_sel_hi:[0,1,1]
	global_store_dwordx2 v[2:3], v[4:5], off offset:384
.LBB19_160:                             ;   in Loop: Header=BB19_16 Depth=1
	s_or_b64 exec, exec, s[36:37]
	s_barrier
	s_branch .LBB19_15
.LBB19_161:                             ;   in Loop: Header=BB19_16 Depth=1
	s_lshl_b32 s67, s67, 5
	v_add_u32_e32 v1, s67, v191
	v_cmp_le_i32_e32 vcc, s76, v1
	s_and_saveexec_b64 s[0:1], vcc
	s_xor_b64 s[0:1], exec, s[0:1]
; %bb.162:                              ;   in Loop: Header=BB19_16 Depth=1
	v_add_u32_e32 v1, v192, v213
	ds_write_b32 v1, v49
                                        ; implicit-def: $vgpr1
; %bb.163:                              ;   in Loop: Header=BB19_16 Depth=1
	s_andn2_saveexec_b64 s[0:1], s[0:1]
	s_cbranch_execz .LBB19_165
; %bb.164:                              ;   in Loop: Header=BB19_16 Depth=1
	v_mad_u64_u32 v[2:3], s[2:3], v1, s69, v[38:39]
	v_ashrrev_i32_e32 v3, 31, v2
	v_lshl_add_u64 v[2:3], v[2:3], 3, s[82:83]
	global_load_dwordx2 v[2:3], v[2:3], off
	s_waitcnt vmcnt(0)
	v_cvt_pk_f16_f32 v1, v2, v3
	v_pk_mul_f16 v1, v1, v190
	v_add_u32_e32 v2, v192, v213
	ds_write_b32 v2, v1
.LBB19_165:                             ;   in Loop: Header=BB19_16 Depth=1
	s_or_b64 exec, exec, s[0:1]
	v_add_u32_e32 v1, s67, v214
	v_cmp_le_i32_e32 vcc, s76, v1
	s_and_saveexec_b64 s[0:1], vcc
	s_xor_b64 s[0:1], exec, s[0:1]
; %bb.166:                              ;   in Loop: Header=BB19_16 Depth=1
	v_add_u32_e32 v1, v192, v213
	ds_write_b32 v1, v49 offset:1920
                                        ; implicit-def: $vgpr1
; %bb.167:                              ;   in Loop: Header=BB19_16 Depth=1
	s_andn2_saveexec_b64 s[0:1], s[0:1]
	s_cbranch_execz .LBB19_169
; %bb.168:                              ;   in Loop: Header=BB19_16 Depth=1
	v_mad_u64_u32 v[2:3], s[2:3], v1, s69, v[38:39]
	v_ashrrev_i32_e32 v3, 31, v2
	v_lshl_add_u64 v[2:3], v[2:3], 3, s[82:83]
	global_load_dwordx2 v[2:3], v[2:3], off
	s_waitcnt vmcnt(0)
	v_cvt_pk_f16_f32 v1, v2, v3
	v_pk_mul_f16 v1, v1, v190
	v_add_u32_e32 v2, v192, v213
	ds_write_b32 v2, v1 offset:1920
.LBB19_169:                             ;   in Loop: Header=BB19_16 Depth=1
	s_or_b64 exec, exec, s[0:1]
	v_add_u32_e32 v1, s67, v215
	v_cmp_le_i32_e32 vcc, s76, v1
	s_and_saveexec_b64 s[0:1], vcc
	s_xor_b64 s[0:1], exec, s[0:1]
; %bb.170:                              ;   in Loop: Header=BB19_16 Depth=1
	v_add_u32_e32 v1, v192, v213
	ds_write_b32 v1, v49 offset:3840
                                        ; implicit-def: $vgpr1
; %bb.171:                              ;   in Loop: Header=BB19_16 Depth=1
	s_andn2_saveexec_b64 s[0:1], s[0:1]
	s_cbranch_execz .LBB19_173
; %bb.172:                              ;   in Loop: Header=BB19_16 Depth=1
	v_mad_u64_u32 v[2:3], s[2:3], v1, s69, v[38:39]
	v_ashrrev_i32_e32 v3, 31, v2
	v_lshl_add_u64 v[2:3], v[2:3], 3, s[82:83]
	global_load_dwordx2 v[2:3], v[2:3], off
	s_waitcnt vmcnt(0)
	v_cvt_pk_f16_f32 v1, v2, v3
	v_pk_mul_f16 v1, v1, v190
	v_add_u32_e32 v2, v192, v213
	ds_write_b32 v2, v1 offset:3840
.LBB19_173:                             ;   in Loop: Header=BB19_16 Depth=1
	;; [unrolled: 23-line block ×3, first 2 shown]
	s_or_b64 exec, exec, s[0:1]
	v_add_u32_e32 v1, s67, v158
	v_cmp_le_i32_e32 vcc, s76, v1
	s_and_saveexec_b64 s[0:1], vcc
	s_xor_b64 s[0:1], exec, s[0:1]
; %bb.178:                              ;   in Loop: Header=BB19_16 Depth=1
	ds_write_b32 v218, v49 offset:128
                                        ; implicit-def: $vgpr1
; %bb.179:                              ;   in Loop: Header=BB19_16 Depth=1
	s_andn2_saveexec_b64 s[0:1], s[0:1]
	s_cbranch_execz .LBB19_181
; %bb.180:                              ;   in Loop: Header=BB19_16 Depth=1
	v_mul_lo_u32 v2, v1, s69
	v_ashrrev_i32_e32 v3, 31, v2
	v_lshl_add_u64 v[2:3], v[2:3], 0, v[40:41]
	v_lshl_add_u64 v[2:3], v[2:3], 3, s[82:83]
	global_load_dwordx2 v[2:3], v[2:3], off offset:256
	s_waitcnt vmcnt(0)
	v_cvt_pk_f16_f32 v1, v2, v3
	v_pk_mul_f16 v1, v1, v190
	v_add_u32_e32 v2, v193, v217
	ds_write_b32 v2, v1 offset:128
.LBB19_181:                             ;   in Loop: Header=BB19_16 Depth=1
	s_or_b64 exec, exec, s[0:1]
	v_add_u32_e32 v1, s67, v219
	v_cmp_le_i32_e32 vcc, s76, v1
	s_and_saveexec_b64 s[0:1], vcc
	s_xor_b64 s[0:1], exec, s[0:1]
; %bb.182:                              ;   in Loop: Header=BB19_16 Depth=1
	ds_write_b32 v220, v49 offset:128
                                        ; implicit-def: $vgpr1
; %bb.183:                              ;   in Loop: Header=BB19_16 Depth=1
	s_andn2_saveexec_b64 s[0:1], s[0:1]
	s_cbranch_execz .LBB19_185
; %bb.184:                              ;   in Loop: Header=BB19_16 Depth=1
	v_mul_lo_u32 v2, v1, s69
	v_ashrrev_i32_e32 v3, 31, v2
	v_lshl_add_u64 v[2:3], v[2:3], 0, v[40:41]
	v_lshl_add_u64 v[2:3], v[2:3], 3, s[82:83]
	global_load_dwordx2 v[2:3], v[2:3], off offset:256
	s_waitcnt vmcnt(0)
	v_cvt_pk_f16_f32 v1, v2, v3
	v_pk_mul_f16 v1, v1, v190
	v_add_u32_e32 v2, v193, v217
	ds_write_b32 v2, v1 offset:3968
.LBB19_185:                             ;   in Loop: Header=BB19_16 Depth=1
	s_or_b64 exec, exec, s[0:1]
	v_add_u32_e32 v1, s67, v159
	v_cmp_le_i32_e32 vcc, s76, v1
	s_and_saveexec_b64 s[0:1], vcc
	s_xor_b64 s[0:1], exec, s[0:1]
; %bb.186:                              ;   in Loop: Header=BB19_16 Depth=1
	ds_write_b32 v163, v49 offset:192
                                        ; implicit-def: $vgpr1
; %bb.187:                              ;   in Loop: Header=BB19_16 Depth=1
	s_andn2_saveexec_b64 s[0:1], s[0:1]
	s_cbranch_execz .LBB19_189
; %bb.188:                              ;   in Loop: Header=BB19_16 Depth=1
	v_mul_lo_u32 v2, v1, s69
	v_ashrrev_i32_e32 v3, 31, v2
	v_lshl_add_u64 v[2:3], v[2:3], 0, v[54:55]
	v_lshl_add_u64 v[2:3], v[2:3], 3, s[82:83]
	global_load_dwordx2 v[2:3], v[2:3], off offset:384
	s_waitcnt vmcnt(0)
	v_cvt_pk_f16_f32 v1, v2, v3
	v_pk_mul_f16 v1, v1, v190
	ds_write_b32 v163, v1 offset:192
.LBB19_189:                             ;   in Loop: Header=BB19_16 Depth=1
	s_or_b64 exec, exec, s[0:1]
	s_waitcnt lgkmcnt(0)
	s_barrier
	ds_read2_b64 v[10:13], v167 offset1:4
	ds_read2_b64 v[6:9], v167 offset0:8 offset1:12
	ds_read2_b64 v[2:5], v167 offset0:16 offset1:20
	ds_read_b64 v[92:93], v167 offset:192
	s_cmp_lt_i32 s66, 2
	s_waitcnt lgkmcnt(0)
	s_barrier
	s_cbranch_scc1 .LBB19_204
; %bb.190:                              ;   in Loop: Header=BB19_16 Depth=1
	v_add_u32_e32 v1, s67, v133
	v_readlane_b32 s0, v243, 10
	v_readlane_b32 s1, v243, 11
	s_add_i32 s2, s66, -1
	v_mul_hi_u32 v14, s0, v1
	v_add_u32_e32 v14, v1, v14
	v_lshrrev_b32_e32 v14, s1, v14
	v_mul_lo_u32 v14, v14, s76
	v_sub_u32_e32 v1, v1, v14
	v_add_u32_e32 v14, s67, v194
	v_mul_hi_u32 v15, s0, v14
	v_add_u32_e32 v15, v14, v15
	v_lshrrev_b32_e32 v15, s1, v15
	v_mul_lo_u32 v15, v15, s76
	v_sub_u32_e32 v16, v14, v15
	v_add_u32_e32 v14, s67, v196
	;; [unrolled: 6-line block ×7, first 2 shown]
	v_mul_hi_u32 v15, s0, v14
	v_add_u32_e32 v15, v14, v15
	v_lshrrev_b32_e32 v15, s1, v15
	v_mul_lo_u32 v15, v15, s76
	v_sub_u32_e32 v22, v14, v15
	v_and_b32_e32 v14, 64, v225
	v_add_u32_e32 v14, 64, v14
	v_xor_b32_e32 v15, 32, v225
	v_cmp_lt_i32_e32 vcc, v15, v14
	v_readlane_b32 s0, v242, 17
	s_cmp_lg_u64 s[58:59], 0
	v_cndmask_b32_e32 v15, v225, v15, vcc
	v_lshlrev_b32_e32 v48, 2, v15
	v_xor_b32_e32 v15, 16, v225
	v_cmp_lt_i32_e32 vcc, v15, v14
	v_readlane_b32 s1, v242, 18
	s_mov_b32 s18, s0
	v_cndmask_b32_e32 v14, v225, v15, vcc
	v_lshlrev_b32_e32 v228, 2, v14
	v_mov_b64_e32 v[14:15], s[58:59]
	s_cselect_b64 s[38:39], -1, 0
	v_mov_b32_e32 v94, v90
	v_mov_b32_e32 v95, v90
	v_mad_i64_i32 v[96:97], s[0:1], s18, v1, v[14:15]
	v_mad_i64_i32 v[98:99], s[0:1], s18, v16, v[14:15]
	v_mad_i64_i32 v[100:101], s[0:1], s18, v17, v[14:15]
	v_mad_i64_i32 v[102:103], s[0:1], s18, v18, v[14:15]
	v_mad_i64_i32 v[104:105], s[0:1], s18, v19, v[14:15]
	v_mad_i64_i32 v[106:107], s[0:1], s18, v20, v[14:15]
	v_mad_i64_i32 v[108:109], s[0:1], s18, v21, v[14:15]
	v_mad_i64_i32 v[110:111], s[0:1], s18, v22, v[14:15]
	v_lshl_add_u64 v[112:113], v[74:75], 0, s[22:23]
	v_lshl_add_u64 v[114:115], v[76:77], 0, s[22:23]
	;; [unrolled: 1-line block ×8, first 2 shown]
	v_mov_b32_e32 v34, 0
	v_mov_b32_e32 v130, 0xfeffffff
	v_mov_b32_e32 v21, 0
	s_mov_b32 s3, s2
	v_mov_b32_e32 v35, 0
	v_mov_b32_e32 v31, 0
	v_mov_b32_e32 v30, 0
	v_mov_b32_e32 v32, 0
	v_mov_b32_e32 v28, 0
	v_mov_b32_e32 v33, 0
	v_mov_b32_e32 v29, 0
	v_mov_b32_e32 v37, 0
	v_mov_b32_e32 v36, 0
	v_mov_b32_e32 v129, 0
	v_mov_b32_e32 v128, 0
	v_mov_b32_e32 v27, 0
	v_mov_b32_e32 v26, 0
	v_cndmask_b32_e64 v1, 0, 1, s[38:39]
	v_cmp_ne_u32_e64 s[36:37], 1, v1
	s_andn2_b64 vcc, exec, s[38:39]
	s_cbranch_vccnz .LBB19_196
.LBB19_191:                             ;   in Loop: Header=BB19_16 Depth=1
	s_and_saveexec_b64 s[0:1], s[48:49]
	s_xor_b64 s[0:1], exec, s[0:1]
	s_cbranch_execz .LBB19_193
; %bb.192:                              ;   in Loop: Header=BB19_16 Depth=1
	ds_write_b16 v164, v49 offset:15360
	ds_write_b16 v195, v49 offset:15360
	;; [unrolled: 1-line block ×4, first 2 shown]
.LBB19_193:                             ;   in Loop: Header=BB19_16 Depth=1
	s_or_saveexec_b64 s[0:1], s[0:1]
	v_mov_b32_e32 v1, 0
	v_mov_b32_e32 v14, 0
	;; [unrolled: 1-line block ×4, first 2 shown]
	s_xor_b64 exec, exec, s[0:1]
	s_cbranch_execz .LBB19_195
; %bb.194:                              ;   in Loop: Header=BB19_16 Depth=1
	v_lshl_add_u64 v[14:15], v[96:97], 0, v[56:57]
	global_load_ushort v1, v[14:15], off
	v_lshl_add_u64 v[14:15], v[98:99], 0, v[56:57]
	global_load_ushort v16, v[14:15], off
	;; [unrolled: 2-line block ×4, first 2 shown]
	s_waitcnt vmcnt(3)
	ds_write_b16 v164, v1 offset:15360
	s_waitcnt vmcnt(2)
	ds_write_b16 v195, v16 offset:15360
	;; [unrolled: 2-line block ×4, first 2 shown]
	v_lshl_add_u64 v[14:15], v[104:105], 0, v[56:57]
	global_load_ushort v1, v[14:15], off
	v_lshl_add_u64 v[14:15], v[106:107], 0, v[56:57]
	v_lshl_add_u64 v[16:17], v[108:109], 0, v[56:57]
	global_load_ushort v14, v[14:15], off
	s_nop 0
	global_load_ushort v15, v[16:17], off
	v_lshl_add_u64 v[16:17], v[110:111], 0, v[56:57]
	global_load_ushort v16, v[16:17], off
.LBB19_195:                             ;   in Loop: Header=BB19_16 Depth=1
	s_or_b64 exec, exec, s[0:1]
	s_waitcnt vmcnt(3)
	ds_write_b16 v201, v1 offset:15360
	s_waitcnt vmcnt(2)
	ds_write_b16 v203, v14 offset:15360
	;; [unrolled: 2-line block ×4, first 2 shown]
.LBB19_196:                             ;   Parent Loop BB19_16 Depth=1
                                        ; =>  This Inner Loop Header: Depth=2
	scratch_store_dwordx4 off, v[234:237], off
	s_and_saveexec_b64 s[0:1], s[6:7]
	s_cbranch_execz .LBB19_198
; %bb.197:                              ;   in Loop: Header=BB19_196 Depth=2
	v_lshl_add_u64 v[14:15], v[126:127], 0, s[56:57]
	global_load_dwordx4 v[14:17], v[14:15], off
	s_waitcnt vmcnt(0)
	ds_write_b128 v139, v[14:17]
.LBB19_198:                             ;   in Loop: Header=BB19_196 Depth=2
	s_or_b64 exec, exec, s[0:1]
	v_lshl_add_u64 v[14:15], v[120:121], 0, s[56:57]
	v_mov_b32_e32 v1, s87
	v_lshl_add_u64 v[16:17], v[122:123], 0, s[56:57]
	v_cndmask_b32_e64 v15, v1, v15, s[8:9]
	v_cndmask_b32_e64 v14, v226, v14, s[8:9]
	;; [unrolled: 1-line block ×4, first 2 shown]
	v_lshl_add_u64 v[16:17], v[124:125], 0, s[56:57]
	v_cndmask_b32_e64 v23, v1, v17, s[12:13]
	v_cndmask_b32_e64 v22, v226, v16, s[12:13]
	flat_load_dwordx4 v[14:17], v[14:15]
	v_add_u32_e32 v1, v45, v166
	s_and_b64 vcc, exec, s[36:37]
	s_waitcnt vmcnt(0) lgkmcnt(0)
	ds_write_b128 v138, v[14:17]
	flat_load_dwordx4 v[14:17], v[18:19]
	s_waitcnt vmcnt(0) lgkmcnt(0)
	ds_write_b128 v162, v[14:17]
	flat_load_dwordx4 v[14:17], v[22:23]
	s_waitcnt vmcnt(0) lgkmcnt(0)
	ds_write_b128 v161, v[14:17]
	s_waitcnt lgkmcnt(0)
	s_barrier
	ds_read2_b64 v[14:17], v1 offset1:4
	s_waitcnt lgkmcnt(0)
	v_mfma_f32_16x16x16_f16 v[22:25], v[14:15], v[10:11], 0
	ds_read_b64 v[18:19], v1 offset:192
	v_mfma_f32_16x16x16_f16 v[14:17], v[16:17], v[12:13], v[22:25]
	s_nop 5
	ds_read2_b64 v[22:25], v1 offset0:8 offset1:12
	s_waitcnt lgkmcnt(0)
	v_mfma_f32_16x16x16_f16 v[14:17], v[22:23], v[6:7], v[14:17]
	v_mfma_f32_16x16x16_f16 v[14:17], v[24:25], v[8:9], v[14:17]
	ds_read2_b64 v[22:25], v1 offset0:16 offset1:20
	s_waitcnt lgkmcnt(0)
	v_mfma_f32_16x16x16_f16 v[14:17], v[22:23], v[2:3], v[14:17]
	v_mfma_f32_16x16x16_f16 v[14:17], v[24:25], v[4:5], v[14:17]
	v_mfma_f32_16x16x16_f16 v[16:19], v[18:19], v[92:93], v[14:17]
	s_nop 6
	v_add_u32_e32 v14, 0x1800, v1
	ds_read2_b64 v[22:25], v14 offset0:192 offset1:196
	s_waitcnt lgkmcnt(0)
	v_mfma_f32_16x16x16_f16 v[230:233], v[22:23], v[10:11], 0
	v_mfma_f32_16x16x16_f16 v[22:25], v[24:25], v[12:13], v[230:233]
	s_nop 6
	ds_read2_b64 v[230:233], v14 offset0:200 offset1:204
	s_waitcnt lgkmcnt(0)
	v_mfma_f32_16x16x16_f16 v[22:25], v[230:231], v[6:7], v[22:25]
	v_mfma_f32_16x16x16_f16 v[22:25], v[232:233], v[8:9], v[22:25]
	ds_read2_b64 v[230:233], v14 offset0:208 offset1:212
	ds_read_b64 v[14:15], v1 offset:7872
	s_waitcnt lgkmcnt(0)
	v_mfma_f32_16x16x16_f16 v[22:25], v[230:231], v[2:3], v[22:25]
	s_barrier
	v_mfma_f32_16x16x16_f16 v[22:25], v[232:233], v[4:5], v[22:25]
	v_mfma_f32_16x16x16_f16 v[22:25], v[14:15], v[92:93], v[22:25]
	s_cbranch_vccnz .LBB19_200
; %bb.199:                              ;   in Loop: Header=BB19_196 Depth=2
	v_add_u32_e32 v1, 0x3c00, v168
	ds_read2_b32 v[14:15], v1 offset1:1
	ds_read_b32 v1, v170 offset:15360
	v_mov_b32_e32 v91, v90
	s_waitcnt lgkmcnt(1)
	v_cvt_f32_f16_e32 v230, v14
	v_cvt_f32_f16_sdwa v231, v14 dst_sel:DWORD dst_unused:UNUSED_PAD src0_sel:WORD_1
	v_cvt_f32_f16_e32 v14, v15
	v_cvt_f32_f16_sdwa v15, v15 dst_sel:DWORD dst_unused:UNUSED_PAD src0_sel:WORD_1
	v_pk_fma_f32 v[16:17], v[94:95], v[230:231], v[16:17]
	v_pk_fma_f32 v[18:19], v[90:91], v[14:15], v[18:19]
	s_waitcnt lgkmcnt(0)
	v_cvt_f32_f16_sdwa v15, v1 dst_sel:DWORD dst_unused:UNUSED_PAD src0_sel:WORD_1
	v_cvt_f32_f16_e32 v14, v1
	ds_read_b32 v1, v172 offset:15360
	v_pk_fma_f32 v[22:23], v[94:95], v[14:15], v[22:23]
	s_waitcnt lgkmcnt(0)
	v_cvt_f32_f16_sdwa v231, v1 dst_sel:DWORD dst_unused:UNUSED_PAD src0_sel:WORD_1
	v_cvt_f32_f16_e32 v230, v1
	v_pk_fma_f32 v[24:25], v[90:91], v[230:231], v[24:25]
.LBB19_200:                             ;   in Loop: Header=BB19_196 Depth=2
	v_add_f32_e32 v1, 0x40051340, v16
	v_max_f32_e32 v14, v130, v130
	v_max_f32_e32 v1, v14, v1
	v_cndmask_b32_e64 v1, v130, v1, s[14:15]
	v_add_f32_e32 v14, 0x40051340, v17
	v_max_f32_e32 v15, v1, v1
	v_max_f32_e32 v14, v15, v14
	v_cndmask_b32_e64 v1, v1, v14, s[72:73]
	;; [unrolled: 4-line block ×8, first 2 shown]
	ds_bpermute_b32 v14, v48, v1
	v_max_f32_e32 v1, v1, v1
	scratch_store_dwordx4 off, v[234:237], off
	s_waitcnt lgkmcnt(0)
	v_max_f32_e32 v14, v14, v14
	v_max_f32_e32 v1, v1, v14
	ds_bpermute_b32 v14, v228, v1
	s_and_saveexec_b64 s[0:1], s[6:7]
	s_cbranch_execz .LBB19_202
; %bb.201:                              ;   in Loop: Header=BB19_196 Depth=2
	v_lshl_add_u64 v[230:231], v[112:113], 0, s[98:99]
	global_load_dwordx4 v[230:233], v[230:231], off
	s_waitcnt vmcnt(0)
	ds_write_b128 v139, v[230:233]
.LBB19_202:                             ;   in Loop: Header=BB19_196 Depth=2
	s_or_b64 exec, exec, s[0:1]
	s_waitcnt lgkmcnt(0)
	v_max_f32_e32 v14, v14, v14
	v_max_f32_e32 v1, v1, v1
	;; [unrolled: 1-line block ×3, first 2 shown]
	v_sub_f32_e32 v1, v16, v227
	v_mul_f32_e32 v14, 0x3fb8aa3b, v1
	v_fma_f32 v15, v1, s86, -v14
	v_rndne_f32_e32 v16, v14
	v_fmac_f32_e32 v15, 0x32a5705f, v1
	v_sub_f32_e32 v14, v14, v16
	v_add_f32_e32 v14, v14, v15
	v_exp_f32_e32 v14, v14
	v_cvt_i32_f32_e32 v15, v16
	v_cmp_ngt_f32_e32 vcc, s33, v1
	s_add_i32 s3, s3, -1
	v_lshl_add_u64 v[96:97], v[96:97], 0, s[88:89]
	v_ldexp_f32 v14, v14, v15
	v_cndmask_b32_e32 v14, 0, v14, vcc
	v_cmp_nlt_f32_e32 vcc, s77, v1
	v_lshl_add_u64 v[98:99], v[98:99], 0, s[88:89]
	v_lshl_add_u64 v[100:101], v[100:101], 0, s[88:89]
	v_cndmask_b32_e32 v1, v223, v14, vcc
	v_cndmask_b32_e64 v16, 0, v1, s[14:15]
	v_sub_f32_e32 v1, v17, v227
	v_mul_f32_e32 v14, 0x3fb8aa3b, v1
	v_fma_f32 v15, v1, s86, -v14
	v_rndne_f32_e32 v17, v14
	v_fmac_f32_e32 v15, 0x32a5705f, v1
	v_sub_f32_e32 v14, v14, v17
	v_add_f32_e32 v14, v14, v15
	v_exp_f32_e32 v14, v14
	v_cvt_i32_f32_e32 v15, v17
	v_cmp_ngt_f32_e32 vcc, s33, v1
	v_lshl_add_u64 v[102:103], v[102:103], 0, s[88:89]
	v_lshl_add_u64 v[104:105], v[104:105], 0, s[88:89]
	v_ldexp_f32 v14, v14, v15
	v_cndmask_b32_e32 v14, 0, v14, vcc
	v_cmp_nlt_f32_e32 vcc, s77, v1
	v_mov_b32_e32 v1, s85
	v_lshl_add_u64 v[106:107], v[106:107], 0, s[88:89]
	v_cndmask_b32_e32 v14, v223, v14, vcc
	v_add_f32_e32 v17, v14, v16
	v_cndmask_b32_e64 v15, v1, v14, s[72:73]
	v_sub_f32_e32 v14, v18, v227
	v_cndmask_b32_e64 v1, v16, v17, s[72:73]
	v_mul_f32_e32 v17, 0x3fb8aa3b, v14
	v_fma_f32 v18, v14, s86, -v17
	v_rndne_f32_e32 v20, v17
	v_fmac_f32_e32 v18, 0x32a5705f, v14
	v_sub_f32_e32 v17, v17, v20
	v_add_f32_e32 v17, v17, v18
	v_exp_f32_e32 v17, v17
	v_cvt_i32_f32_e32 v18, v20
	v_cmp_ngt_f32_e32 vcc, s33, v14
	v_lshl_add_u64 v[108:109], v[108:109], 0, s[88:89]
	v_lshl_add_u64 v[110:111], v[110:111], 0, s[88:89]
	v_ldexp_f32 v17, v17, v18
	v_cndmask_b32_e32 v17, 0, v17, vcc
	v_cmp_nlt_f32_e32 vcc, s77, v14
	v_mov_b32_e32 v14, s85
	v_lshl_add_u64 v[112:113], v[112:113], 0, s[34:35]
	v_cndmask_b32_e32 v17, v223, v17, vcc
	v_cndmask_b32_e64 v20, v14, v17, s[74:75]
	v_sub_f32_e32 v14, v19, v227
	v_add_f32_e32 v18, v1, v17
	v_mul_f32_e32 v17, 0x3fb8aa3b, v14
	v_cndmask_b32_e64 v1, v1, v18, s[74:75]
	v_fma_f32 v18, v14, s86, -v17
	v_rndne_f32_e32 v19, v17
	v_fmac_f32_e32 v18, 0x32a5705f, v14
	v_sub_f32_e32 v17, v17, v19
	v_add_f32_e32 v17, v17, v18
	v_exp_f32_e32 v17, v17
	v_cvt_i32_f32_e32 v18, v19
	v_cmp_ngt_f32_e32 vcc, s33, v14
	v_lshl_add_u64 v[120:121], v[120:121], 0, s[92:93]
	v_lshl_add_u64 v[122:123], v[122:123], 0, s[92:93]
	v_ldexp_f32 v17, v17, v18
	v_cndmask_b32_e32 v17, 0, v17, vcc
	v_cmp_nlt_f32_e32 vcc, s77, v14
	v_lshl_add_u64 v[124:125], v[124:125], 0, s[92:93]
	v_lshl_add_u64 v[126:127], v[126:127], 0, s[92:93]
	v_cndmask_b32_e32 v131, v223, v17, vcc
	v_add_f32_e32 v14, v1, v131
	v_cndmask_b32_e64 v1, v1, v14, s[70:71]
	v_sub_f32_e32 v14, v22, v227
	v_mul_f32_e32 v17, 0x3fb8aa3b, v14
	v_fma_f32 v18, v14, s86, -v17
	v_rndne_f32_e32 v19, v17
	v_fmac_f32_e32 v18, 0x32a5705f, v14
	v_sub_f32_e32 v17, v17, v19
	v_add_f32_e32 v17, v17, v18
	v_exp_f32_e32 v17, v17
	v_cvt_i32_f32_e32 v18, v19
	v_cmp_ngt_f32_e32 vcc, s33, v14
	s_cmp_lg_u32 s3, 0
	v_ldexp_f32 v17, v17, v18
	v_cndmask_b32_e32 v17, 0, v17, vcc
	v_cmp_nlt_f32_e32 vcc, s77, v14
	v_mov_b32_e32 v14, s85
	s_nop 0
	v_cndmask_b32_e32 v17, v223, v17, vcc
	v_add_f32_e32 v18, v17, v1
	v_cndmask_b32_e64 v14, v14, v17, s[96:97]
	v_cndmask_b32_e64 v17, v1, v18, s[96:97]
	v_sub_f32_e32 v1, v23, v227
	v_mul_f32_e32 v18, 0x3fb8aa3b, v1
	v_fma_f32 v19, v1, s86, -v18
	v_rndne_f32_e32 v22, v18
	v_fmac_f32_e32 v19, 0x32a5705f, v1
	v_sub_f32_e32 v18, v18, v22
	v_add_f32_e32 v18, v18, v19
	v_exp_f32_e32 v18, v18
	v_cvt_i32_f32_e32 v19, v22
	v_cmp_ngt_f32_e32 vcc, s33, v1
	v_ldexp_f32 v18, v18, v19
	s_nop 0
	v_cndmask_b32_e32 v18, 0, v18, vcc
	v_cmp_nlt_f32_e32 vcc, s77, v1
	v_mov_b32_e32 v1, s85
	s_nop 0
	v_cndmask_b32_e32 v18, v223, v18, vcc
	v_add_f32_e32 v19, v18, v17
	v_cndmask_b32_e64 v1, v1, v18, s[4:5]
	v_sub_f32_e32 v18, v24, v227
	v_cndmask_b32_e64 v17, v17, v19, s[4:5]
	v_mul_f32_e32 v19, 0x3fb8aa3b, v18
	v_fma_f32 v22, v18, s86, -v19
	v_rndne_f32_e32 v23, v19
	v_fmac_f32_e32 v22, 0x32a5705f, v18
	v_sub_f32_e32 v19, v19, v23
	v_add_f32_e32 v19, v19, v22
	v_exp_f32_e32 v19, v19
	v_cvt_i32_f32_e32 v22, v23
	v_cmp_ngt_f32_e32 vcc, s33, v18
	v_ldexp_f32 v19, v19, v22
	s_nop 0
	v_cndmask_b32_e32 v19, 0, v19, vcc
	v_cmp_nlt_f32_e32 vcc, s77, v18
	v_mov_b32_e32 v18, s85
	s_nop 0
	v_cndmask_b32_e32 v19, v223, v19, vcc
	v_add_f32_e32 v22, v19, v17
	v_cndmask_b32_e64 v18, v18, v19, s[94:95]
	v_sub_f32_e32 v19, v25, v227
	v_cndmask_b32_e64 v17, v17, v22, s[94:95]
	v_mul_f32_e32 v22, 0x3fb8aa3b, v19
	v_fma_f32 v23, v19, s86, -v22
	v_rndne_f32_e32 v24, v22
	v_fmac_f32_e32 v23, 0x32a5705f, v19
	v_sub_f32_e32 v22, v22, v24
	v_add_f32_e32 v22, v22, v23
	v_exp_f32_e32 v22, v22
	v_cvt_i32_f32_e32 v23, v24
	v_cmp_ngt_f32_e32 vcc, s33, v19
	v_ldexp_f32 v22, v22, v23
	s_nop 0
	v_cndmask_b32_e32 v22, 0, v22, vcc
	v_cmp_nlt_f32_e32 vcc, s77, v19
	s_nop 1
	v_cndmask_b32_e32 v22, v223, v22, vcc
	v_add_f32_e32 v19, v22, v17
	v_cndmask_b32_e64 v91, v17, v19, s[80:81]
	v_sub_f32_e32 v17, v130, v227
	v_mul_f32_e32 v19, 0x3fb8aa3b, v17
	v_fma_f32 v23, v17, s86, -v19
	v_rndne_f32_e32 v24, v19
	v_fmac_f32_e32 v23, 0x32a5705f, v17
	v_sub_f32_e32 v19, v19, v24
	v_add_f32_e32 v19, v19, v23
	v_exp_f32_e32 v19, v19
	v_cvt_i32_f32_e32 v23, v24
	v_cmp_ngt_f32_e32 vcc, s33, v17
	v_ldexp_f32 v19, v19, v23
	s_nop 0
	v_cndmask_b32_e32 v19, 0, v19, vcc
	v_cmp_nlt_f32_e32 vcc, s77, v17
	v_mov_b32_e32 v23, s85
	s_nop 0
	v_cndmask_b32_e32 v19, v223, v19, vcc
	v_cmp_le_f32_e32 vcc, s50, v17
	s_nop 1
	v_cndmask_b32_e32 v17, 0, v19, vcc
	v_fmac_f32_e32 v91, v21, v17
	v_cvt_f16_f32_e32 v17, v17
	v_mul_u32_u24_e32 v17, 0x10001, v17
	v_pk_mul_f16 v24, v129, v17
	v_pk_mul_f16 v25, v128, v17
	;; [unrolled: 1-line block ×14, first 2 shown]
	v_mov_b32_e32 v17, s85
	v_cndmask_b32_e64 v17, v17, v22, s[80:81]
	v_cndmask_b32_e64 v32, v23, v131, s[70:71]
	v_lshl_add_u64 v[22:23], v[114:115], 0, s[98:99]
	v_mov_b32_e32 v26, s87
	v_cndmask_b32_e64 v23, v26, v23, s[8:9]
	v_cndmask_b32_e64 v22, v226, v22, s[8:9]
	flat_load_dwordx4 v[128:131], v[22:23]
	v_lshl_add_u64 v[22:23], v[116:117], 0, s[98:99]
	v_cndmask_b32_e64 v23, v26, v23, s[10:11]
	v_cndmask_b32_e64 v22, v226, v22, s[10:11]
	v_cvt_f32_f16_e32 v238, v29
	v_cvt_f32_f16_sdwa v239, v29 dst_sel:DWORD dst_unused:UNUSED_PAD src0_sel:WORD_1
	v_cvt_f32_f16_e32 v240, v28
	v_cvt_f32_f16_sdwa v241, v28 dst_sel:DWORD dst_unused:UNUSED_PAD src0_sel:WORD_1
	v_lshl_add_u64 v[114:115], v[114:115], 0, s[34:35]
	v_lshl_add_u64 v[116:117], v[116:117], 0, s[34:35]
	s_waitcnt vmcnt(0) lgkmcnt(0)
	ds_write_b128 v138, v[128:131]
	flat_load_dwordx4 v[128:131], v[22:23]
	v_lshl_add_u64 v[22:23], v[118:119], 0, s[98:99]
	v_cndmask_b32_e64 v23, v26, v23, s[12:13]
	v_cndmask_b32_e64 v22, v226, v22, s[12:13]
	v_lshl_add_u64 v[118:119], v[118:119], 0, s[34:35]
	s_waitcnt vmcnt(0) lgkmcnt(0)
	ds_write_b128 v162, v[128:131]
	flat_load_dwordx4 v[128:131], v[22:23]
	v_cvt_f32_f16_e32 v22, v24
	v_cvt_f32_f16_sdwa v23, v24 dst_sel:DWORD dst_unused:UNUSED_PAD src0_sel:WORD_1
	v_cvt_f32_f16_e32 v24, v25
	v_cvt_f32_f16_sdwa v25, v25 dst_sel:DWORD dst_unused:UNUSED_PAD src0_sel:WORD_1
	s_waitcnt vmcnt(0) lgkmcnt(0)
	ds_write_b128 v161, v[128:131]
	s_waitcnt lgkmcnt(0)
	s_barrier
	ds_read_u16 v26, v140 offset:240
	ds_read_u16 v27, v141
	ds_read_u16 v35, v141 offset:32
	ds_read_u16 v128, v142
	ds_read_u16 v231, v142 offset:32
	v_cvt_pk_f16_f32 v131, v20, v32
	v_cvt_pk_f16_f32 v130, v16, v15
	;; [unrolled: 1-line block ×3, first 2 shown]
	s_waitcnt lgkmcnt(1)
	v_perm_b32 v27, v128, v27, s60
	ds_read_u16 v128, v140
	ds_read_u16 v232, v140 offset:32
	s_waitcnt lgkmcnt(1)
	v_perm_b32 v26, v26, v128, s60
	s_nop 1
	v_mfma_f32_16x16x16_f16 v[22:25], v[26:27], v[130:131], v[22:25]
	ds_read_u16 v26, v140 offset:7680
	ds_read_u16 v32, v140 offset:7920
	;; [unrolled: 1-line block ×4, first 2 shown]
	s_nop 3
	v_cvt_f16_f32_e32 v15, v22
	v_cvt_f16_f32_e32 v16, v23
	;; [unrolled: 1-line block ×4, first 2 shown]
	s_waitcnt lgkmcnt(0)
	v_perm_b32 v27, v128, v27, s60
	v_perm_b32 v26, v32, v26, s60
	v_cvt_pk_f16_f32 v128, v14, v1
	ds_read_u16 v1, v140 offset:272
	v_cvt_f32_f16_e32 v22, v15
	v_cvt_f32_f16_e32 v23, v16
	;; [unrolled: 1-line block ×4, first 2 shown]
	s_waitcnt lgkmcnt(0)
	v_perm_b32 v18, v1, v232, s60
	v_cvt_f32_f16_e32 v20, v21
	v_mfma_f32_16x16x16_f16 v[14:17], v[26:27], v[128:129], v[22:25]
	v_cvt_f32_f16_sdwa v21, v21 dst_sel:DWORD dst_unused:UNUSED_PAD src0_sel:WORD_1
	s_nop 1
	v_cvt_f32_f16_e32 v22, v19
	v_cvt_f32_f16_sdwa v23, v19 dst_sel:DWORD dst_unused:UNUSED_PAD src0_sel:WORD_1
	v_perm_b32 v19, v231, v35, s60
	s_nop 1
	v_mfma_f32_16x16x16_f16 v[18:21], v[18:19], v[130:131], v[20:23]
	s_nop 2
	ds_read_u16 v22, v140 offset:7712
	ds_read_u16 v24, v140 offset:7952
	;; [unrolled: 1-line block ×4, first 2 shown]
	s_nop 0
	v_cvt_f16_f32_e32 v1, v18
	v_cvt_f16_f32_e32 v19, v19
	;; [unrolled: 1-line block ×4, first 2 shown]
	v_cvt_f32_f16_e32 v18, v1
	ds_read_u16 v1, v140 offset:64
	ds_read_u16 v26, v140 offset:304
	;; [unrolled: 1-line block ×4, first 2 shown]
	s_waitcnt lgkmcnt(4)
	v_perm_b32 v23, v25, v23, s60
	v_perm_b32 v22, v24, v22, s60
	v_cvt_f32_f16_e32 v19, v19
	v_cvt_f32_f16_e32 v20, v20
	;; [unrolled: 1-line block ×3, first 2 shown]
	s_waitcnt lgkmcnt(0)
	v_perm_b32 v27, v32, v27, s60
	v_perm_b32 v26, v26, v1, s60
	v_mfma_f32_16x16x16_f16 v[18:21], v[22:23], v[128:129], v[18:21]
	v_cvt_f32_f16_e32 v22, v37
	v_cvt_f32_f16_sdwa v23, v37 dst_sel:DWORD dst_unused:UNUSED_PAD src0_sel:WORD_1
	v_cvt_f32_f16_e32 v24, v33
	v_cvt_f32_f16_sdwa v25, v33 dst_sel:DWORD dst_unused:UNUSED_PAD src0_sel:WORD_1
	s_nop 1
	v_mfma_f32_16x16x16_f16 v[22:25], v[26:27], v[130:131], v[22:25]
	ds_read_u16 v26, v140 offset:7744
	ds_read_u16 v32, v140 offset:7984
	ds_read_u16 v27, v141 offset:7744
	ds_read_u16 v33, v142 offset:7744
	s_nop 3
	v_cvt_f16_f32_e32 v1, v22
	v_cvt_f16_f32_e32 v23, v23
	;; [unrolled: 1-line block ×4, first 2 shown]
	s_waitcnt lgkmcnt(0)
	v_perm_b32 v27, v33, v27, s60
	v_perm_b32 v26, v32, v26, s60
	v_cvt_f32_f16_e32 v22, v1
	v_cvt_f32_f16_e32 v23, v23
	v_cvt_f32_f16_e32 v24, v24
	v_cvt_f32_f16_e32 v25, v25
	s_nop 1
	v_mfma_f32_16x16x16_f16 v[22:25], v[26:27], v[128:129], v[22:25]
	ds_read_u16 v1, v140 offset:96
	ds_read_u16 v26, v140 offset:336
	ds_read_u16 v27, v141 offset:96
	ds_read_u16 v32, v142 offset:96
	s_waitcnt lgkmcnt(2)
	v_perm_b32 v26, v26, v1, s60
	s_waitcnt lgkmcnt(0)
	v_perm_b32 v27, v32, v27, s60
	ds_read_u16 v32, v140 offset:7776
	ds_read_u16 v35, v140 offset:8016
	;; [unrolled: 1-line block ×4, first 2 shown]
	v_mfma_f32_16x16x16_f16 v[26:29], v[26:27], v[130:131], v[238:241]
	s_waitcnt lgkmcnt(0)
	v_perm_b32 v33, v37, v33, s60
	v_perm_b32 v32, v35, v32, s60
	v_cvt_f32_f16_e32 v238, v31
	s_nop 3
	v_cvt_f16_f32_e32 v1, v26
	v_cvt_f16_f32_e32 v27, v27
	;; [unrolled: 1-line block ×4, first 2 shown]
	v_cvt_f32_f16_e32 v26, v1
	v_cvt_f32_f16_e32 v27, v27
	;; [unrolled: 1-line block ×4, first 2 shown]
	v_cvt_f32_f16_sdwa v239, v31 dst_sel:DWORD dst_unused:UNUSED_PAD src0_sel:WORD_1
	v_cvt_f32_f16_e32 v240, v30
	v_mfma_f32_16x16x16_f16 v[26:29], v[32:33], v[128:129], v[26:29]
	ds_read_u16 v1, v140 offset:128
	ds_read_u16 v32, v140 offset:368
	ds_read_u16 v33, v141 offset:128
	ds_read_u16 v35, v142 offset:128
	v_cvt_f32_f16_sdwa v241, v30 dst_sel:DWORD dst_unused:UNUSED_PAD src0_sel:WORD_1
	s_waitcnt lgkmcnt(2)
	v_perm_b32 v30, v32, v1, s60
	s_nop 0
	v_cvt_pk_f16_f32 v28, v28, v29
	s_waitcnt lgkmcnt(0)
	v_perm_b32 v31, v35, v33, s60
	ds_read_u16 v35, v140 offset:7808
	ds_read_u16 v37, v140 offset:8048
	;; [unrolled: 1-line block ×4, first 2 shown]
	v_mfma_f32_16x16x16_f16 v[30:33], v[30:31], v[130:131], v[238:241]
	s_waitcnt lgkmcnt(0)
	v_perm_b32 v233, v232, v231, s60
	v_perm_b32 v232, v37, v35, s60
	v_cvt_f32_f16_e32 v240, v34
	s_nop 3
	v_cvt_f16_f32_e32 v1, v30
	v_cvt_f16_f32_e32 v31, v31
	;; [unrolled: 1-line block ×4, first 2 shown]
	v_cvt_f32_f16_e32 v30, v1
	ds_read_u16 v1, v140 offset:160
	ds_read_u16 v37, v140 offset:400
	;; [unrolled: 1-line block ×4, first 2 shown]
	v_cvt_f32_f16_sdwa v241, v34 dst_sel:DWORD dst_unused:UNUSED_PAD src0_sel:WORD_1
	v_cvt_f32_f16_e32 v238, v36
	s_waitcnt lgkmcnt(2)
	v_perm_b32 v34, v37, v1, s60
	v_cvt_f32_f16_sdwa v239, v36 dst_sel:DWORD dst_unused:UNUSED_PAD src0_sel:WORD_1
	s_waitcnt lgkmcnt(0)
	v_perm_b32 v35, v231, v35, s60
	v_cvt_f32_f16_e32 v31, v31
	v_cvt_f32_f16_e32 v32, v32
	;; [unrolled: 1-line block ×3, first 2 shown]
	v_mfma_f32_16x16x16_f16 v[34:37], v[34:35], v[130:131], v[238:241]
	v_cvt_pk_f16_f32 v29, v24, v25
	s_nop 1
	v_cvt_f32_f16_sdwa v239, v230 dst_sel:DWORD dst_unused:UNUSED_PAD src0_sel:WORD_1
	v_mfma_f32_16x16x16_f16 v[30:33], v[232:233], v[128:129], v[30:33]
	ds_read_u16 v231, v140 offset:7840
	ds_read_u16 v232, v140 offset:8080
	;; [unrolled: 1-line block ×4, first 2 shown]
	v_cvt_f16_f32_e32 v1, v34
	v_cvt_f16_f32_e32 v35, v35
	;; [unrolled: 1-line block ×4, first 2 shown]
	s_waitcnt lgkmcnt(0)
	v_perm_b32 v233, v238, v233, s60
	v_perm_b32 v232, v232, v231, s60
	v_cvt_f32_f16_e32 v34, v1
	v_cvt_f32_f16_e32 v35, v35
	;; [unrolled: 1-line block ×6, first 2 shown]
	v_mfma_f32_16x16x16_f16 v[34:37], v[232:233], v[128:129], v[34:37]
	ds_read_u16 v1, v140 offset:192
	ds_read_u16 v232, v140 offset:432
	;; [unrolled: 1-line block ×4, first 2 shown]
	v_cvt_f32_f16_sdwa v241, v229 dst_sel:DWORD dst_unused:UNUSED_PAD src0_sel:WORD_1
	v_cvt_pk_f16_f32 v31, v30, v31
	s_waitcnt lgkmcnt(2)
	v_perm_b32 v230, v232, v1, s60
	v_cvt_pk_f16_f32 v34, v34, v35
	s_waitcnt lgkmcnt(0)
	v_perm_b32 v231, v233, v231, s60
	v_cvt_pk_f16_f32 v35, v36, v37
	v_cvt_pk_f16_f32 v30, v32, v33
	v_mfma_f32_16x16x16_f16 v[230:233], v[230:231], v[130:131], v[238:241]
	v_cvt_pk_f16_f32 v32, v26, v27
	v_cvt_pk_f16_f32 v33, v22, v23
	v_cvt_pk_f16_f32 v37, v18, v19
	s_nop 4
	v_cvt_f16_f32_e32 v229, v230
	v_cvt_f16_f32_e32 v230, v231
	;; [unrolled: 1-line block ×4, first 2 shown]
	ds_read_u16 v1, v140 offset:7872
	ds_read_u16 v130, v140 offset:8112
	;; [unrolled: 1-line block ×4, first 2 shown]
	v_cvt_f32_f16_e32 v238, v229
	v_cvt_f32_f16_e32 v239, v230
	s_waitcnt lgkmcnt(2)
	v_perm_b32 v130, v130, v1, s60
	v_cvt_f32_f16_e32 v240, v231
	s_waitcnt lgkmcnt(0)
	v_perm_b32 v131, v233, v131, s60
	v_cvt_f32_f16_e32 v241, v232
	v_cvt_pk_f16_f32 v36, v20, v21
	s_nop 0
	v_mfma_f32_16x16x16_f16 v[230:233], v[130:131], v[128:129], v[238:241]
	v_cvt_pk_f16_f32 v129, v14, v15
	v_cvt_pk_f16_f32 v128, v16, v17
	s_barrier
	s_nop 4
	v_cvt_pk_f16_f32 v27, v230, v231
	v_cvt_pk_f16_f32 v26, v232, v233
	s_cbranch_scc0 .LBB19_205
; %bb.203:                              ;   in Loop: Header=BB19_196 Depth=2
	v_mov_b32_e32 v21, v91
	v_mov_b32_e32 v130, v227
	v_cndmask_b32_e64 v1, 0, 1, s[38:39]
	v_cmp_ne_u32_e64 s[36:37], 1, v1
	s_andn2_b64 vcc, exec, s[38:39]
	s_cbranch_vccz .LBB19_191
	s_branch .LBB19_196
.LBB19_204:                             ;   in Loop: Header=BB19_16 Depth=1
	v_mov_b32_e32 v227, 0xfeffffff
	s_mov_b32 s84, 0
	v_mov_b32_e32 v91, 0
	v_mov_b32_e32 v26, 0
	;; [unrolled: 1-line block ×15, first 2 shown]
	s_branch .LBB19_206
.LBB19_205:                             ;   in Loop: Header=BB19_16 Depth=1
	s_lshl_b32 s84, s2, 6
.LBB19_206:                             ;   in Loop: Header=BB19_16 Depth=1
	v_readlane_b32 s0, v243, 4
	s_sub_i32 s66, s0, s84
	v_readlane_b32 s1, v243, 5
	s_cmp_lg_u64 s[58:59], 0
	s_cselect_b64 s[0:1], -1, 0
	s_cmp_eq_u64 s[58:59], 0
	s_cbranch_scc1 .LBB19_216
; %bb.207:                              ;   in Loop: Header=BB19_16 Depth=1
	s_lshl_b64 s[2:3], s[84:85], 1
	s_add_u32 s2, s58, s2
	s_addc_u32 s3, s59, s3
	v_cmp_le_i32_e32 vcc, s66, v42
	s_and_saveexec_b64 s[36:37], vcc
	s_xor_b64 s[36:37], exec, s[36:37]
	s_cbranch_execz .LBB19_209
; %bb.208:                              ;   in Loop: Header=BB19_16 Depth=1
	ds_write_b16 v164, v49 offset:15360
	ds_write_b16 v195, v49 offset:15360
.LBB19_209:                             ;   in Loop: Header=BB19_16 Depth=1
	s_or_saveexec_b64 s[36:37], s[36:37]
	v_lshlrev_b32_e32 v48, 1, v42
	v_lshl_add_u64 v[14:15], s[2:3], 0, v[48:49]
	v_mov_b32_e32 v1, 0
	v_mov_b32_e32 v16, 0
	s_xor_b64 exec, exec, s[36:37]
	s_cbranch_execz .LBB19_211
; %bb.210:                              ;   in Loop: Header=BB19_16 Depth=1
	v_add_u32_e32 v1, s67, v133
	v_readlane_b32 s16, v243, 10
	v_readlane_b32 s17, v243, 11
	;; [unrolled: 1-line block ×3, first 2 shown]
	v_mul_hi_u32 v16, s16, v1
	v_add_u32_e32 v16, v1, v16
	v_lshrrev_b32_e32 v16, s17, v16
	v_mul_lo_u32 v16, v16, s76
	v_sub_u32_e32 v1, v1, v16
	v_readlane_b32 s3, v242, 16
	s_mov_b32 s18, s2
	v_mad_i64_i32 v[16:17], s[2:3], v1, s18, 0
	v_lshl_add_u64 v[16:17], v[16:17], 1, v[14:15]
	global_load_ushort v1, v[16:17], off
	v_add_u32_e32 v16, s67, v194
	v_mul_hi_u32 v17, s16, v16
	v_add_u32_e32 v17, v16, v17
	v_lshrrev_b32_e32 v17, s17, v17
	v_mul_lo_u32 v17, v17, s76
	v_sub_u32_e32 v16, v16, v17
	v_mad_i64_i32 v[16:17], s[2:3], v16, s18, 0
	v_lshl_add_u64 v[16:17], v[16:17], 1, v[14:15]
	global_load_ushort v16, v[16:17], off
	s_waitcnt vmcnt(1)
	ds_write_b16 v164, v1 offset:15360
	s_waitcnt vmcnt(0)
	ds_write_b16 v195, v16 offset:15360
	v_add_u32_e32 v1, s67, v196
	v_mul_hi_u32 v16, s16, v1
	v_add_u32_e32 v16, v1, v16
	v_lshrrev_b32_e32 v16, s17, v16
	v_mul_lo_u32 v16, v16, s76
	v_sub_u32_e32 v1, v1, v16
	v_mad_i64_i32 v[16:17], s[2:3], v1, s18, 0
	v_lshl_add_u64 v[16:17], v[16:17], 1, v[14:15]
	global_load_ushort v1, v[16:17], off
	v_add_u32_e32 v16, s67, v198
	v_mul_hi_u32 v17, s16, v16
	v_add_u32_e32 v17, v16, v17
	v_lshrrev_b32_e32 v17, s17, v17
	v_mul_lo_u32 v17, v17, s76
	v_sub_u32_e32 v16, v16, v17
	v_mad_i64_i32 v[16:17], s[2:3], v16, s18, 0
	v_lshl_add_u64 v[16:17], v[16:17], 1, v[14:15]
	global_load_ushort v16, v[16:17], off
.LBB19_211:                             ;   in Loop: Header=BB19_16 Depth=1
	s_or_b64 exec, exec, s[36:37]
	s_waitcnt vmcnt(1)
	ds_write_b16 v197, v1 offset:15360
	s_waitcnt vmcnt(0)
	ds_write_b16 v199, v16 offset:15360
	s_and_saveexec_b64 s[2:3], vcc
	s_xor_b64 s[2:3], exec, s[2:3]
	s_cbranch_execz .LBB19_213
; %bb.212:                              ;   in Loop: Header=BB19_16 Depth=1
	ds_write_b16 v201, v49 offset:15360
	ds_write_b16 v203, v49 offset:15360
                                        ; implicit-def: $vgpr14_vgpr15
.LBB19_213:                             ;   in Loop: Header=BB19_16 Depth=1
	s_or_saveexec_b64 s[36:37], s[2:3]
	v_mov_b32_e32 v1, 0
	v_mov_b32_e32 v16, 0
	s_xor_b64 exec, exec, s[36:37]
	s_cbranch_execz .LBB19_215
; %bb.214:                              ;   in Loop: Header=BB19_16 Depth=1
	v_add_u32_e32 v1, s67, v200
	v_readlane_b32 s16, v243, 10
	v_readlane_b32 s17, v243, 11
	;; [unrolled: 1-line block ×3, first 2 shown]
	v_mul_hi_u32 v16, s16, v1
	v_add_u32_e32 v16, v1, v16
	v_lshrrev_b32_e32 v16, s17, v16
	v_mul_lo_u32 v16, v16, s76
	v_sub_u32_e32 v1, v1, v16
	v_readlane_b32 s3, v242, 16
	s_mov_b32 s18, s2
	v_mad_i64_i32 v[16:17], s[2:3], v1, s18, 0
	v_lshl_add_u64 v[16:17], v[16:17], 1, v[14:15]
	global_load_ushort v1, v[16:17], off
	v_add_u32_e32 v16, s67, v202
	v_mul_hi_u32 v17, s16, v16
	v_add_u32_e32 v17, v16, v17
	v_lshrrev_b32_e32 v17, s17, v17
	v_mul_lo_u32 v17, v17, s76
	v_sub_u32_e32 v16, v16, v17
	v_mad_i64_i32 v[16:17], s[2:3], v16, s18, 0
	v_lshl_add_u64 v[16:17], v[16:17], 1, v[14:15]
	global_load_ushort v16, v[16:17], off
	s_waitcnt vmcnt(1)
	ds_write_b16 v201, v1 offset:15360
	s_waitcnt vmcnt(0)
	ds_write_b16 v203, v16 offset:15360
	v_add_u32_e32 v1, s67, v204
	v_mul_hi_u32 v16, s16, v1
	v_add_u32_e32 v16, v1, v16
	v_lshrrev_b32_e32 v16, s17, v16
	v_mul_lo_u32 v16, v16, s76
	v_sub_u32_e32 v1, v1, v16
	v_mad_i64_i32 v[16:17], s[2:3], v1, s18, 0
	v_lshl_add_u64 v[16:17], v[16:17], 1, v[14:15]
	global_load_ushort v1, v[16:17], off
	v_add_u32_e32 v16, s67, v206
	v_mul_hi_u32 v17, s16, v16
	v_add_u32_e32 v17, v16, v17
	v_lshrrev_b32_e32 v17, s17, v17
	v_mul_lo_u32 v17, v17, s76
	v_sub_u32_e32 v16, v16, v17
	v_mad_i64_i32 v[16:17], s[2:3], v16, s18, 0
	v_lshl_add_u64 v[14:15], v[16:17], 1, v[14:15]
	global_load_ushort v16, v[14:15], off
.LBB19_215:                             ;   in Loop: Header=BB19_16 Depth=1
	s_or_b64 exec, exec, s[36:37]
	s_waitcnt vmcnt(1)
	ds_write_b16 v205, v1 offset:15360
	s_waitcnt vmcnt(0)
	ds_write_b16 v207, v16 offset:15360
.LBB19_216:                             ;   in Loop: Header=BB19_16 Depth=1
	s_mul_i32 s2, s84, s91
	s_mul_hi_u32 s3, s84, s90
	s_add_i32 s3, s3, s2
	s_mul_i32 s2, s84, s90
	s_lshl_b64 s[2:3], s[2:3], 2
	s_add_u32 s36, s64, s2
	s_addc_u32 s37, s65, s3
	scratch_store_dwordx4 off, v[234:237], off
	s_and_saveexec_b64 s[38:39], s[6:7]
	s_cbranch_execz .LBB19_218
; %bb.217:                              ;   in Loop: Header=BB19_16 Depth=1
	v_lshl_add_u64 v[14:15], v[64:65], 2, s[36:37]
	v_lshlrev_b32_e32 v48, 2, v46
	v_lshl_add_u64 v[14:15], v[14:15], 0, v[48:49]
	s_mov_b64 s[2:3], 0xc0
	v_lshl_add_u64 v[14:15], v[14:15], 0, s[2:3]
	v_mov_b32_e32 v1, s87
	v_cmp_gt_i32_e32 vcc, s66, v47
	s_nop 1
	v_cndmask_b32_e32 v15, v1, v15, vcc
	v_cndmask_b32_e32 v14, v226, v14, vcc
	flat_load_dwordx4 v[14:17], v[14:15]
	s_waitcnt vmcnt(0) lgkmcnt(0)
	ds_write_b128 v139, v[14:17]
.LBB19_218:                             ;   in Loop: Header=BB19_16 Depth=1
	s_or_b64 exec, exec, s[38:39]
	v_lshl_add_u64 v[14:15], v[58:59], 2, s[36:37]
	v_lshlrev_b32_e32 v48, 2, v44
	v_lshl_add_u64 v[14:15], v[14:15], 0, v[48:49]
	v_lshl_add_u64 v[14:15], v[14:15], 0, s[88:89]
	v_mov_b32_e32 v1, s87
	v_cmp_gt_i32_e64 s[54:55], s66, v53
	v_lshl_add_u64 v[20:21], v[60:61], 2, s[36:37]
	v_cmp_gt_i32_e64 s[50:51], s66, v159
	v_cndmask_b32_e64 v15, v1, v15, s[54:55]
	v_cndmask_b32_e64 v14, v226, v14, s[54:55]
	flat_load_dwordx4 v[16:19], v[14:15]
	v_lshlrev_b32_e32 v14, 2, v52
	v_mov_b32_e32 v15, v49
	v_lshl_add_u64 v[20:21], v[20:21], 0, v[14:15]
	v_cndmask_b32_e64 v21, v1, v21, s[50:51]
	v_cndmask_b32_e64 v20, v226, v20, s[50:51]
	v_cmp_gt_i32_e64 s[52:53], s66, v160
	s_andn2_b64 vcc, exec, s[0:1]
	s_waitcnt vmcnt(0) lgkmcnt(0)
	ds_write_b128 v138, v[16:19]
	flat_load_dwordx4 v[16:19], v[20:21]
	v_lshl_add_u64 v[20:21], v[62:63], 2, s[36:37]
	v_lshl_add_u64 v[20:21], v[20:21], 0, v[14:15]
	v_cndmask_b32_e64 v21, v1, v21, s[52:53]
	v_cndmask_b32_e64 v20, v226, v20, s[52:53]
	v_add_u32_e32 v1, v45, v166
	v_add_u32_e32 v15, 0x1800, v1
	s_waitcnt vmcnt(0) lgkmcnt(0)
	ds_write_b128 v162, v[16:19]
	flat_load_dwordx4 v[16:19], v[20:21]
	s_waitcnt vmcnt(0) lgkmcnt(0)
	ds_write_b128 v161, v[16:19]
	s_waitcnt lgkmcnt(0)
	s_barrier
	ds_read2_b64 v[16:19], v1 offset1:4
	ds_read2_b64 v[94:97], v15 offset0:192 offset1:196
	s_waitcnt lgkmcnt(1)
	v_mfma_f32_16x16x16_f16 v[20:23], v[16:17], v[10:11], 0
	s_waitcnt lgkmcnt(0)
	v_mfma_f32_16x16x16_f16 v[98:101], v[94:95], v[10:11], 0
	v_mfma_f32_16x16x16_f16 v[16:19], v[18:19], v[12:13], v[20:23]
	;; [unrolled: 1-line block ×3, first 2 shown]
	s_nop 3
	ds_read2_b64 v[20:23], v1 offset0:8 offset1:12
	ds_read2_b64 v[94:97], v15 offset0:200 offset1:204
	s_waitcnt lgkmcnt(1)
	v_mfma_f32_16x16x16_f16 v[16:19], v[20:21], v[6:7], v[16:19]
	s_waitcnt lgkmcnt(0)
	v_mfma_f32_16x16x16_f16 v[10:13], v[94:95], v[6:7], v[10:13]
	v_mfma_f32_16x16x16_f16 v[16:19], v[22:23], v[8:9], v[16:19]
	ds_read2_b64 v[20:23], v15 offset0:208 offset1:212
	v_mfma_f32_16x16x16_f16 v[6:9], v[96:97], v[8:9], v[10:13]
	s_nop 4
	ds_read2_b64 v[10:13], v1 offset0:16 offset1:20
	s_waitcnt lgkmcnt(0)
	v_mfma_f32_16x16x16_f16 v[16:19], v[10:11], v[2:3], v[16:19]
	v_mfma_f32_16x16x16_f16 v[6:9], v[20:21], v[2:3], v[6:9]
	ds_read_b64 v[2:3], v1 offset:192
	v_mfma_f32_16x16x16_f16 v[10:13], v[12:13], v[4:5], v[16:19]
	v_mfma_f32_16x16x16_f16 v[16:19], v[22:23], v[4:5], v[6:9]
	s_nop 4
	ds_read_b64 v[8:9], v1 offset:7872
	s_waitcnt lgkmcnt(1)
	v_mfma_f32_16x16x16_f16 v[4:7], v[2:3], v[92:93], v[10:13]
	s_waitcnt lgkmcnt(0)
	s_barrier
	v_mfma_f32_16x16x16_f16 v[8:11], v[8:9], v[92:93], v[16:19]
	s_cbranch_vccnz .LBB19_220
; %bb.219:                              ;   in Loop: Header=BB19_16 Depth=1
	v_add_u32_e32 v1, 0x3c00, v168
	ds_read2_b32 v[2:3], v1 offset1:1
	ds_read_b32 v1, v170 offset:15360
	s_waitcnt lgkmcnt(1)
	v_cvt_f32_f16_e32 v12, v2
	v_cvt_f32_f16_sdwa v13, v2 dst_sel:DWORD dst_unused:UNUSED_PAD src0_sel:WORD_1
	v_cvt_f32_f16_e32 v2, v3
	v_cvt_f32_f16_sdwa v3, v3 dst_sel:DWORD dst_unused:UNUSED_PAD src0_sel:WORD_1
	v_pk_fma_f32 v[4:5], v[90:91], v[12:13], v[4:5] op_sel_hi:[0,1,1]
	v_pk_fma_f32 v[6:7], v[90:91], v[2:3], v[6:7] op_sel_hi:[0,1,1]
	s_waitcnt lgkmcnt(0)
	v_cvt_f32_f16_sdwa v3, v1 dst_sel:DWORD dst_unused:UNUSED_PAD src0_sel:WORD_1
	v_cvt_f32_f16_e32 v2, v1
	ds_read_b32 v1, v172 offset:15360
	v_pk_fma_f32 v[8:9], v[90:91], v[2:3], v[8:9] op_sel_hi:[0,1,1]
	s_waitcnt lgkmcnt(0)
	v_cvt_f32_f16_sdwa v13, v1 dst_sel:DWORD dst_unused:UNUSED_PAD src0_sel:WORD_1
	v_cvt_f32_f16_e32 v12, v1
	v_pk_fma_f32 v[10:11], v[90:91], v[12:13], v[10:11] op_sel_hi:[0,1,1]
.LBB19_220:                             ;   in Loop: Header=BB19_16 Depth=1
	s_nop 3
	v_add_f32_e32 v1, 0x40051340, v4
	v_max_f32_e32 v2, v227, v227
	v_max_f32_e32 v1, v2, v1
	v_cmp_gt_u32_e64 s[48:49], s66, v165
	v_add_f32_e32 v2, 0x40051340, v5
	v_cmp_gt_u32_e64 s[38:39], s66, v208
	v_cndmask_b32_e64 v1, v227, v1, s[48:49]
	v_max_f32_e32 v3, v1, v1
	v_max_f32_e32 v2, v3, v2
	v_cndmask_b32_e64 v1, v1, v2, s[38:39]
	v_add_f32_e32 v2, 0x40051340, v6
	v_max_f32_e32 v3, v1, v1
	v_max_f32_e32 v2, v3, v2
	v_cmp_gt_u32_e64 s[42:43], s66, v209
	v_cmp_gt_u32_e64 s[44:45], s66, v210
	;; [unrolled: 1-line block ×3, first 2 shown]
	v_cndmask_b32_e64 v1, v1, v2, s[42:43]
	v_add_f32_e32 v2, 0x40051340, v7
	v_max_f32_e32 v3, v1, v1
	v_max_f32_e32 v2, v3, v2
	v_cndmask_b32_e64 v1, v1, v2, s[44:45]
	v_add_f32_e32 v2, 0x40051340, v8
	v_max_f32_e32 v3, v1, v1
	v_max_f32_e32 v2, v3, v2
	;; [unrolled: 4-line block ×3, first 2 shown]
	v_cmp_gt_u32_e64 s[40:41], s66, v211
	v_cmp_gt_u32_e64 s[46:47], s66, v171
	v_cmp_gt_u32_e32 vcc, s66, v212
	v_cndmask_b32_e64 v1, v1, v2, s[40:41]
	v_add_f32_e32 v2, 0x40051340, v10
	v_max_f32_e32 v3, v1, v1
	v_max_f32_e32 v2, v3, v2
	v_cndmask_b32_e64 v1, v1, v2, s[46:47]
	v_add_f32_e32 v2, 0x40051340, v11
	v_max_f32_e32 v3, v1, v1
	v_max_f32_e32 v2, v3, v2
	v_cndmask_b32_e32 v1, v1, v2, vcc
	v_and_b32_e32 v2, 64, v225
	v_add_u32_e32 v2, 64, v2
	v_xor_b32_e32 v3, 32, v225
	v_cmp_lt_i32_e64 s[58:59], v3, v2
	s_mul_i32 s0, s84, s79
	s_mul_hi_u32 s1, s84, s78
	v_cndmask_b32_e64 v3, v225, v3, s[58:59]
	v_lshlrev_b32_e32 v23, 2, v3
	ds_bpermute_b32 v3, v23, v1
	v_max_f32_e32 v1, v1, v1
	s_add_i32 s1, s1, s0
	s_mul_i32 s0, s84, s78
	s_lshl_b64 s[0:1], s[0:1], 2
	s_waitcnt lgkmcnt(0)
	v_max_f32_e32 v3, v3, v3
	v_max_f32_e32 v1, v1, v3
	v_xor_b32_e32 v3, 16, v225
	v_cmp_lt_i32_e64 s[58:59], v3, v2
	s_add_u32 s0, s62, s0
	s_addc_u32 s1, s63, s1
	v_cndmask_b32_e64 v2, v225, v3, s[58:59]
	v_lshlrev_b32_e32 v24, 2, v2
	ds_bpermute_b32 v2, v24, v1
	scratch_store_dwordx4 off, v[234:237], off
	s_and_saveexec_b64 s[56:57], s[6:7]
	s_cbranch_execz .LBB19_222
; %bb.221:                              ;   in Loop: Header=BB19_16 Depth=1
	v_lshl_add_u64 v[12:13], v[66:67], 2, s[0:1]
	v_lshlrev_b32_e32 v16, 2, v46
	v_mov_b32_e32 v17, v49
	v_lshl_add_u64 v[12:13], v[12:13], 0, v[16:17]
	s_mov_b64 s[2:3], 0xc0
	v_lshl_add_u64 v[12:13], v[12:13], 0, s[2:3]
	v_mov_b32_e32 v3, s87
	v_cmp_gt_i32_e64 s[58:59], s66, v47
	s_nop 1
	v_cndmask_b32_e64 v13, v3, v13, s[58:59]
	v_cndmask_b32_e64 v12, v226, v12, s[58:59]
	flat_load_dwordx4 v[16:19], v[12:13]
	s_waitcnt vmcnt(0) lgkmcnt(0)
	ds_write_b128 v139, v[16:19]
.LBB19_222:                             ;   in Loop: Header=BB19_16 Depth=1
	s_or_b64 exec, exec, s[56:57]
	v_lshl_add_u64 v[12:13], v[72:73], 2, s[0:1]
	v_lshl_add_u64 v[12:13], v[12:13], 0, v[48:49]
	;; [unrolled: 1-line block ×3, first 2 shown]
	v_mov_b32_e32 v25, s87
	v_cndmask_b32_e64 v13, v25, v13, s[54:55]
	v_cndmask_b32_e64 v12, v226, v12, s[54:55]
	flat_load_dwordx4 v[16:19], v[12:13]
	s_waitcnt lgkmcnt(0)
	v_max_f32_e32 v22, v2, v2
	v_max_f32_e32 v48, v1, v1
	v_lshl_add_u64 v[92:93], v[70:71], 2, s[0:1]
	v_mov_b32_e32 v15, v49
	v_max_f32_e32 v22, v48, v22
	v_lshl_add_u64 v[92:93], v[92:93], 0, v[14:15]
	v_lshl_add_u64 v[94:95], v[68:69], 2, s[0:1]
	v_sub_f32_e32 v48, v4, v22
	v_sub_f32_e32 v90, v5, v22
	v_cndmask_b32_e64 v5, v25, v93, s[50:51]
	v_cndmask_b32_e64 v4, v226, v92, s[50:51]
	v_lshl_add_u64 v[14:15], v[94:95], 0, v[14:15]
	v_sub_f32_e32 v94, v6, v22
	v_sub_f32_e32 v95, v7, v22
	;; [unrolled: 1-line block ×4, first 2 shown]
	v_cndmask_b32_e64 v9, v25, v15, s[52:53]
	v_cndmask_b32_e64 v8, v226, v14, s[52:53]
	v_mul_f32_e32 v14, 0x3fb8aa3b, v48
	v_mul_f32_e32 v15, 0x3fb8aa3b, v90
	v_fma_f32 v99, v48, s86, -v14
	v_rndne_f32_e32 v100, v14
	v_fma_f32 v101, v90, s86, -v15
	v_rndne_f32_e32 v102, v15
	v_fmac_f32_e32 v99, 0x32a5705f, v48
	v_sub_f32_e32 v14, v14, v100
	v_fmac_f32_e32 v101, 0x32a5705f, v90
	v_sub_f32_e32 v15, v15, v102
	v_add_f32_e32 v14, v14, v99
	v_add_f32_e32 v15, v15, v101
	v_cvt_i32_f32_e32 v100, v100
	v_cvt_i32_f32_e32 v102, v102
	v_exp_f32_e32 v14, v14
	v_exp_f32_e32 v15, v15
	v_sub_f32_e32 v10, v10, v22
	v_mul_f32_e32 v25, 0x3fb8aa3b, v10
	v_ldexp_f32 v99, v14, v100
	v_ldexp_f32 v100, v15, v102
	v_fma_f32 v111, v10, s86, -v25
	v_rndne_f32_e32 v112, v25
	v_sub_f32_e32 v11, v11, v22
	v_fmac_f32_e32 v111, 0x32a5705f, v10
	v_sub_f32_e32 v25, v25, v112
	v_sub_f32_e32 v98, v227, v22
	v_mul_f32_e32 v92, 0x3fb8aa3b, v11
	v_add_f32_e32 v25, v25, v111
	v_mul_f32_e32 v93, 0x3fb8aa3b, v98
	v_fma_f32 v113, v11, s86, -v92
	v_rndne_f32_e32 v114, v92
	v_cvt_i32_f32_e32 v112, v112
	v_exp_f32_e32 v25, v25
	v_cmp_ngt_f32_e64 s[50:51], s33, v48
	v_fma_f32 v115, v98, s86, -v93
	v_rndne_f32_e32 v116, v93
	v_fmac_f32_e32 v113, 0x32a5705f, v11
	v_sub_f32_e32 v92, v92, v114
	v_fmac_f32_e32 v115, 0x32a5705f, v98
	v_sub_f32_e32 v93, v93, v116
	v_add_f32_e32 v92, v92, v113
	v_cvt_i32_f32_e32 v114, v114
	v_add_f32_e32 v93, v93, v115
	v_exp_f32_e32 v92, v92
	v_cvt_i32_f32_e32 v116, v116
	v_exp_f32_e32 v93, v93
	v_mov_b32_e32 v1, s85
	v_mov_b32_e32 v2, s85
	;; [unrolled: 1-line block ×7, first 2 shown]
	s_cmp_lg_u64 s[24:25], 0
	v_readlane_b32 s16, v243, 43
	s_cselect_b64 s[0:1], -1, 0
	v_readlane_b32 s17, v243, 44
	s_and_b64 s[2:3], s[16:17], s[0:1]
	s_waitcnt vmcnt(0)
	ds_write_b128 v138, v[16:19]
	flat_load_dwordx4 v[4:7], v[4:5]
	v_mul_f32_e32 v16, 0x3fb8aa3b, v94
	v_mul_f32_e32 v17, 0x3fb8aa3b, v95
	v_fma_f32 v103, v94, s86, -v16
	v_rndne_f32_e32 v104, v16
	v_fma_f32 v105, v95, s86, -v17
	v_rndne_f32_e32 v106, v17
	v_fmac_f32_e32 v103, 0x32a5705f, v94
	v_sub_f32_e32 v16, v16, v104
	v_fmac_f32_e32 v105, 0x32a5705f, v95
	v_sub_f32_e32 v17, v17, v106
	v_add_f32_e32 v16, v16, v103
	v_add_f32_e32 v17, v17, v105
	v_cvt_i32_f32_e32 v104, v104
	v_cvt_i32_f32_e32 v106, v106
	v_exp_f32_e32 v16, v16
	v_exp_f32_e32 v17, v17
	v_mul_f32_e32 v18, 0x3fb8aa3b, v96
	v_mul_f32_e32 v19, 0x3fb8aa3b, v97
	v_ldexp_f32 v101, v16, v104
	v_ldexp_f32 v102, v17, v106
	v_fma_f32 v107, v96, s86, -v18
	v_rndne_f32_e32 v108, v18
	v_fma_f32 v109, v97, s86, -v19
	v_rndne_f32_e32 v110, v19
	v_fmac_f32_e32 v107, 0x32a5705f, v96
	v_sub_f32_e32 v18, v18, v108
	v_fmac_f32_e32 v109, 0x32a5705f, v97
	v_sub_f32_e32 v19, v19, v110
	v_add_f32_e32 v18, v18, v107
	v_cvt_i32_f32_e32 v108, v108
	v_add_f32_e32 v19, v19, v109
	v_exp_f32_e32 v18, v18
	v_cvt_i32_f32_e32 v110, v110
	v_exp_f32_e32 v19, v19
	v_ldexp_f32 v18, v18, v108
	v_ldexp_f32 v19, v19, v110
	s_waitcnt vmcnt(0) lgkmcnt(0)
	ds_write_b128 v162, v[4:7]
	flat_load_dwordx4 v[14:17], v[8:9]
	v_cndmask_b32_e64 v7, 0, v99, s[50:51]
	v_cmp_ngt_f32_e64 s[50:51], s33, v90
	v_ldexp_f32 v4, v25, v112
	v_ldexp_f32 v5, v92, v114
	v_cndmask_b32_e64 v8, 0, v100, s[50:51]
	v_cmp_ngt_f32_e64 s[50:51], s33, v94
	v_ldexp_f32 v6, v93, v116
	s_waitcnt vmcnt(0) lgkmcnt(0)
	ds_write_b128 v161, v[14:17]
	v_cndmask_b32_e64 v9, 0, v101, s[50:51]
	v_cmp_ngt_f32_e64 s[50:51], s33, v95
	s_waitcnt lgkmcnt(0)
	s_barrier
	v_cndmask_b32_e64 v25, 0, v102, s[50:51]
	v_cmp_ngt_f32_e64 s[50:51], s33, v96
	s_nop 1
	v_cndmask_b32_e64 v18, 0, v18, s[50:51]
	v_cmp_ngt_f32_e64 s[50:51], s33, v97
	s_nop 1
	;; [unrolled: 3-line block ×5, first 2 shown]
	v_cndmask_b32_e64 v6, 0, v6, s[50:51]
	v_cmp_nlt_f32_e64 s[50:51], s77, v48
	s_nop 1
	v_cndmask_b32_e64 v7, v223, v7, s[50:51]
	v_cmp_nlt_f32_e64 s[50:51], s77, v90
	s_nop 1
	;; [unrolled: 3-line block ×3, first 2 shown]
	v_cndmask_b32_e64 v9, v223, v9, s[50:51]
	v_cmp_nlt_f32_e64 s[50:51], s77, v95
	v_cndmask_b32_e64 v8, v2, v9, s[42:43]
	s_nop 0
	v_cndmask_b32_e64 v25, v223, v25, s[50:51]
	v_cmp_nlt_f32_e64 s[50:51], s77, v96
	s_nop 1
	v_cndmask_b32_e64 v18, v223, v18, s[50:51]
	v_cmp_nlt_f32_e64 s[50:51], s77, v97
	v_cndmask_b32_e64 v2, v12, v18, s[36:37]
	v_cndmask_b32_e64 v12, v13, v25, s[44:45]
	;; [unrolled: 1-line block ×3, first 2 shown]
	v_cmp_nlt_f32_e64 s[50:51], s77, v10
	s_nop 1
	v_cndmask_b32_e64 v10, v223, v4, s[50:51]
	v_cmp_nlt_f32_e64 s[50:51], s77, v11
	v_cndmask_b32_e64 v4, v20, v10, s[46:47]
	s_nop 0
	v_cndmask_b32_e64 v5, v223, v5, s[50:51]
	v_cmp_nlt_f32_e64 s[50:51], s77, v98
	v_cndmask_b32_e32 v3, v3, v5, vcc
	s_nop 0
	v_cndmask_b32_e64 v11, v223, v6, s[50:51]
	v_cndmask_b32_e64 v6, 0, v7, s[48:49]
	v_cndmask_b32_e64 v7, v1, v48, s[38:39]
	v_add_f32_e32 v13, v48, v6
	v_cvt_pk_f16_f32 v20, v6, v7
	v_cndmask_b32_e64 v6, v6, v13, s[38:39]
	v_add_f32_e32 v7, v6, v9
	v_cndmask_b32_e64 v6, v6, v7, s[42:43]
	v_add_f32_e32 v7, v6, v25
	v_cndmask_b32_e64 v1, v21, v19, s[40:41]
	s_mov_b32 s50, 0xc1a00000
	v_cvt_pk_f16_f32 v21, v8, v12
	v_cndmask_b32_e64 v12, v6, v7, s[44:45]
	v_cmp_le_f32_e64 s[48:49], s50, v98
	v_add_f32_e32 v13, v18, v12
	v_cndmask_b32_e64 v12, v12, v13, s[36:37]
	v_cndmask_b32_e64 v11, 0, v11, s[48:49]
	v_cvt_f16_f32_e32 v48, v11
	v_add_f32_e32 v13, v19, v12
	v_cndmask_b32_e64 v12, v12, v13, s[40:41]
	v_add_f32_e32 v10, v10, v12
	v_cndmask_b32_e64 v10, v12, v10, s[46:47]
	v_mul_u32_u24_e32 v25, 0x10001, v48
	v_add_f32_e32 v12, v5, v10
	v_pk_mul_f16 v92, v28, v25
	v_cndmask_b32_e32 v28, v10, v12, vcc
	v_pk_mul_f16 v90, v36, v25
	v_fmac_f32_e32 v28, v91, v11
	ds_read_u16 v10, v140 offset:240
	ds_read_u16 v12, v140
	ds_read_u16 v14, v140 offset:32
	ds_read_u16 v16, v140 offset:64
	;; [unrolled: 1-line block ×22, first 2 shown]
	ds_read_u16 v11, v141
	ds_read_u16 v107, v141 offset:32
	ds_read_u16 v108, v141 offset:64
	;; [unrolled: 1-line block ×7, first 2 shown]
	ds_read_u16 v36, v142
	ds_read_u16 v114, v142 offset:32
	ds_read_u16 v115, v142 offset:64
	;; [unrolled: 1-line block ×7, first 2 shown]
	v_pk_mul_f16 v7, v129, v25
	v_pk_mul_f16 v9, v128, v25
	s_waitcnt lgkmcnt(7)
	v_perm_b32 v11, v36, v11, s60
	v_perm_b32 v10, v10, v12, s60
	v_cvt_f32_f16_e32 v6, v7
	v_cvt_f32_f16_sdwa v7, v7 dst_sel:DWORD dst_unused:UNUSED_PAD src0_sel:WORD_1
	v_cvt_f32_f16_e32 v8, v9
	v_cvt_f32_f16_sdwa v9, v9 dst_sel:DWORD dst_unused:UNUSED_PAD src0_sel:WORD_1
	ds_read_u16 v12, v142 offset:7680
	ds_read_u16 v121, v142 offset:7712
	;; [unrolled: 1-line block ×8, first 2 shown]
	v_mfma_f32_16x16x16_f16 v[6:9], v[10:11], v[20:21], v[6:9]
	s_waitcnt lgkmcnt(7)
	v_perm_b32 v13, v12, v13, s60
	ds_read_u16 v10, v140 offset:7920
	ds_read_u16 v128, v140 offset:7952
	;; [unrolled: 1-line block ×8, first 2 shown]
	s_waitcnt lgkmcnt(7)
	v_perm_b32 v12, v10, v15, s60
	v_cvt_f16_f32_e32 v6, v6
	v_cvt_f16_f32_e32 v7, v7
	v_cvt_f16_f32_e32 v8, v8
	v_cvt_f16_f32_e32 v9, v9
	v_cvt_f32_f16_e32 v6, v6
	v_cvt_f32_f16_e32 v7, v7
	;; [unrolled: 1-line block ×4, first 2 shown]
	v_pk_mul_f16 v48, v37, v25
	v_cvt_pk_f16_f32 v37, v4, v3
	v_cvt_pk_f16_f32 v36, v2, v1
	v_perm_b32 v11, v114, v107, s60
	v_perm_b32 v10, v18, v14, s60
	v_mfma_f32_16x16x16_f16 v[2:5], v[12:13], v[36:37], v[6:9]
	v_pk_mul_f16 v33, v33, v25
	v_pk_mul_f16 v29, v29, v25
	v_perm_b32 v15, v115, v108, s60
	v_cvt_f32_f16_e32 v6, v48
	v_cvt_f32_f16_sdwa v7, v48 dst_sel:DWORD dst_unused:UNUSED_PAD src0_sel:WORD_1
	v_cvt_f32_f16_e32 v8, v90
	v_cvt_f32_f16_sdwa v9, v90 dst_sel:DWORD dst_unused:UNUSED_PAD src0_sel:WORD_1
	v_perm_b32 v14, v95, v16, s60
	v_cvt_f32_f16_e32 v12, v29
	v_mfma_f32_16x16x16_f16 v[6:9], v[10:11], v[20:21], v[6:9]
	v_perm_b32 v11, v121, v100, s60
	s_waitcnt lgkmcnt(6)
	v_perm_b32 v10, v128, v94, s60
	v_cvt_f32_f16_sdwa v13, v29 dst_sel:DWORD dst_unused:UNUSED_PAD src0_sel:WORD_1
	v_cvt_f16_f32_e32 v16, v5
	s_nop 2
	v_cvt_f16_f32_e32 v1, v6
	v_cvt_f16_f32_e32 v7, v7
	;; [unrolled: 1-line block ×4, first 2 shown]
	v_cvt_f32_f16_e32 v6, v1
	v_cvt_f32_f16_e32 v7, v7
	;; [unrolled: 1-line block ×4, first 2 shown]
	v_cvt_f16_f32_e32 v1, v4
	v_pk_mul_f16 v32, v32, v25
	v_mfma_f32_16x16x16_f16 v[6:9], v[10:11], v[36:37], v[6:9]
	v_cvt_f32_f16_e32 v10, v33
	v_cvt_f32_f16_sdwa v11, v33 dst_sel:DWORD dst_unused:UNUSED_PAD src0_sel:WORD_1
	v_perm_b32 v1, v16, v1, s60
	v_cvt_f32_f16_e32 v16, v92
	v_mfma_f32_16x16x16_f16 v[10:13], v[14:15], v[20:21], v[10:13]
	v_cvt_f32_f16_e32 v14, v32
	v_cvt_f32_f16_sdwa v15, v32 dst_sel:DWORD dst_unused:UNUSED_PAD src0_sel:WORD_1
	v_pk_mul_f16 v18, v31, v25
	v_pk_mul_f16 v30, v30, v25
	s_nop 3
	v_cvt_f16_f32_e32 v4, v10
	v_cvt_f16_f32_e32 v5, v11
	;; [unrolled: 1-line block ×4, first 2 shown]
	v_cvt_f32_f16_e32 v10, v4
	v_cvt_f32_f16_e32 v11, v5
	v_perm_b32 v5, v122, v101, s60
	s_waitcnt lgkmcnt(4)
	v_perm_b32 v4, v130, v129, s60
	v_cvt_f32_f16_e32 v12, v12
	v_cvt_f32_f16_e32 v13, v13
	v_pk_mul_f16 v31, v34, v25
	v_pk_mul_f16 v34, v35, v25
	v_mfma_f32_16x16x16_f16 v[10:13], v[4:5], v[36:37], v[10:13]
	v_perm_b32 v5, v116, v109, s60
	v_perm_b32 v4, v96, v17, s60
	v_cvt_f32_f16_sdwa v17, v92 dst_sel:DWORD dst_unused:UNUSED_PAD src0_sel:WORD_1
	v_pk_mul_f16 v27, v27, v25
	v_pk_mul_f16 v25, v26, v25
	v_mfma_f32_16x16x16_f16 v[14:17], v[4:5], v[20:21], v[14:17]
	v_cvt_f16_f32_e32 v26, v8
	v_cvt_f16_f32_e32 v32, v9
	v_perm_b32 v9, v123, v102, s60
	v_cvt_f32_f16_sdwa v33, v34 dst_sel:DWORD dst_unused:UNUSED_PAD src0_sel:WORD_1
	s_nop 3
	v_cvt_f16_f32_e32 v8, v16
	v_cvt_f16_f32_e32 v4, v14
	;; [unrolled: 1-line block ×4, first 2 shown]
	v_cvt_f32_f16_e32 v16, v8
	s_waitcnt lgkmcnt(3)
	v_perm_b32 v8, v110, v131, s60
	v_cvt_f32_f16_e32 v14, v4
	v_cvt_f32_f16_e32 v15, v5
	;; [unrolled: 1-line block ×3, first 2 shown]
	v_perm_b32 v4, v32, v26, s60
	v_cvt_f16_f32_e32 v5, v12
	v_cvt_f16_f32_e32 v26, v13
	v_mfma_f32_16x16x16_f16 v[12:15], v[8:9], v[36:37], v[14:17]
	v_perm_b32 v9, v117, v103, s60
	v_perm_b32 v8, v97, v19, s60
	v_cvt_f32_f16_sdwa v19, v30 dst_sel:DWORD dst_unused:UNUSED_PAD src0_sel:WORD_1
	v_cvt_f32_f16_e32 v16, v18
	v_cvt_f32_f16_sdwa v17, v18 dst_sel:DWORD dst_unused:UNUSED_PAD src0_sel:WORD_1
	v_cvt_f32_f16_e32 v18, v30
	v_perm_b32 v5, v26, v5, s60
	s_nop 0
	v_cvt_f16_f32_e32 v26, v14
	v_mfma_f32_16x16x16_f16 v[16:19], v[8:9], v[20:21], v[16:19]
	v_cvt_f16_f32_e32 v96, v15
	v_cvt_f32_f16_e32 v30, v31
	v_cvt_f32_f16_sdwa v31, v31 dst_sel:DWORD dst_unused:UNUSED_PAD src0_sel:WORD_1
	v_cvt_f32_f16_e32 v32, v34
	s_nop 3
	v_cvt_f16_f32_e32 v8, v16
	v_cvt_f16_f32_e32 v9, v17
	v_cvt_f16_f32_e32 v18, v18
	v_cvt_f16_f32_e32 v19, v19
	v_cvt_f32_f16_e32 v16, v8
	v_cvt_f32_f16_e32 v17, v9
	v_perm_b32 v9, v124, v104, s60
	s_waitcnt lgkmcnt(2)
	v_perm_b32 v8, v111, v227, s60
	v_cvt_f32_f16_e32 v18, v18
	v_cvt_f32_f16_e32 v19, v19
	ds_bpermute_b32 v23, v23, v28
	v_cvt_f16_f32_e32 v35, v2
	v_mfma_f32_16x16x16_f16 v[14:17], v[8:9], v[36:37], v[16:19]
	v_perm_b32 v8, v96, v26, s60
	s_waitcnt lgkmcnt(0)
	v_add_f32_e32 v23, v28, v23
	v_perm_b32 v19, v118, v105, s60
	v_perm_b32 v18, v98, v91, s60
	s_nop 2
	v_cvt_f16_f32_e32 v97, v17
	v_cvt_f16_f32_e32 v48, v3
	v_mfma_f32_16x16x16_f16 v[30:33], v[18:19], v[20:21], v[30:33]
	v_cvt_f16_f32_e32 v29, v6
	v_cvt_f16_f32_e32 v90, v7
	v_cvt_f16_f32_e32 v92, v10
	s_nop 4
	v_cvt_f16_f32_e32 v18, v31
	v_cvt_f16_f32_e32 v19, v32
	;; [unrolled: 1-line block ×4, first 2 shown]
	v_cvt_f32_f16_e32 v31, v18
	v_cvt_f32_f16_e32 v32, v19
	v_perm_b32 v19, v125, v119, s60
	v_perm_b32 v18, v112, v228, s60
	v_cvt_f32_f16_e32 v30, v9
	v_cvt_f32_f16_e32 v33, v26
	v_cvt_f16_f32_e32 v9, v16
	v_perm_b32 v26, v99, v93, s60
	v_mfma_f32_16x16x16_f16 v[16:19], v[18:19], v[36:37], v[30:33]
	v_cvt_f16_f32_e32 v94, v11
	v_cvt_f16_f32_e32 v95, v12
	s_nop 0
	v_cvt_f32_f16_e32 v30, v27
	v_cvt_f32_f16_sdwa v31, v27 dst_sel:DWORD dst_unused:UNUSED_PAD src0_sel:WORD_1
	v_perm_b32 v27, v127, v106, s60
	v_cvt_f32_f16_e32 v32, v25
	v_cvt_f32_f16_sdwa v33, v25 dst_sel:DWORD dst_unused:UNUSED_PAD src0_sel:WORD_1
	v_cvt_f16_f32_e32 v25, v18
	v_cvt_f16_f32_e32 v93, v19
	v_mfma_f32_16x16x16_f16 v[18:21], v[26:27], v[20:21], v[30:33]
	v_perm_b32 v27, v126, v120, s60
	v_perm_b32 v26, v113, v229, s60
	v_cvt_f16_f32_e32 v34, v13
	v_cvt_f16_f32_e32 v91, v14
	s_nop 3
	v_cvt_f16_f32_e32 v18, v18
	v_cvt_f16_f32_e32 v19, v19
	;; [unrolled: 1-line block ×4, first 2 shown]
	v_cvt_f32_f16_e32 v18, v18
	v_cvt_f32_f16_e32 v19, v19
	;; [unrolled: 1-line block ×4, first 2 shown]
	v_cvt_f16_f32_e32 v96, v15
	v_cvt_f16_f32_e32 v30, v16
	v_mfma_f32_16x16x16_f16 v[18:21], v[26:27], v[36:37], v[18:21]
	ds_bpermute_b32 v26, v24, v23
	v_cvt_f16_f32_e32 v31, v17
	v_perm_b32 v9, v97, v9, s60
	v_perm_b32 v25, v93, v25, s60
	s_nop 3
	v_cvt_f16_f32_e32 v32, v18
	v_cvt_f16_f32_e32 v20, v20
	;; [unrolled: 1-line block ×4, first 2 shown]
	s_waitcnt lgkmcnt(0)
	v_add_f32_e32 v23, v23, v26
	v_perm_b32 v26, v96, v91, s60
	v_perm_b32 v20, v21, v20, s60
	;; [unrolled: 1-line block ×8, first 2 shown]
	s_barrier
	s_and_saveexec_b64 s[0:1], s[2:3]
	v_readlane_b32 s48, v242, 21
	v_readlane_b32 s49, v242, 22
	s_cbranch_execz .LBB19_224
; %bb.223:                              ;   in Loop: Header=BB19_16 Depth=1
	v_cvt_pk_f16_f32 v6, v6, v7
	v_cvt_pk_f16_f32 v7, v10, v11
	;; [unrolled: 1-line block ×3, first 2 shown]
	global_load_dword v14, v49, s[24:25]
	v_cvt_pk_f16_f32 v3, v2, v3
	v_max_f32_e32 v15, v22, v22
	v_cvt_pk_f16_f32 v10, v12, v13
	v_cvt_pk_f16_f32 v12, v16, v17
	v_cvt_pk_f16_f32 v13, v18, v19
	s_waitcnt vmcnt(0)
	v_max_f32_e32 v2, v14, v14
	v_max_f32_e32 v2, v15, v2
	v_sub_f32_e32 v15, v22, v2
	v_mul_f32_e32 v16, 0x3fb8aa3b, v15
	v_fma_f32 v17, v15, s86, -v16
	v_rndne_f32_e32 v18, v16
	v_fmac_f32_e32 v17, 0x32a5705f, v15
	v_sub_f32_e32 v16, v16, v18
	v_add_f32_e32 v16, v16, v17
	v_exp_f32_e32 v16, v16
	v_cvt_i32_f32_e32 v17, v18
	v_cmp_ngt_f32_e32 vcc, s33, v15
	v_sub_f32_e32 v14, v14, v2
	v_ldexp_f32 v16, v16, v17
	v_cndmask_b32_e32 v16, 0, v16, vcc
	v_cmp_nlt_f32_e32 vcc, s77, v15
	s_nop 1
	v_cndmask_b32_e32 v16, v223, v16, vcc
	v_cmp_le_f32_e32 vcc, s50, v15
	s_nop 1
	v_cndmask_b32_e32 v15, 0, v16, vcc
	v_cvt_f16_f32_e32 v16, v15
	v_cmp_ngt_f32_e32 vcc, s33, v14
	v_mul_u32_u24_e32 v16, 0x10001, v16
	v_pk_mul_f16 v30, v3, v16
	v_mul_f32_e32 v3, 0x3fb8aa3b, v14
	v_pk_mul_f16 v29, v6, v16
	v_pk_mul_f16 v28, v7, v16
	v_fma_f32 v6, v14, s86, -v3
	v_rndne_f32_e32 v7, v3
	v_fmac_f32_e32 v6, 0x32a5705f, v14
	v_sub_f32_e32 v3, v3, v7
	v_add_f32_e32 v3, v3, v6
	v_exp_f32_e32 v3, v3
	v_cvt_i32_f32_e32 v6, v7
	v_pk_mul_f16 v1, v1, v16
	v_pk_mul_f16 v4, v4, v16
	;; [unrolled: 1-line block ×3, first 2 shown]
	v_ldexp_f32 v3, v3, v6
	v_cndmask_b32_e32 v3, 0, v3, vcc
	v_cmp_nlt_f32_e32 vcc, s77, v14
	v_pk_mul_f16 v27, v10, v16
	v_pk_mul_f16 v8, v8, v16
	v_cndmask_b32_e32 v3, v223, v3, vcc
	v_fmac_f32_e32 v3, v23, v15
	v_pk_mul_f16 v26, v11, v16
	v_pk_mul_f16 v9, v9, v16
	;; [unrolled: 1-line block ×6, first 2 shown]
	v_mov_b64_e32 v[22:23], v[2:3]
.LBB19_224:                             ;   in Loop: Header=BB19_16 Depth=1
	s_or_b64 exec, exec, s[0:1]
	s_mov_b64 s[0:1], exec
	v_readlane_b32 s2, v242, 11
	v_readlane_b32 s3, v242, 12
	s_and_b64 s[2:3], s[0:1], s[2:3]
	s_mov_b64 exec, s[2:3]
; %bb.225:                              ;   in Loop: Header=BB19_16 Depth=1
	v_add_u32_e32 v2, 0, v173
	ds_write2_b32 v2, v22, v23 offset0:56 offset1:57
; %bb.226:                              ;   in Loop: Header=BB19_16 Depth=1
	s_or_b64 exec, exec, s[0:1]
	s_waitcnt lgkmcnt(0)
	s_barrier
	s_mov_b64 s[0:1], exec
	v_readlane_b32 s2, v243, 45
	v_readlane_b32 s3, v243, 46
	s_and_b64 s[2:3], s[0:1], s[2:3]
	s_xor_b64 s[0:1], s[2:3], s[0:1]
	s_mov_b64 exec, s[2:3]
	s_cbranch_execz .LBB19_228
; %bb.227:                              ;   in Loop: Header=BB19_16 Depth=1
	s_barrier
                                        ; implicit-def: $vgpr24
.LBB19_228:                             ;   in Loop: Header=BB19_16 Depth=1
	s_andn2_saveexec_b64 s[0:1], s[0:1]
	s_cbranch_execz .LBB19_232
; %bb.229:                              ;   in Loop: Header=BB19_16 Depth=1
	v_add_u32_e32 v6, 0, v174
	ds_read_b64 v[2:3], v6 offset:224
	v_readlane_b32 s18, v242, 13
	v_readlane_b32 s19, v242, 14
	s_waitcnt lgkmcnt(0)
	s_barrier
	ds_bpermute_b32 v7, v24, v2
	v_max_f32_e32 v10, v2, v2
	s_waitcnt lgkmcnt(0)
	v_max_f32_e32 v7, v7, v7
	v_max_f32_e32 v7, v10, v7
	v_sub_f32_e32 v2, v2, v7
	v_mul_f32_e32 v7, 0x3fb8aa3b, v2
	v_fma_f32 v10, v2, s86, -v7
	v_rndne_f32_e32 v11, v7
	v_fmac_f32_e32 v10, 0x32a5705f, v2
	v_sub_f32_e32 v7, v7, v11
	v_add_f32_e32 v7, v7, v10
	v_cvt_i32_f32_e32 v11, v11
	v_exp_f32_e32 v7, v7
	v_cmp_ngt_f32_e32 vcc, s33, v2
	v_ldexp_f32 v7, v7, v11
	s_nop 0
	v_cndmask_b32_e32 v7, 0, v7, vcc
	v_cmp_nlt_f32_e32 vcc, s77, v2
	s_nop 1
	v_cndmask_b32_e32 v2, v223, v7, vcc
	v_mul_f32_e32 v3, v3, v2
	ds_bpermute_b32 v7, v24, v3
	s_and_saveexec_b64 s[2:3], s[18:19]
	s_cbranch_execz .LBB19_231
; %bb.230:                              ;   in Loop: Header=BB19_16 Depth=1
	s_waitcnt lgkmcnt(0)
	v_add_f32_e32 v3, v3, v7
	ds_write_b64 v6, v[2:3] offset:224
.LBB19_231:                             ;   in Loop: Header=BB19_16 Depth=1
	s_or_b64 exec, exec, s[2:3]
.LBB19_232:                             ;   in Loop: Header=BB19_16 Depth=1
	s_or_b64 exec, exec, s[0:1]
	ds_write2_b32 v143, v30, v1 offset1:1
	ds_write2_b32 v143, v29, v4 offset0:8 offset1:9
	ds_write2_b32 v143, v28, v5 offset0:16 offset1:17
	;; [unrolled: 1-line block ×6, first 2 shown]
	s_waitcnt lgkmcnt(0)
	s_barrier
	s_and_saveexec_b64 s[0:1], s[16:17]
	s_cbranch_execz .LBB19_14
; %bb.233:                              ;   in Loop: Header=BB19_16 Depth=1
	v_add_u32_e32 v1, s67, v144
	v_cmp_gt_i32_e32 vcc, s76, v1
	v_mov_b32_e32 v2, 0x47
	s_and_saveexec_b64 s[36:37], vcc
	s_cbranch_execz .LBB19_235
; %bb.234:                              ;   in Loop: Header=BB19_16 Depth=1
	v_add_u32_e32 v6, 0, v176
	v_add_u32_e32 v4, v192, v176
	ds_read2_b32 v[2:3], v6 offset0:56 offset1:57
	ds_read2st64_b32 v[4:5], v4 offset1:15
	ds_read_b32 v6, v6 offset:4064
	v_readlane_b32 s2, v243, 63
	s_waitcnt lgkmcnt(1)
	v_cvt_f32_f16_e32 v10, v4
	v_cvt_f32_f16_sdwa v11, v4 dst_sel:DWORD dst_unused:UNUSED_PAD src0_sel:WORD_1
	v_cvt_f32_f16_e32 v4, v5
	v_cvt_f32_f16_sdwa v5, v5 dst_sel:DWORD dst_unused:UNUSED_PAD src0_sel:WORD_1
	v_mad_u64_u32 v[8:9], s[2:3], v1, s2, v[38:39]
	v_pk_fma_f32 v[10:11], v[2:3], v[10:11], 0 op_sel_hi:[0,1,0]
	s_waitcnt lgkmcnt(0)
	v_pk_fma_f32 v[4:5], v[6:7], v[4:5], v[10:11] op_sel_hi:[0,1,1]
	v_div_scale_f32 v1, s[2:3], v3, v3, v5
	v_rcp_f32_e32 v2, v1
	v_ashrrev_i32_e32 v9, 31, v8
	v_lshl_add_u64 v[8:9], v[8:9], 3, s[26:27]
	v_fma_f32 v6, -v1, v2, 1.0
	v_fmac_f32_e32 v2, v6, v2
	v_div_scale_f32 v6, vcc, v5, v3, v5
	v_mul_f32_e32 v7, v6, v2
	v_fma_f32 v10, -v1, v7, v6
	v_fmac_f32_e32 v7, v10, v2
	v_fma_f32 v1, -v1, v7, v6
	v_div_fmas_f32 v1, v1, v2, v7
	v_div_fixup_f32 v5, v1, v3, v5
	v_div_scale_f32 v1, s[2:3], v3, v3, v4
	v_rcp_f32_e32 v2, v1
	s_nop 0
	v_fma_f32 v6, -v1, v2, 1.0
	v_fmac_f32_e32 v2, v6, v2
	v_div_scale_f32 v6, vcc, v4, v3, v4
	v_mul_f32_e32 v7, v6, v2
	v_fma_f32 v10, -v1, v7, v6
	v_fmac_f32_e32 v7, v10, v2
	v_fma_f32 v1, -v1, v7, v6
	v_div_fmas_f32 v1, v1, v2, v7
	v_div_fixup_f32 v4, v1, v3, v4
	v_mov_b32_e32 v2, 0
	global_store_dwordx2 v[8:9], v[4:5], off
.LBB19_235:                             ;   in Loop: Header=BB19_16 Depth=1
	s_or_b64 exec, exec, s[36:37]
	v_cmp_gt_i32_e32 vcc, s61, v2
	s_mov_b64 s[2:3], -1
	s_and_saveexec_b64 s[36:37], vcc
; %bb.236:                              ;   in Loop: Header=BB19_16 Depth=1
	v_cmp_eq_u32_e32 vcc, 0, v2
	s_orn2_b64 s[2:3], vcc, exec
; %bb.237:                              ;   in Loop: Header=BB19_16 Depth=1
	s_or_b64 exec, exec, s[36:37]
	s_and_saveexec_b64 s[36:37], s[2:3]
	s_cbranch_execz .LBB19_270
; %bb.238:                              ;   in Loop: Header=BB19_16 Depth=1
	v_add_u32_e32 v1, s67, v147
	v_cmp_gt_i32_e32 vcc, s76, v1
	v_mov_b32_e32 v2, 0x47
	s_and_saveexec_b64 s[38:39], vcc
	s_cbranch_execz .LBB19_240
; %bb.239:                              ;   in Loop: Header=BB19_16 Depth=1
	v_add_u32_e32 v6, 0, v177
	v_add_u32_e32 v4, v192, v177
	ds_read2_b32 v[2:3], v6 offset0:56 offset1:57
	ds_read2st64_b32 v[4:5], v4 offset1:15
	ds_read_b32 v6, v6 offset:4064
	v_readlane_b32 s2, v243, 63
	s_waitcnt lgkmcnt(1)
	v_cvt_f32_f16_e32 v10, v4
	v_cvt_f32_f16_sdwa v11, v4 dst_sel:DWORD dst_unused:UNUSED_PAD src0_sel:WORD_1
	v_cvt_f32_f16_e32 v4, v5
	v_cvt_f32_f16_sdwa v5, v5 dst_sel:DWORD dst_unused:UNUSED_PAD src0_sel:WORD_1
	v_mad_u64_u32 v[8:9], s[2:3], v1, s2, v[38:39]
	v_pk_fma_f32 v[10:11], v[2:3], v[10:11], 0 op_sel_hi:[0,1,0]
	s_waitcnt lgkmcnt(0)
	v_pk_fma_f32 v[4:5], v[6:7], v[4:5], v[10:11] op_sel_hi:[0,1,1]
	v_div_scale_f32 v1, s[2:3], v3, v3, v5
	v_rcp_f32_e32 v2, v1
	v_ashrrev_i32_e32 v9, 31, v8
	v_lshl_add_u64 v[8:9], v[8:9], 3, s[26:27]
	v_fma_f32 v6, -v1, v2, 1.0
	v_fmac_f32_e32 v2, v6, v2
	v_div_scale_f32 v6, vcc, v5, v3, v5
	v_mul_f32_e32 v7, v6, v2
	v_fma_f32 v10, -v1, v7, v6
	v_fmac_f32_e32 v7, v10, v2
	v_fma_f32 v1, -v1, v7, v6
	v_div_fmas_f32 v1, v1, v2, v7
	v_div_fixup_f32 v5, v1, v3, v5
	v_div_scale_f32 v1, s[2:3], v3, v3, v4
	v_rcp_f32_e32 v2, v1
	s_nop 0
	v_fma_f32 v6, -v1, v2, 1.0
	v_fmac_f32_e32 v2, v6, v2
	v_div_scale_f32 v6, vcc, v4, v3, v4
	v_mul_f32_e32 v7, v6, v2
	v_fma_f32 v10, -v1, v7, v6
	v_fmac_f32_e32 v7, v10, v2
	v_fma_f32 v1, -v1, v7, v6
	v_div_fmas_f32 v1, v1, v2, v7
	v_div_fixup_f32 v4, v1, v3, v4
	v_mov_b32_e32 v2, 0
	global_store_dwordx2 v[8:9], v[4:5], off
.LBB19_240:                             ;   in Loop: Header=BB19_16 Depth=1
	s_or_b64 exec, exec, s[38:39]
	v_cmp_gt_i32_e32 vcc, s61, v2
	s_mov_b64 s[2:3], -1
	s_and_saveexec_b64 s[38:39], vcc
; %bb.241:                              ;   in Loop: Header=BB19_16 Depth=1
	v_cmp_eq_u32_e32 vcc, 0, v2
	s_orn2_b64 s[2:3], vcc, exec
; %bb.242:                              ;   in Loop: Header=BB19_16 Depth=1
	s_or_b64 exec, exec, s[38:39]
	s_and_b64 exec, exec, s[2:3]
	s_cbranch_execz .LBB19_270
; %bb.243:                              ;   in Loop: Header=BB19_16 Depth=1
	v_add_u32_e32 v1, s67, v148
	v_cmp_gt_i32_e32 vcc, s76, v1
	v_mov_b32_e32 v2, 0x47
	s_and_saveexec_b64 s[38:39], vcc
	s_cbranch_execz .LBB19_245
; %bb.244:                              ;   in Loop: Header=BB19_16 Depth=1
	v_add_u32_e32 v6, 0, v178
	v_add_u32_e32 v4, v192, v178
	ds_read2_b32 v[2:3], v6 offset0:56 offset1:57
	ds_read2st64_b32 v[4:5], v4 offset1:15
	ds_read_b32 v6, v6 offset:4064
	v_readlane_b32 s2, v243, 63
	s_waitcnt lgkmcnt(1)
	v_cvt_f32_f16_e32 v10, v4
	v_cvt_f32_f16_sdwa v11, v4 dst_sel:DWORD dst_unused:UNUSED_PAD src0_sel:WORD_1
	v_cvt_f32_f16_e32 v4, v5
	v_cvt_f32_f16_sdwa v5, v5 dst_sel:DWORD dst_unused:UNUSED_PAD src0_sel:WORD_1
	v_mad_u64_u32 v[8:9], s[2:3], v1, s2, v[38:39]
	v_pk_fma_f32 v[10:11], v[2:3], v[10:11], 0 op_sel_hi:[0,1,0]
	s_waitcnt lgkmcnt(0)
	v_pk_fma_f32 v[4:5], v[6:7], v[4:5], v[10:11] op_sel_hi:[0,1,1]
	v_div_scale_f32 v1, s[2:3], v3, v3, v5
	v_rcp_f32_e32 v2, v1
	v_ashrrev_i32_e32 v9, 31, v8
	v_lshl_add_u64 v[8:9], v[8:9], 3, s[26:27]
	v_fma_f32 v6, -v1, v2, 1.0
	v_fmac_f32_e32 v2, v6, v2
	v_div_scale_f32 v6, vcc, v5, v3, v5
	v_mul_f32_e32 v7, v6, v2
	v_fma_f32 v10, -v1, v7, v6
	v_fmac_f32_e32 v7, v10, v2
	v_fma_f32 v1, -v1, v7, v6
	v_div_fmas_f32 v1, v1, v2, v7
	v_div_fixup_f32 v5, v1, v3, v5
	v_div_scale_f32 v1, s[2:3], v3, v3, v4
	v_rcp_f32_e32 v2, v1
	s_nop 0
	v_fma_f32 v6, -v1, v2, 1.0
	v_fmac_f32_e32 v2, v6, v2
	v_div_scale_f32 v6, vcc, v4, v3, v4
	v_mul_f32_e32 v7, v6, v2
	v_fma_f32 v10, -v1, v7, v6
	v_fmac_f32_e32 v7, v10, v2
	v_fma_f32 v1, -v1, v7, v6
	v_div_fmas_f32 v1, v1, v2, v7
	v_div_fixup_f32 v4, v1, v3, v4
	v_mov_b32_e32 v2, 0
	global_store_dwordx2 v[8:9], v[4:5], off
.LBB19_245:                             ;   in Loop: Header=BB19_16 Depth=1
	s_or_b64 exec, exec, s[38:39]
	v_cmp_gt_i32_e32 vcc, s61, v2
	s_mov_b64 s[2:3], -1
	s_and_saveexec_b64 s[38:39], vcc
; %bb.246:                              ;   in Loop: Header=BB19_16 Depth=1
	v_cmp_eq_u32_e32 vcc, 0, v2
	s_orn2_b64 s[2:3], vcc, exec
; %bb.247:                              ;   in Loop: Header=BB19_16 Depth=1
	s_or_b64 exec, exec, s[38:39]
	s_and_b64 exec, exec, s[2:3]
	;; [unrolled: 61-line block ×6, first 2 shown]
	s_cbranch_execz .LBB19_270
; %bb.268:                              ;   in Loop: Header=BB19_16 Depth=1
	v_add_u32_e32 v1, s67, v153
	v_cmp_gt_i32_e32 vcc, s76, v1
	s_and_b64 exec, exec, vcc
	s_cbranch_execz .LBB19_270
; %bb.269:                              ;   in Loop: Header=BB19_16 Depth=1
	v_add_u32_e32 v6, 0, v183
	v_add_u32_e32 v4, v192, v183
	ds_read2_b32 v[2:3], v6 offset0:56 offset1:57
	ds_read2st64_b32 v[4:5], v4 offset1:15
	ds_read_b32 v6, v6 offset:4064
	v_readlane_b32 s2, v243, 63
	s_waitcnt lgkmcnt(1)
	v_cvt_f32_f16_e32 v10, v4
	v_cvt_f32_f16_sdwa v11, v4 dst_sel:DWORD dst_unused:UNUSED_PAD src0_sel:WORD_1
	v_cvt_f32_f16_e32 v4, v5
	v_cvt_f32_f16_sdwa v5, v5 dst_sel:DWORD dst_unused:UNUSED_PAD src0_sel:WORD_1
	v_mad_u64_u32 v[8:9], s[2:3], v1, s2, v[38:39]
	v_pk_fma_f32 v[10:11], v[2:3], v[10:11], 0 op_sel_hi:[0,1,0]
	s_waitcnt lgkmcnt(0)
	v_pk_fma_f32 v[4:5], v[6:7], v[4:5], v[10:11] op_sel_hi:[0,1,1]
	v_div_scale_f32 v1, s[2:3], v3, v3, v5
	v_rcp_f32_e32 v2, v1
	v_ashrrev_i32_e32 v9, 31, v8
	v_lshl_add_u64 v[8:9], v[8:9], 3, s[26:27]
	v_fma_f32 v6, -v1, v2, 1.0
	v_fmac_f32_e32 v2, v6, v2
	v_div_scale_f32 v6, vcc, v5, v3, v5
	v_mul_f32_e32 v7, v6, v2
	v_fma_f32 v10, -v1, v7, v6
	v_fmac_f32_e32 v7, v10, v2
	v_fma_f32 v1, -v1, v7, v6
	v_div_fmas_f32 v1, v1, v2, v7
	v_div_fixup_f32 v5, v1, v3, v5
	v_div_scale_f32 v1, s[2:3], v3, v3, v4
	v_rcp_f32_e32 v2, v1
	s_nop 0
	v_fma_f32 v6, -v1, v2, 1.0
	v_fmac_f32_e32 v2, v6, v2
	v_div_scale_f32 v6, vcc, v4, v3, v4
	v_mul_f32_e32 v7, v6, v2
	v_fma_f32 v10, -v1, v7, v6
	v_fmac_f32_e32 v7, v10, v2
	v_fma_f32 v1, -v1, v7, v6
	v_div_fmas_f32 v1, v1, v2, v7
	v_div_fixup_f32 v4, v1, v3, v4
	global_store_dwordx2 v[8:9], v[4:5], off
.LBB19_270:                             ;   in Loop: Header=BB19_16 Depth=1
	s_or_b64 exec, exec, s[36:37]
	v_add_u32_e32 v2, s67, v145
	v_cmp_gt_i32_e32 vcc, s76, v2
	v_mov_b32_e32 v1, 0x47
	s_and_saveexec_b64 s[36:37], vcc
	s_cbranch_execz .LBB19_272
; %bb.271:                              ;   in Loop: Header=BB19_16 Depth=1
	v_add_u32_e32 v3, v193, v184
	v_add_u32_e32 v1, 0, v184
	;; [unrolled: 1-line block ×3, first 2 shown]
	ds_read2_b32 v[4:5], v1 offset0:56 offset1:57
	ds_read2st64_b32 v[6:7], v3 offset1:15
	ds_read_b32 v8, v1 offset:4064
	v_readlane_b32 s2, v243, 63
	s_waitcnt lgkmcnt(1)
	v_cvt_f32_f16_e32 v10, v6
	v_cvt_f32_f16_sdwa v11, v6 dst_sel:DWORD dst_unused:UNUSED_PAD src0_sel:WORD_1
	v_cvt_f32_f16_e32 v6, v7
	v_cvt_f32_f16_sdwa v7, v7 dst_sel:DWORD dst_unused:UNUSED_PAD src0_sel:WORD_1
	v_mul_lo_u32 v2, v2, s2
	v_pk_fma_f32 v[10:11], v[4:5], v[10:11], 0 op_sel_hi:[0,1,0]
	v_ashrrev_i32_e32 v3, 31, v2
	s_waitcnt lgkmcnt(0)
	v_pk_fma_f32 v[6:7], v[8:9], v[6:7], v[10:11] op_sel_hi:[0,1,1]
	v_div_scale_f32 v1, s[2:3], v5, v5, v7
	v_rcp_f32_e32 v4, v1
	v_lshl_add_u64 v[2:3], v[2:3], 0, v[40:41]
	v_lshl_add_u64 v[2:3], v[2:3], 3, s[26:27]
	v_fma_f32 v8, -v1, v4, 1.0
	v_fmac_f32_e32 v4, v8, v4
	v_div_scale_f32 v8, vcc, v7, v5, v7
	v_mul_f32_e32 v9, v8, v4
	v_fma_f32 v10, -v1, v9, v8
	v_fmac_f32_e32 v9, v10, v4
	v_fma_f32 v1, -v1, v9, v8
	v_div_fmas_f32 v1, v1, v4, v9
	v_div_fixup_f32 v7, v1, v5, v7
	v_div_scale_f32 v1, s[2:3], v5, v5, v6
	v_rcp_f32_e32 v4, v1
	s_nop 0
	v_fma_f32 v8, -v1, v4, 1.0
	v_fmac_f32_e32 v4, v8, v4
	v_div_scale_f32 v8, vcc, v6, v5, v6
	v_mul_f32_e32 v9, v8, v4
	v_fma_f32 v10, -v1, v9, v8
	v_fmac_f32_e32 v9, v10, v4
	v_fma_f32 v1, -v1, v9, v8
	v_div_fmas_f32 v1, v1, v4, v9
	v_div_fixup_f32 v6, v1, v5, v6
	v_mov_b32_e32 v1, 0
	global_store_dwordx2 v[2:3], v[6:7], off offset:256
.LBB19_272:                             ;   in Loop: Header=BB19_16 Depth=1
	s_or_b64 exec, exec, s[36:37]
	v_cmp_gt_i32_e32 vcc, s61, v1
	s_mov_b64 s[2:3], -1
	s_and_saveexec_b64 s[36:37], vcc
; %bb.273:                              ;   in Loop: Header=BB19_16 Depth=1
	v_cmp_eq_u32_e32 vcc, 0, v1
	s_orn2_b64 s[2:3], vcc, exec
; %bb.274:                              ;   in Loop: Header=BB19_16 Depth=1
	s_or_b64 exec, exec, s[36:37]
	s_and_saveexec_b64 s[36:37], s[2:3]
	s_cbranch_execz .LBB19_287
; %bb.275:                              ;   in Loop: Header=BB19_16 Depth=1
	v_add_u32_e32 v2, s67, v154
	v_cmp_gt_i32_e32 vcc, s76, v2
	v_mov_b32_e32 v1, 0x47
	s_and_saveexec_b64 s[38:39], vcc
	s_cbranch_execz .LBB19_277
; %bb.276:                              ;   in Loop: Header=BB19_16 Depth=1
	v_add_u32_e32 v3, v193, v185
	v_add_u32_e32 v1, 0, v185
	;; [unrolled: 1-line block ×3, first 2 shown]
	ds_read2_b32 v[4:5], v1 offset0:56 offset1:57
	ds_read2st64_b32 v[6:7], v3 offset1:15
	ds_read_b32 v8, v1 offset:4064
	v_readlane_b32 s2, v243, 63
	s_waitcnt lgkmcnt(1)
	v_cvt_f32_f16_e32 v10, v6
	v_cvt_f32_f16_sdwa v11, v6 dst_sel:DWORD dst_unused:UNUSED_PAD src0_sel:WORD_1
	v_cvt_f32_f16_e32 v6, v7
	v_cvt_f32_f16_sdwa v7, v7 dst_sel:DWORD dst_unused:UNUSED_PAD src0_sel:WORD_1
	v_mul_lo_u32 v2, v2, s2
	v_pk_fma_f32 v[10:11], v[4:5], v[10:11], 0 op_sel_hi:[0,1,0]
	v_ashrrev_i32_e32 v3, 31, v2
	s_waitcnt lgkmcnt(0)
	v_pk_fma_f32 v[6:7], v[8:9], v[6:7], v[10:11] op_sel_hi:[0,1,1]
	v_div_scale_f32 v1, s[2:3], v5, v5, v7
	v_rcp_f32_e32 v4, v1
	v_lshl_add_u64 v[2:3], v[2:3], 0, v[40:41]
	v_lshl_add_u64 v[2:3], v[2:3], 3, s[26:27]
	v_fma_f32 v8, -v1, v4, 1.0
	v_fmac_f32_e32 v4, v8, v4
	v_div_scale_f32 v8, vcc, v7, v5, v7
	v_mul_f32_e32 v9, v8, v4
	v_fma_f32 v10, -v1, v9, v8
	v_fmac_f32_e32 v9, v10, v4
	v_fma_f32 v1, -v1, v9, v8
	v_div_fmas_f32 v1, v1, v4, v9
	v_div_fixup_f32 v7, v1, v5, v7
	v_div_scale_f32 v1, s[2:3], v5, v5, v6
	v_rcp_f32_e32 v4, v1
	s_nop 0
	v_fma_f32 v8, -v1, v4, 1.0
	v_fmac_f32_e32 v4, v8, v4
	v_div_scale_f32 v8, vcc, v6, v5, v6
	v_mul_f32_e32 v9, v8, v4
	v_fma_f32 v10, -v1, v9, v8
	v_fmac_f32_e32 v9, v10, v4
	v_fma_f32 v1, -v1, v9, v8
	v_div_fmas_f32 v1, v1, v4, v9
	v_div_fixup_f32 v6, v1, v5, v6
	v_mov_b32_e32 v1, 0
	global_store_dwordx2 v[2:3], v[6:7], off offset:256
.LBB19_277:                             ;   in Loop: Header=BB19_16 Depth=1
	s_or_b64 exec, exec, s[38:39]
	v_cmp_gt_i32_e32 vcc, s61, v1
	s_mov_b64 s[2:3], -1
	s_and_saveexec_b64 s[38:39], vcc
; %bb.278:                              ;   in Loop: Header=BB19_16 Depth=1
	v_cmp_eq_u32_e32 vcc, 0, v1
	s_orn2_b64 s[2:3], vcc, exec
; %bb.279:                              ;   in Loop: Header=BB19_16 Depth=1
	s_or_b64 exec, exec, s[38:39]
	s_and_b64 exec, exec, s[2:3]
	s_cbranch_execz .LBB19_287
; %bb.280:                              ;   in Loop: Header=BB19_16 Depth=1
	v_add_u32_e32 v2, s67, v155
	v_cmp_gt_i32_e32 vcc, s76, v2
	v_mov_b32_e32 v1, 0x47
	s_and_saveexec_b64 s[38:39], vcc
	s_cbranch_execz .LBB19_282
; %bb.281:                              ;   in Loop: Header=BB19_16 Depth=1
	v_add_u32_e32 v3, v193, v186
	v_add_u32_e32 v1, 0, v186
	;; [unrolled: 1-line block ×3, first 2 shown]
	ds_read2_b32 v[4:5], v1 offset0:56 offset1:57
	ds_read2st64_b32 v[6:7], v3 offset1:15
	ds_read_b32 v8, v1 offset:4064
	v_readlane_b32 s2, v243, 63
	s_waitcnt lgkmcnt(1)
	v_cvt_f32_f16_e32 v10, v6
	v_cvt_f32_f16_sdwa v11, v6 dst_sel:DWORD dst_unused:UNUSED_PAD src0_sel:WORD_1
	v_cvt_f32_f16_e32 v6, v7
	v_cvt_f32_f16_sdwa v7, v7 dst_sel:DWORD dst_unused:UNUSED_PAD src0_sel:WORD_1
	v_mul_lo_u32 v2, v2, s2
	v_pk_fma_f32 v[10:11], v[4:5], v[10:11], 0 op_sel_hi:[0,1,0]
	v_ashrrev_i32_e32 v3, 31, v2
	s_waitcnt lgkmcnt(0)
	v_pk_fma_f32 v[6:7], v[8:9], v[6:7], v[10:11] op_sel_hi:[0,1,1]
	v_div_scale_f32 v1, s[2:3], v5, v5, v7
	v_rcp_f32_e32 v4, v1
	v_lshl_add_u64 v[2:3], v[2:3], 0, v[40:41]
	v_lshl_add_u64 v[2:3], v[2:3], 3, s[26:27]
	v_fma_f32 v8, -v1, v4, 1.0
	v_fmac_f32_e32 v4, v8, v4
	v_div_scale_f32 v8, vcc, v7, v5, v7
	v_mul_f32_e32 v9, v8, v4
	v_fma_f32 v10, -v1, v9, v8
	v_fmac_f32_e32 v9, v10, v4
	v_fma_f32 v1, -v1, v9, v8
	v_div_fmas_f32 v1, v1, v4, v9
	v_div_fixup_f32 v7, v1, v5, v7
	v_div_scale_f32 v1, s[2:3], v5, v5, v6
	v_rcp_f32_e32 v4, v1
	s_nop 0
	v_fma_f32 v8, -v1, v4, 1.0
	v_fmac_f32_e32 v4, v8, v4
	v_div_scale_f32 v8, vcc, v6, v5, v6
	v_mul_f32_e32 v9, v8, v4
	v_fma_f32 v10, -v1, v9, v8
	v_fmac_f32_e32 v9, v10, v4
	v_fma_f32 v1, -v1, v9, v8
	v_div_fmas_f32 v1, v1, v4, v9
	v_div_fixup_f32 v6, v1, v5, v6
	v_mov_b32_e32 v1, 0
	global_store_dwordx2 v[2:3], v[6:7], off offset:256
.LBB19_282:                             ;   in Loop: Header=BB19_16 Depth=1
	s_or_b64 exec, exec, s[38:39]
	v_cmp_gt_i32_e32 vcc, s61, v1
	s_mov_b64 s[2:3], -1
	s_and_saveexec_b64 s[38:39], vcc
; %bb.283:                              ;   in Loop: Header=BB19_16 Depth=1
	v_cmp_eq_u32_e32 vcc, 0, v1
	s_orn2_b64 s[2:3], vcc, exec
; %bb.284:                              ;   in Loop: Header=BB19_16 Depth=1
	s_or_b64 exec, exec, s[38:39]
	s_and_b64 exec, exec, s[2:3]
	s_cbranch_execz .LBB19_287
; %bb.285:                              ;   in Loop: Header=BB19_16 Depth=1
	v_add_u32_e32 v1, s67, v156
	v_cmp_gt_i32_e32 vcc, s76, v1
	s_and_b64 exec, exec, vcc
	s_cbranch_execz .LBB19_287
; %bb.286:                              ;   in Loop: Header=BB19_16 Depth=1
	v_readlane_b32 s2, v243, 63
	v_add_u32_e32 v3, v193, v187
	v_add_u32_e32 v3, 0x80, v3
	v_mul_lo_u32 v2, v1, s2
	v_add_u32_e32 v1, 0, v187
	ds_read2_b32 v[4:5], v1 offset0:56 offset1:57
	ds_read2st64_b32 v[6:7], v3 offset1:15
	ds_read_b32 v8, v1 offset:4064
	v_ashrrev_i32_e32 v3, 31, v2
	v_lshl_add_u64 v[2:3], v[2:3], 0, v[40:41]
	v_lshl_add_u64 v[2:3], v[2:3], 3, s[26:27]
	s_waitcnt lgkmcnt(1)
	v_cvt_f32_f16_e32 v10, v6
	v_cvt_f32_f16_sdwa v11, v6 dst_sel:DWORD dst_unused:UNUSED_PAD src0_sel:WORD_1
	v_cvt_f32_f16_e32 v6, v7
	v_cvt_f32_f16_sdwa v7, v7 dst_sel:DWORD dst_unused:UNUSED_PAD src0_sel:WORD_1
	v_pk_fma_f32 v[10:11], v[4:5], v[10:11], 0 op_sel_hi:[0,1,0]
	s_waitcnt lgkmcnt(0)
	v_pk_fma_f32 v[6:7], v[8:9], v[6:7], v[10:11] op_sel_hi:[0,1,1]
	v_div_scale_f32 v1, s[2:3], v5, v5, v7
	v_rcp_f32_e32 v4, v1
	s_nop 0
	v_fma_f32 v8, -v1, v4, 1.0
	v_fmac_f32_e32 v4, v8, v4
	v_div_scale_f32 v8, vcc, v7, v5, v7
	v_mul_f32_e32 v9, v8, v4
	v_fma_f32 v10, -v1, v9, v8
	v_fmac_f32_e32 v9, v10, v4
	v_fma_f32 v1, -v1, v9, v8
	v_div_fmas_f32 v1, v1, v4, v9
	v_div_fixup_f32 v7, v1, v5, v7
	v_div_scale_f32 v1, s[2:3], v5, v5, v6
	v_rcp_f32_e32 v4, v1
	s_nop 0
	v_fma_f32 v8, -v1, v4, 1.0
	v_fmac_f32_e32 v4, v8, v4
	v_div_scale_f32 v8, vcc, v6, v5, v6
	v_mul_f32_e32 v9, v8, v4
	v_fma_f32 v10, -v1, v9, v8
	v_fmac_f32_e32 v9, v10, v4
	v_fma_f32 v1, -v1, v9, v8
	v_div_fmas_f32 v1, v1, v4, v9
	v_div_fixup_f32 v6, v1, v5, v6
	global_store_dwordx2 v[2:3], v[6:7], off offset:256
.LBB19_287:                             ;   in Loop: Header=BB19_16 Depth=1
	s_or_b64 exec, exec, s[36:37]
	v_add_u32_e32 v2, s67, v146
	v_cmp_gt_i32_e32 vcc, s76, v2
	v_mov_b32_e32 v1, 0x47
	s_and_saveexec_b64 s[36:37], vcc
	s_cbranch_execz .LBB19_289
; %bb.288:                              ;   in Loop: Header=BB19_16 Depth=1
	v_add_u32_e32 v3, v175, v188
	v_add_u32_e32 v1, 0, v188
	;; [unrolled: 1-line block ×3, first 2 shown]
	ds_read2_b32 v[4:5], v1 offset0:56 offset1:57
	ds_read2st64_b32 v[6:7], v3 offset1:15
	ds_read_b32 v8, v1 offset:4064
	v_readlane_b32 s2, v243, 63
	s_waitcnt lgkmcnt(1)
	v_cvt_f32_f16_e32 v10, v6
	v_cvt_f32_f16_sdwa v11, v6 dst_sel:DWORD dst_unused:UNUSED_PAD src0_sel:WORD_1
	v_cvt_f32_f16_e32 v6, v7
	v_cvt_f32_f16_sdwa v7, v7 dst_sel:DWORD dst_unused:UNUSED_PAD src0_sel:WORD_1
	v_mul_lo_u32 v2, v2, s2
	v_pk_fma_f32 v[10:11], v[4:5], v[10:11], 0 op_sel_hi:[0,1,0]
	v_ashrrev_i32_e32 v3, 31, v2
	s_waitcnt lgkmcnt(0)
	v_pk_fma_f32 v[6:7], v[8:9], v[6:7], v[10:11] op_sel_hi:[0,1,1]
	v_div_scale_f32 v1, s[2:3], v5, v5, v7
	v_rcp_f32_e32 v4, v1
	v_lshl_add_u64 v[2:3], v[2:3], 0, v[54:55]
	v_lshl_add_u64 v[2:3], v[2:3], 3, s[26:27]
	v_fma_f32 v8, -v1, v4, 1.0
	v_fmac_f32_e32 v4, v8, v4
	v_div_scale_f32 v8, vcc, v7, v5, v7
	v_mul_f32_e32 v9, v8, v4
	v_fma_f32 v10, -v1, v9, v8
	v_fmac_f32_e32 v9, v10, v4
	v_fma_f32 v1, -v1, v9, v8
	v_div_fmas_f32 v1, v1, v4, v9
	v_div_fixup_f32 v7, v1, v5, v7
	v_div_scale_f32 v1, s[2:3], v5, v5, v6
	v_rcp_f32_e32 v4, v1
	s_nop 0
	v_fma_f32 v8, -v1, v4, 1.0
	v_fmac_f32_e32 v4, v8, v4
	v_div_scale_f32 v8, vcc, v6, v5, v6
	v_mul_f32_e32 v9, v8, v4
	v_fma_f32 v10, -v1, v9, v8
	v_fmac_f32_e32 v9, v10, v4
	v_fma_f32 v1, -v1, v9, v8
	v_div_fmas_f32 v1, v1, v4, v9
	v_div_fixup_f32 v6, v1, v5, v6
	v_mov_b32_e32 v1, 0
	global_store_dwordx2 v[2:3], v[6:7], off offset:384
.LBB19_289:                             ;   in Loop: Header=BB19_16 Depth=1
	s_or_b64 exec, exec, s[36:37]
	v_cmp_gt_i32_e32 vcc, s61, v1
	s_mov_b64 s[2:3], -1
	s_and_saveexec_b64 s[36:37], vcc
; %bb.290:                              ;   in Loop: Header=BB19_16 Depth=1
	v_cmp_eq_u32_e32 vcc, 0, v1
	s_orn2_b64 s[2:3], vcc, exec
; %bb.291:                              ;   in Loop: Header=BB19_16 Depth=1
	s_or_b64 exec, exec, s[36:37]
	s_and_b64 exec, exec, s[2:3]
	s_cbranch_execz .LBB19_14
; %bb.292:                              ;   in Loop: Header=BB19_16 Depth=1
	v_add_u32_e32 v1, s67, v157
	v_cmp_gt_i32_e32 vcc, s76, v1
	s_and_b64 exec, exec, vcc
	s_cbranch_execz .LBB19_14
; %bb.293:                              ;   in Loop: Header=BB19_16 Depth=1
	v_readlane_b32 s2, v243, 63
	v_add_u32_e32 v3, v175, v189
	v_add_u32_e32 v3, 0xc0, v3
	v_mul_lo_u32 v2, v1, s2
	v_add_u32_e32 v1, 0, v189
	ds_read2_b32 v[4:5], v1 offset0:56 offset1:57
	ds_read2st64_b32 v[6:7], v3 offset1:15
	ds_read_b32 v8, v1 offset:4064
	v_ashrrev_i32_e32 v3, 31, v2
	v_lshl_add_u64 v[2:3], v[2:3], 0, v[54:55]
	v_lshl_add_u64 v[2:3], v[2:3], 3, s[26:27]
	s_waitcnt lgkmcnt(1)
	v_cvt_f32_f16_e32 v10, v6
	v_cvt_f32_f16_sdwa v11, v6 dst_sel:DWORD dst_unused:UNUSED_PAD src0_sel:WORD_1
	v_cvt_f32_f16_e32 v6, v7
	v_cvt_f32_f16_sdwa v7, v7 dst_sel:DWORD dst_unused:UNUSED_PAD src0_sel:WORD_1
	v_pk_fma_f32 v[10:11], v[4:5], v[10:11], 0 op_sel_hi:[0,1,0]
	s_waitcnt lgkmcnt(0)
	v_pk_fma_f32 v[6:7], v[8:9], v[6:7], v[10:11] op_sel_hi:[0,1,1]
	v_div_scale_f32 v1, s[2:3], v5, v5, v7
	v_rcp_f32_e32 v4, v1
	s_nop 0
	v_fma_f32 v8, -v1, v4, 1.0
	v_fmac_f32_e32 v4, v8, v4
	v_div_scale_f32 v8, vcc, v7, v5, v7
	v_mul_f32_e32 v9, v8, v4
	v_fma_f32 v10, -v1, v9, v8
	v_fmac_f32_e32 v9, v10, v4
	v_fma_f32 v1, -v1, v9, v8
	v_div_fmas_f32 v1, v1, v4, v9
	v_div_fixup_f32 v7, v1, v5, v7
	v_div_scale_f32 v1, s[2:3], v5, v5, v6
	v_rcp_f32_e32 v4, v1
	s_nop 0
	v_fma_f32 v8, -v1, v4, 1.0
	v_fmac_f32_e32 v4, v8, v4
	v_div_scale_f32 v8, vcc, v6, v5, v6
	v_mul_f32_e32 v9, v8, v4
	v_fma_f32 v10, -v1, v9, v8
	v_fmac_f32_e32 v9, v10, v4
	v_fma_f32 v1, -v1, v9, v8
	v_div_fmas_f32 v1, v1, v4, v9
	v_div_fixup_f32 v6, v1, v5, v6
	global_store_dwordx2 v[2:3], v[6:7], off offset:384
	s_branch .LBB19_14
.LBB19_294:
	v_readlane_b32 s16, v243, 26
	v_readlane_b32 s36, v243, 57
	;; [unrolled: 1-line block ×26, first 2 shown]
	s_andn2_b64 vcc, exec, s[0:1]
	s_cbranch_vccnz .LBB19_12
.LBB19_295:
	v_readlane_b32 s7, v243, 7
	s_abs_i32 s0, s7
	v_cvt_f32_u32_e32 v1, s0
	s_sub_i32 s3, 0, s0
	s_abs_i32 s2, s46
	s_xor_b32 s1, s46, s7
	v_rcp_iflag_f32_e32 v1, v1
	s_ashr_i32 s1, s1, 31
	v_readlane_b32 s8, v243, 6
	v_readlane_b32 s9, v243, 3
	v_mul_f32_e32 v1, 0x4f7ffffe, v1
	v_cvt_u32_f32_e32 v1, v1
	s_nop 0
	v_readfirstlane_b32 s4, v1
	s_mul_i32 s3, s3, s4
	s_mul_hi_u32 s3, s4, s3
	s_add_i32 s4, s4, s3
	s_mul_hi_u32 s3, s2, s4
	s_mul_i32 s4, s3, s0
	s_sub_i32 s2, s2, s4
	s_add_i32 s5, s3, 1
	s_sub_i32 s4, s2, s0
	s_cmp_ge_u32 s2, s0
	s_cselect_b32 s3, s5, s3
	s_cselect_b32 s2, s4, s2
	s_add_i32 s4, s3, 1
	s_cmp_ge_u32 s2, s0
	s_cselect_b32 s0, s4, s3
	s_abs_i32 s2, s8
	v_cvt_f32_u32_e32 v1, s2
	s_xor_b32 s0, s0, s1
	s_sub_i32 s3, 0, s2
	s_sub_i32 s6, s0, s1
	v_rcp_iflag_f32_e32 v1, v1
	s_mul_i32 s0, s6, s7
	s_sub_i32 s0, s46, s0
	s_abs_i32 s4, s0
	v_mul_f32_e32 v1, 0x4f7ffffe, v1
	v_cvt_u32_f32_e32 v1, v1
	s_xor_b32 s1, s0, s8
	s_ashr_i32 s1, s1, 31
	v_readfirstlane_b32 s5, v1
	s_mul_i32 s3, s3, s5
	s_mul_hi_u32 s3, s5, s3
	s_add_i32 s5, s5, s3
	s_mul_hi_u32 s3, s4, s5
	s_mul_i32 s5, s3, s2
	s_sub_i32 s4, s4, s5
	s_add_i32 s7, s3, 1
	s_sub_i32 s5, s4, s2
	s_cmp_ge_u32 s4, s2
	s_cselect_b32 s3, s7, s3
	s_cselect_b32 s4, s5, s4
	s_add_i32 s5, s3, 1
	s_cmp_ge_u32 s4, s2
	s_cselect_b32 s2, s5, s3
	s_abs_i32 s3, s9
	v_cvt_f32_u32_e32 v1, s3
	s_xor_b32 s2, s2, s1
	s_sub_i32 s4, 0, s3
	s_sub_i32 s7, s2, s1
	v_rcp_iflag_f32_e32 v1, v1
	s_mul_i32 s1, s7, s8
	s_sub_i32 s1, s0, s1
	s_abs_i32 s2, s1
	v_mul_f32_e32 v1, 0x4f7ffffe, v1
	v_cvt_u32_f32_e32 v1, v1
	s_xor_b32 s0, s1, s9
	s_ashr_i32 s0, s0, 31
	v_readfirstlane_b32 s5, v1
	s_mul_i32 s4, s4, s5
	s_mul_hi_u32 s4, s5, s4
	s_add_i32 s5, s5, s4
	s_mul_hi_u32 s4, s2, s5
	s_mul_i32 s5, s4, s3
	s_sub_i32 s2, s2, s5
	s_add_i32 s8, s4, 1
	s_sub_i32 s5, s2, s3
	s_cmp_ge_u32 s2, s3
	s_cselect_b32 s4, s8, s4
	s_cselect_b32 s2, s5, s2
	s_add_i32 s5, s4, 1
	s_cmp_ge_u32 s2, s3
	s_cselect_b32 s2, s5, s4
	s_xor_b32 s2, s2, s0
	s_sub_i32 s0, s2, s0
	s_mul_i32 s2, s0, s9
	s_sub_i32 s1, s1, s2
	s_abs_i32 s10, s1
	s_ashr_i32 s8, s6, 31
	s_mul_hi_u32 s9, s10, s47
	s_cmp_eq_u64 s[22:23], 0
	s_mov_b64 s[2:3], 0
	s_cbranch_scc1 .LBB19_297
; %bb.296:
	s_abs_i32 s2, s12
	v_cvt_f32_u32_e32 v1, s2
	s_sub_i32 s4, 0, s2
	s_abs_i32 s3, s6
	v_readlane_b32 s12, v243, 17
	v_rcp_iflag_f32_e32 v1, v1
	v_readlane_b32 s13, v243, 18
	v_mul_f32_e32 v1, 0x4f7ffffe, v1
	v_cvt_u32_f32_e32 v1, v1
	s_nop 0
	v_readfirstlane_b32 s5, v1
	s_mul_i32 s4, s4, s5
	s_mul_hi_u32 s4, s5, s4
	s_add_i32 s5, s5, s4
	s_mul_hi_u32 s4, s3, s5
	s_mul_i32 s4, s4, s2
	s_sub_i32 s3, s3, s4
	s_sub_i32 s4, s3, s2
	s_cmp_ge_u32 s3, s2
	s_cselect_b32 s3, s4, s3
	s_sub_i32 s4, s3, s2
	s_cmp_ge_u32 s3, s2
	s_cselect_b32 s2, s4, s3
	s_xor_b32 s2, s2, s8
	s_sub_i32 s2, s2, s8
	s_ashr_i32 s3, s2, 31
	s_mul_hi_u32 s4, s12, s2
	s_mul_i32 s3, s12, s3
	s_mul_i32 s5, s13, s2
	s_add_i32 s3, s4, s3
	s_add_i32 s3, s3, s5
	s_mul_i32 s2, s12, s2
	s_add_u32 s2, s22, s2
	s_addc_u32 s3, s23, s3
.LBB19_297:
	s_ashr_i32 s12, s1, 31
	v_readlane_b32 s1, v243, 2
	s_mul_i32 s11, s7, s1
	s_add_i32 s11, s11, s0
	v_cmp_le_f32_e64 s[0:1], s37, 0
	s_and_b64 vcc, exec, s[0:1]
	v_mov_b32_e32 v22, 1.0
	s_cbranch_vccnz .LBB19_299
; %bb.298:
	v_readlane_b32 s0, v243, 14
	v_mov_b32_e32 v2, s39
	v_mov_b32_e32 v3, s38
	v_mov_b32_e32 v1, s0
	v_sub_co_u32_e32 v1, vcc, s11, v1
	s_add_i32 s0, s11, 1
	v_lshlrev_b32_e32 v1, 1, v1
	v_cndmask_b32_e32 v2, v2, v3, vcc
	v_or_b32_e32 v1, 1, v1
	v_mov_b32_e32 v3, s0
	v_cndmask_b32_e32 v1, v1, v3, vcc
	v_cvt_f32_i32_e32 v1, v1
	v_cmp_neq_f32_e32 vcc, 1.0, v2
	s_mov_b32 s0, 0x3f2aaaab
	s_movk_i32 s4, 0x204
	v_cndmask_b32_e32 v1, 1.0, v1, vcc
	v_cmp_neq_f32_e32 vcc, 0, v1
	s_mov_b32 s1, 0x42b17218
	s_mov_b32 s5, 0x3fb8aa3b
	v_cndmask_b32_e32 v18, 1.0, v2, vcc
	v_frexp_mant_f32_e64 v2, |v18|
	v_cmp_gt_f32_e32 vcc, s0, v2
	s_mov_b32 s0, 0x3f317218
	s_brev_b32 s13, -2
	v_cndmask_b32_e64 v3, 1.0, 2.0, vcc
	v_mul_f32_e32 v2, v2, v3
	v_add_f32_e32 v5, 1.0, v2
	v_rcp_f32_e32 v10, v5
	v_add_f32_e32 v3, -1.0, v5
	v_sub_f32_e32 v7, v2, v3
	v_add_f32_e32 v3, -1.0, v2
	v_mul_f32_e32 v11, v3, v10
	v_mul_f32_e32 v4, v5, v11
	v_fma_f32 v6, v11, v5, -v4
	v_fmac_f32_e32 v6, v11, v7
	v_add_f32_e32 v2, v4, v6
	v_sub_f32_e32 v5, v3, v2
	v_pk_add_f32 v[8:9], v[2:3], v[4:5] neg_lo:[0,1] neg_hi:[0,1]
	v_mov_b32_e32 v7, v2
	v_pk_add_f32 v[2:3], v[8:9], v[6:7] neg_lo:[0,1] neg_hi:[0,1]
	v_mov_b32_e32 v6, 0x3e91f4c4
	v_add_f32_e32 v2, v2, v3
	v_add_f32_e32 v2, v5, v2
	v_mul_f32_e32 v3, v10, v2
	v_add_f32_e32 v2, v11, v3
	v_sub_f32_e32 v4, v2, v11
	v_sub_f32_e32 v12, v3, v4
	v_mul_f32_e32 v3, v2, v2
	v_fma_f32 v5, v2, v2, -v3
	v_add_f32_e32 v4, v12, v12
	v_fmac_f32_e32 v5, v2, v4
	v_add_f32_e32 v4, v3, v5
	v_fmac_f32_e32 v6, 0x3e76c4e1, v4
	v_fmaak_f32 v6, v4, v6, 0x3ecccdef
	v_sub_f32_e32 v3, v4, v3
	v_sub_f32_e32 v13, v5, v3
	v_mul_f32_e32 v3, v4, v6
	v_fma_f32 v5, v4, v6, -v3
	v_fmac_f32_e32 v5, v13, v6
	v_add_f32_e32 v6, v3, v5
	v_add_f32_e32 v7, 0x3f2aaaaa, v6
	v_sub_f32_e32 v3, v6, v3
	v_sub_f32_e32 v3, v5, v3
	v_add_f32_e32 v5, 0xbf2aaaaa, v7
	v_add_f32_e32 v3, 0x31739010, v3
	v_sub_f32_e32 v5, v6, v5
	v_pk_mul_f32 v[8:9], v[2:3], v[4:5]
	v_pk_add_f32 v[10:11], v[2:3], v[4:5]
	v_fma_f32 v6, v4, v2, -v8
	v_fmac_f32_e32 v6, v4, v12
	v_mov_b32_e32 v9, v11
	v_fmac_f32_e32 v6, v13, v2
	v_pk_add_f32 v[4:5], v[8:9], v[6:7]
	v_ldexp_f32 v14, v12, 1
	v_sub_f32_e32 v3, v4, v8
	v_sub_f32_e32 v3, v6, v3
	;; [unrolled: 1-line block ×3, first 2 shown]
	v_add_f32_e32 v9, v11, v6
	v_pk_mul_f32 v[6:7], v[4:5], v[4:5] op_sel:[0,1] op_sel_hi:[1,0]
	v_cvt_f64_f32_e64 v[10:11], |v18|
	v_frexp_exp_i32_f64_e32 v7, v[10:11]
	v_subbrev_co_u32_e32 v7, vcc, 0, v7, vcc
	v_cvt_f32_i32_e32 v7, v7
	v_fma_f32 v8, v4, v5, -v6
	v_fmac_f32_e32 v8, v4, v9
	v_fmac_f32_e32 v8, v3, v5
	v_mul_f32_e32 v4, 0x3f317218, v7
	v_fma_f32 v3, v7, s0, -v4
	v_fmamk_f32 v10, v7, 0xb102e308, v3
	v_ldexp_f32 v11, v2, 1
	v_add_f32_e32 v5, v6, v8
	v_pk_add_f32 v[2:3], v[4:5], v[10:11]
	v_mov_b32_e32 v12, v5
	v_mov_b32_e32 v13, v3
	;; [unrolled: 1-line block ×3, first 2 shown]
	v_pk_add_f32 v[6:7], v[12:13], v[6:7] neg_lo:[0,1] neg_hi:[0,1]
	v_mov_b32_e32 v9, v5
	v_pk_add_f32 v[6:7], v[8:9], v[6:7] neg_lo:[0,1] neg_hi:[0,1]
	v_mov_b32_e32 v11, v2
	v_add_f32_e32 v5, v14, v6
	v_add_f32_e32 v5, v5, v7
	v_pk_add_f32 v[6:7], v[2:3], v[4:5] neg_lo:[0,1] neg_hi:[0,1]
	v_pk_add_f32 v[8:9], v[2:3], v[4:5]
	v_mov_b32_e32 v16, v3
	v_mov_b32_e32 v7, v9
	v_pk_add_f32 v[12:13], v[10:11], v[6:7] neg_lo:[0,1] neg_hi:[0,1]
	v_pk_add_f32 v[6:7], v[10:11], v[6:7]
	v_mov_b32_e32 v4, v5
	v_pk_add_f32 v[10:11], v[6:7], v[2:3] op_sel:[1,0] op_sel_hi:[0,1] neg_lo:[0,1] neg_hi:[0,1]
	v_pk_add_f32 v[14:15], v[8:9], v[10:11] op_sel_hi:[1,0] neg_lo:[0,1] neg_hi:[0,1]
	v_mov_b32_e32 v8, v9
	v_mov_b32_e32 v9, v7
	;; [unrolled: 1-line block ×3, first 2 shown]
	v_pk_add_f32 v[8:9], v[8:9], v[16:17] neg_lo:[0,1] neg_hi:[0,1]
	v_mov_b32_e32 v5, v2
	v_pk_add_f32 v[2:3], v[4:5], v[8:9] neg_lo:[0,1] neg_hi:[0,1]
	v_mov_b32_e32 v14, v12
	v_pk_add_f32 v[4:5], v[14:15], v[2:3]
	v_mov_b32_e32 v13, v7
	v_pk_add_f32 v[8:9], v[4:5], v[4:5] op_sel:[0,1] op_sel_hi:[1,0]
	s_mov_b32 s0, 0x7f800000
	v_pk_add_f32 v[6:7], v[6:7], v[8:9] op_sel:[1,0] op_sel_hi:[0,1]
	v_mov_b32_e32 v5, v6
	v_pk_add_f32 v[10:11], v[4:5], v[12:13] neg_lo:[0,1] neg_hi:[0,1]
	v_mov_b32_e32 v3, v8
	v_sub_f32_e32 v4, v4, v10
	v_pk_add_f32 v[2:3], v[2:3], v[10:11] neg_lo:[0,1] neg_hi:[0,1]
	v_sub_f32_e32 v4, v12, v4
	v_add_f32_e32 v2, v2, v4
	v_add_f32_e32 v2, v2, v3
	v_add_f32_e32 v3, v6, v2
	v_sub_f32_e32 v4, v3, v6
	v_sub_f32_e32 v2, v2, v4
	v_mul_f32_e32 v4, v1, v3
	v_fma_f32 v3, v1, v3, -v4
	v_fmac_f32_e32 v3, v1, v2
	v_add_f32_e32 v2, v4, v3
	v_cmp_class_f32_e64 vcc, v4, s4
	v_sub_f32_e32 v5, v2, v4
	v_sub_f32_e32 v3, v3, v5
	v_cndmask_b32_e32 v2, v2, v4, vcc
	v_mov_b32_e32 v4, 0x37000000
	v_cmp_eq_f32_e32 vcc, s1, v2
	v_cmp_class_f32_e64 s[14:15], v18, s4
	s_nop 0
	v_cndmask_b32_e32 v4, 0, v4, vcc
	v_sub_f32_e32 v5, v2, v4
	v_mul_f32_e32 v6, 0x3fb8aa3b, v5
	v_fma_f32 v7, v5, s5, -v6
	v_rndne_f32_e32 v8, v6
	v_fmamk_f32 v7, v5, 0x32a5705f, v7
	v_sub_f32_e32 v6, v6, v8
	v_add_f32_e32 v6, v6, v7
	v_exp_f32_e32 v6, v6
	v_cvt_i32_f32_e32 v7, v8
	v_cmp_neq_f32_e64 vcc, |v2|, s0
	s_mov_b32 s0, 0xc2ce8ed0
	s_nop 0
	v_cndmask_b32_e32 v2, 0, v3, vcc
	v_ldexp_f32 v3, v6, v7
	v_cmp_ngt_f32_e32 vcc, s0, v5
	v_add_f32_e32 v2, v4, v2
	v_mov_b32_e32 v4, 0x7f800000
	v_cndmask_b32_e32 v3, 0, v3, vcc
	v_cmp_nlt_f32_e32 vcc, s1, v5
	v_mov_b32_e32 v5, 0x7fc00000
	s_nop 0
	v_cndmask_b32_e32 v3, v4, v3, vcc
	v_fma_f32 v2, v3, v2, v3
	v_cmp_class_f32_e64 vcc, v3, s4
	v_cmp_gt_f32_e64 s[4:5], 0, v1
	s_nop 0
	v_cndmask_b32_e32 v2, v2, v3, vcc
	v_trunc_f32_e32 v3, v1
	v_cmp_eq_f32_e32 vcc, v3, v1
	v_mul_f32_e32 v3, 0.5, v1
	v_trunc_f32_e32 v6, v3
	v_cmp_neq_f32_e64 s[0:1], v6, v3
	s_and_b64 s[0:1], vcc, s[0:1]
	s_nop 0
	v_cndmask_b32_e64 v3, 1.0, v18, s[0:1]
	v_bfi_b32 v2, s13, v2, v3
	v_cndmask_b32_e32 v3, v5, v2, vcc
	v_cmp_gt_f32_e32 vcc, 0, v18
	s_nop 1
	v_cndmask_b32_e32 v2, v2, v3, vcc
	v_cmp_eq_f32_e32 vcc, 0, v18
	s_xor_b64 s[4:5], s[4:5], vcc
	v_cndmask_b32_e64 v1, v4, 0, s[4:5]
	v_cndmask_b32_e64 v3, 0, v18, s[0:1]
	v_bfi_b32 v1, s13, v1, v3
	s_or_b64 vcc, vcc, s[14:15]
	v_cndmask_b32_e32 v1, v2, v1, vcc
	v_cmp_o_f32_e32 vcc, v18, v18
	s_nop 1
	v_cndmask_b32_e32 v22, v5, v1, vcc
.LBB19_299:
	s_mul_i32 s1, s9, s45
	v_readlane_b32 s0, v243, 25
	s_sub_i32 s1, s10, s1
	s_xor_b32 s0, s12, s0
	s_add_i32 s4, s9, 1
	s_sub_i32 s5, s1, s45
	s_cmp_ge_u32 s1, s45
	s_cselect_b32 s4, s4, s9
	s_cselect_b32 s1, s5, s1
	s_add_i32 s5, s4, 1
	s_cmp_ge_u32 s1, s45
	s_cselect_b32 s1, s5, s4
	s_xor_b32 s1, s1, s0
	s_sub_i32 s4, s1, s0
	s_cmp_eq_u64 s[26:27], 0
	v_mov_b32_e32 v12, s66
	s_cbranch_scc1 .LBB19_301
; %bb.300:
	v_readlane_b32 s0, v243, 0
	s_mul_i32 s0, s6, s0
	s_add_i32 s0, s4, s0
	s_ashr_i32 s1, s0, 31
	s_lshl_b64 s[0:1], s[0:1], 2
	s_add_u32 s0, s26, s0
	s_addc_u32 s1, s27, s1
	v_mov_b32_e32 v1, 0
	global_load_dword v1, v1, s[0:1]
	s_waitcnt vmcnt(0)
	v_ashrrev_i32_e32 v2, 31, v1
	v_lshrrev_b32_e32 v2, 26, v2
	v_add_u32_e32 v1, v1, v2
	v_ashrrev_i32_e32 v1, 6, v1
	v_min_i32_e32 v12, s66, v1
.LBB19_301:
	v_readlane_b32 s12, v243, 8
	v_readlane_b32 s13, v243, 9
	s_mul_i32 s0, s6, s13
	s_ashr_i32 s1, s0, 31
	s_add_u32 s0, s16, s0
	s_mul_i32 s11, s11, s12
	s_addc_u32 s1, s17, s1
	s_ashr_i32 s5, s11, 31
	s_add_u32 s0, s0, s11
	s_addc_u32 s1, s1, s5
	s_lshl_b32 s46, s4, 5
	v_add_u32_e32 v2, v132, v134
	v_add_u32_e32 v3, s46, v2
	s_mov_b32 s9, 0x10001
	v_lshl_add_u32 v78, v38, 2, 0
	v_cmp_le_i32_e32 vcc, s76, v3
	s_and_saveexec_b64 s[4:5], vcc
	s_xor_b64 s[4:5], exec, s[4:5]
; %bb.302:
	s_movk_i32 s10, 0xf0
	v_mad_u32_u24 v1, v2, s10, v78
	v_mov_b32_e32 v3, 0
	ds_write_b32 v1, v3
                                        ; implicit-def: $vgpr3
; %bb.303:
	s_or_saveexec_b64 s[4:5], s[4:5]
	v_mul_lo_u32 v1, v43, s9
	s_xor_b64 exec, exec, s[4:5]
	s_cbranch_execz .LBB19_305
; %bb.304:
	v_mad_u64_u32 v[4:5], s[10:11], v3, s69, v[38:39]
	v_ashrrev_i32_e32 v5, 31, v4
	v_lshl_add_u64 v[4:5], v[4:5], 3, s[0:1]
	global_load_dwordx2 v[4:5], v[4:5], off
	s_movk_i32 s9, 0xf0
	s_waitcnt vmcnt(0)
	v_cvt_pk_f16_f32 v3, v4, v5
	v_pk_mul_f16 v3, v3, v1
	v_mad_u32_u24 v4, v2, s9, v78
	ds_write_b32 v4, v3
.LBB19_305:
	s_or_b64 exec, exec, s[4:5]
	v_add_u32_e32 v3, 8, v2
	v_add_u32_e32 v4, s46, v3
	v_cmp_le_i32_e32 vcc, s76, v4
	s_and_saveexec_b64 s[4:5], vcc
	s_xor_b64 s[4:5], exec, s[4:5]
; %bb.306:
	s_movk_i32 s9, 0xf0
	v_mad_u32_u24 v3, v3, s9, v78
	v_mov_b32_e32 v4, 0
	ds_write_b32 v3, v4
                                        ; implicit-def: $vgpr4
                                        ; implicit-def: $vgpr3
; %bb.307:
	s_andn2_saveexec_b64 s[4:5], s[4:5]
	s_cbranch_execz .LBB19_309
; %bb.308:
	v_mad_u64_u32 v[4:5], s[10:11], v4, s69, v[38:39]
	v_ashrrev_i32_e32 v5, 31, v4
	v_lshl_add_u64 v[4:5], v[4:5], 3, s[0:1]
	global_load_dwordx2 v[4:5], v[4:5], off
	s_movk_i32 s9, 0xf0
	v_mad_u32_u24 v3, v3, s9, v78
	s_waitcnt vmcnt(0)
	v_cvt_pk_f16_f32 v4, v4, v5
	v_pk_mul_f16 v4, v4, v1
	ds_write_b32 v3, v4
.LBB19_309:
	s_or_b64 exec, exec, s[4:5]
	v_add_u32_e32 v3, 16, v2
	v_add_u32_e32 v4, s46, v3
	v_cmp_le_i32_e32 vcc, s76, v4
	s_and_saveexec_b64 s[4:5], vcc
	s_xor_b64 s[4:5], exec, s[4:5]
; %bb.310:
	s_movk_i32 s9, 0xf0
	v_mad_u32_u24 v3, v3, s9, v78
	v_mov_b32_e32 v4, 0
	ds_write_b32 v3, v4
                                        ; implicit-def: $vgpr4
                                        ; implicit-def: $vgpr3
; %bb.311:
	s_andn2_saveexec_b64 s[4:5], s[4:5]
	s_cbranch_execz .LBB19_313
; %bb.312:
	v_mad_u64_u32 v[4:5], s[10:11], v4, s69, v[38:39]
	v_ashrrev_i32_e32 v5, 31, v4
	v_lshl_add_u64 v[4:5], v[4:5], 3, s[0:1]
	global_load_dwordx2 v[4:5], v[4:5], off
	s_movk_i32 s9, 0xf0
	v_mad_u32_u24 v3, v3, s9, v78
	s_waitcnt vmcnt(0)
	v_cvt_pk_f16_f32 v4, v4, v5
	v_pk_mul_f16 v4, v4, v1
	ds_write_b32 v3, v4
.LBB19_313:
	s_or_b64 exec, exec, s[4:5]
	v_add_u32_e32 v2, 24, v2
	v_add_u32_e32 v3, s46, v2
	v_cmp_le_i32_e32 vcc, s76, v3
	s_and_saveexec_b64 s[4:5], vcc
	s_xor_b64 s[4:5], exec, s[4:5]
; %bb.314:
	s_movk_i32 s9, 0xf0
	v_mad_u32_u24 v2, v2, s9, v78
	v_mov_b32_e32 v3, 0
	ds_write_b32 v2, v3
                                        ; implicit-def: $vgpr3
                                        ; implicit-def: $vgpr2
; %bb.315:
	s_or_saveexec_b64 s[4:5], s[4:5]
	v_and_b32_e32 v63, 0x3ff, v0
	s_xor_b64 exec, exec, s[4:5]
	s_cbranch_execz .LBB19_317
; %bb.316:
	v_mad_u64_u32 v[4:5], s[10:11], v3, s69, v[38:39]
	v_ashrrev_i32_e32 v5, 31, v4
	v_lshl_add_u64 v[4:5], v[4:5], 3, s[0:1]
	global_load_dwordx2 v[4:5], v[4:5], off
	s_movk_i32 s9, 0xf0
	v_mad_u32_u24 v2, v2, s9, v78
	s_waitcnt vmcnt(0)
	v_cvt_pk_f16_f32 v0, v4, v5
	v_pk_mul_f16 v0, v0, v1
	ds_write_b32 v2, v0
.LBB19_317:
	s_or_b64 exec, exec, s[4:5]
	v_lshrrev_b32_e32 v80, 4, v63
	v_add_u32_e32 v0, v39, v80
	v_add_u32_e32 v2, s46, v0
	v_and_b32_e32 v30, 15, v63
	v_cmp_le_i32_e32 vcc, s76, v2
	s_and_saveexec_b64 s[4:5], vcc
	s_xor_b64 s[4:5], exec, s[4:5]
; %bb.318:
	v_mul_u32_u24_e32 v2, 0xf0, v0
	v_lshlrev_b32_e32 v3, 2, v30
	v_add3_u32 v2, 0, v2, v3
	v_mov_b32_e32 v3, 0
	ds_write_b32 v2, v3 offset:128
                                        ; implicit-def: $vgpr2
; %bb.319:
	s_or_saveexec_b64 s[4:5], s[4:5]
	v_lshl_add_u32 v79, v30, 2, 0
	s_xor_b64 exec, exec, s[4:5]
	s_cbranch_execz .LBB19_321
; %bb.320:
	v_mul_lo_u32 v2, v2, s69
	v_ashrrev_i32_e32 v3, 31, v2
	v_mov_b32_e32 v31, 0
	v_lshl_add_u64 v[2:3], v[2:3], 0, v[30:31]
	v_lshl_add_u64 v[2:3], v[2:3], 3, s[0:1]
	global_load_dwordx2 v[2:3], v[2:3], off offset:256
	s_movk_i32 s9, 0xf0
	s_waitcnt vmcnt(0)
	v_cvt_pk_f16_f32 v2, v2, v3
	v_pk_mul_f16 v2, v2, v1
	v_mad_u32_u24 v3, v0, s9, v79
	ds_write_b32 v3, v2 offset:128
.LBB19_321:
	s_or_b64 exec, exec, s[4:5]
	v_add_u32_e32 v0, 16, v0
	v_add_u32_e32 v2, s46, v0
	v_cmp_le_i32_e32 vcc, s76, v2
	s_and_saveexec_b64 s[4:5], vcc
	s_xor_b64 s[4:5], exec, s[4:5]
; %bb.322:
	v_mul_u32_u24_e32 v0, 0xf0, v0
	v_lshlrev_b32_e32 v2, 2, v30
	v_add3_u32 v0, 0, v0, v2
	v_mov_b32_e32 v2, 0
	ds_write_b32 v0, v2 offset:128
                                        ; implicit-def: $vgpr2
                                        ; implicit-def: $vgpr0
; %bb.323:
	s_andn2_saveexec_b64 s[4:5], s[4:5]
	s_cbranch_execz .LBB19_325
; %bb.324:
	v_mul_lo_u32 v2, v2, s69
	v_ashrrev_i32_e32 v3, 31, v2
	v_mov_b32_e32 v31, 0
	v_lshl_add_u64 v[2:3], v[2:3], 0, v[30:31]
	v_lshl_add_u64 v[2:3], v[2:3], 3, s[0:1]
	global_load_dwordx2 v[2:3], v[2:3], off offset:256
	s_movk_i32 s9, 0xf0
	v_mad_u32_u24 v0, v0, s9, v79
	s_waitcnt vmcnt(0)
	v_cvt_pk_f16_f32 v2, v2, v3
	v_pk_mul_f16 v2, v2, v1
	ds_write_b32 v0, v2 offset:128
.LBB19_325:
	s_or_b64 exec, exec, s[4:5]
	v_lshrrev_b32_e32 v31, 3, v63
	v_add_u32_e32 v99, v136, v31
	v_add_u32_e32 v0, s46, v99
	v_cmp_le_i32_e32 vcc, s76, v0
	s_and_saveexec_b64 s[4:5], vcc
	s_xor_b64 s[4:5], exec, s[4:5]
	s_cbranch_execz .LBB19_327
; %bb.326:
	v_and_b32_e32 v1, 7, v63
	v_mul_u32_u24_e32 v0, 0xf0, v99
	v_lshlrev_b32_e32 v1, 2, v1
	v_add3_u32 v0, 0, v0, v1
	v_mov_b32_e32 v1, 0
	ds_write_b32 v0, v1 offset:192
                                        ; implicit-def: $vgpr0
                                        ; implicit-def: $vgpr1
.LBB19_327:
	s_andn2_saveexec_b64 s[4:5], s[4:5]
	s_cbranch_execz .LBB19_329
; %bb.328:
	v_mul_lo_u32 v2, v0, s69
	v_and_b32_e32 v4, 7, v63
	v_ashrrev_i32_e32 v3, 31, v2
	v_mov_b32_e32 v5, 0
	v_lshl_add_u64 v[2:3], v[2:3], 0, v[4:5]
	v_lshl_add_u64 v[2:3], v[2:3], 3, s[0:1]
	global_load_dwordx2 v[2:3], v[2:3], off offset:384
	v_mul_u32_u24_e32 v0, 0xf0, v99
	v_lshlrev_b32_e32 v4, 2, v4
	v_add3_u32 v0, 0, v0, v4
	s_waitcnt vmcnt(0)
	v_cvt_pk_f16_f32 v2, v2, v3
	v_pk_mul_f16 v1, v2, v1
	ds_write_b32 v0, v1 offset:192
.LBB19_329:
	s_or_b64 exec, exec, s[4:5]
	v_readlane_b32 s4, v243, 15
	v_readlane_b32 s5, v243, 16
	s_mul_i32 s0, s4, s8
	s_mul_hi_u32 s1, s4, s6
	s_add_i32 s0, s1, s0
	s_mul_i32 s1, s5, s6
	v_readlane_b32 s12, v243, 21
	s_add_i32 s0, s0, s1
	s_mul_i32 s1, s4, s6
	v_readlane_b32 s15, v243, 24
	s_add_u32 s1, s20, s1
	s_mul_i32 s4, s7, s15
	v_and_b32_e32 v13, 0x1ff0, v136
	s_movk_i32 s10, 0xf0
	v_and_b32_e32 v1, 0x7e, v31
	s_addc_u32 s0, s21, s0
	s_ashr_i32 s5, s4, 31
	v_mad_u32_u24 v0, v13, s10, 0
	v_mul_u32_u24_e32 v102, 0xf0, v30
	v_lshlrev_b32_e32 v81, 2, v1
	s_add_u32 s33, s1, s4
	v_add3_u32 v14, v0, v102, v81
	v_readlane_b32 s13, v243, 22
	s_addc_u32 s45, s0, s5
	s_mul_i32 s0, s12, s8
	s_mul_hi_u32 s1, s12, s6
	s_waitcnt lgkmcnt(0)
	s_barrier
	ds_read2_b64 v[8:11], v14 offset1:4
	ds_read2_b64 v[4:7], v14 offset0:8 offset1:12
	ds_read2_b64 v[0:3], v14 offset0:16 offset1:20
	ds_read_b64 v[26:27], v14 offset:192
	s_add_i32 s0, s1, s0
	s_mul_i32 s1, s13, s6
	v_readlane_b32 s4, v243, 19
	s_add_i32 s0, s0, s1
	s_mul_i32 s1, s12, s6
	v_readlane_b32 s5, v243, 20
	s_add_u32 s1, s18, s1
	s_mul_i32 s7, s7, s5
	s_addc_u32 s0, s19, s0
	s_ashr_i32 s4, s7, 31
	v_add_u32_e32 v104, -1, v12
	s_add_u32 s47, s1, s7
	v_cmp_ge_i32_e32 vcc, s44, v104
	v_mul_lo_u32 v32, s90, v99
	v_mul_lo_u32 v24, s78, v99
	s_addc_u32 s48, s0, s4
	s_mov_b32 s49, 0
	s_and_b64 vcc, exec, vcc
	v_or_b32_e32 v100, v13, v30
	v_lshlrev_b32_e32 v34, 1, v63
	v_and_b32_e32 v91, 8, v136
	v_lshrrev_b32_e32 v103, 1, v63
	v_lshrrev_b32_e32 v101, 2, v63
	v_lshlrev_b32_e32 v95, 2, v63
	v_ashrrev_i32_e32 v33, 31, v32
	v_add_u32_e32 v92, 32, v99
	v_lshl_add_u32 v28, s90, 5, v32
	v_lshlrev_b32_e32 v93, 1, v31
	v_ashrrev_i32_e32 v25, 31, v24
	v_lshlrev_b32_e32 v90, 1, v30
	v_readlane_b32 s14, v243, 23
	s_waitcnt lgkmcnt(0)
	s_barrier
	s_cbranch_vccnz .LBB19_345
; %bb.330:
	v_mov_b32_e32 v37, 0
	v_mov_b32_e32 v35, v37
	v_mul_u32_u24_e32 v12, 0x90, v133
	v_lshl_add_u64 v[40:41], s[2:3], 0, v[34:35]
	v_add3_u32 v35, 0, v12, v34
	v_add_u32_e32 v12, s46, v133
	v_readlane_b32 s6, v243, 10
	v_readlane_b32 s7, v243, 11
	v_add_u32_e32 v18, v101, v135
	v_mul_hi_u32 v13, s6, v12
	v_add_u32_e32 v13, v12, v13
	v_lshrrev_b32_e32 v13, s7, v13
	v_mul_lo_u32 v13, v13, s76
	v_sub_u32_e32 v13, v12, v13
	v_mad_i64_i32 v[42:43], s[4:5], v13, s56, 0
	v_add_u32_e32 v13, 4, v12
	v_mul_hi_u32 v14, s6, v13
	v_add_u32_e32 v14, v13, v14
	v_lshrrev_b32_e32 v14, s7, v14
	v_mul_lo_u32 v14, v14, s76
	v_sub_u32_e32 v13, v13, v14
	v_mad_i64_i32 v[44:45], s[4:5], v13, s56, 0
	;; [unrolled: 7-line block ×6, first 2 shown]
	v_add_u32_e32 v13, 24, v12
	v_mul_hi_u32 v14, s6, v13
	v_add_u32_e32 v14, v13, v14
	v_lshrrev_b32_e32 v14, s7, v14
	v_mul_lo_u32 v14, v14, s76
	v_sub_u32_e32 v13, v13, v14
	v_add_u32_e32 v12, 28, v12
	v_mad_i64_i32 v[54:55], s[4:5], v13, s56, 0
	v_mul_hi_u32 v13, s6, v12
	v_add_u32_e32 v13, v12, v13
	v_lshrrev_b32_e32 v13, s7, v13
	v_mul_lo_u32 v13, v13, s76
	v_sub_u32_e32 v12, v12, v13
	v_mad_i64_i32 v[56:57], s[4:5], v12, s56, 0
	v_mbcnt_hi_u32_b32 v12, -1, v137
	v_and_b32_e32 v14, 64, v12
	v_add_u32_e32 v14, 64, v14
	v_xor_b32_e32 v16, 32, v12
	v_cmp_lt_i32_e32 vcc, v16, v14
	s_movk_i32 s6, 0x80
	v_lshl_add_u32 v17, v133, 5, v103
	v_cndmask_b32_e32 v16, v12, v16, vcc
	v_lshlrev_b32_e32 v112, 2, v16
	v_xor_b32_e32 v16, 16, v12
	v_cmp_lt_i32_e32 vcc, v16, v14
	v_mad_u32_u24 v14, v18, s10, 0
	v_and_b32_e32 v62, 4, v95
	v_cndmask_b32_e32 v12, v12, v16, vcc
	v_lshlrev_b32_e32 v113, 2, v12
	v_and_b32_e32 v12, 12, v95
	v_lshlrev_b32_e32 v19, 2, v12
	v_add3_u32 v114, v14, v19, s6
	v_and_b32_e32 v14, 28, v95
	v_mul_u32_u24_e32 v19, 0xf0, v99
	v_lshlrev_b32_e32 v20, 2, v14
	v_add3_u32 v115, 0, v19, v20
	v_mad_u32_u24 v20, v17, s10, 0
	v_lshlrev_b32_e32 v21, 2, v62
	s_movk_i32 s10, 0xc0
	s_movk_i32 s11, 0x90
	v_and_b32_e32 v13, 16, v135
	v_add3_u32 v117, v20, v21, s10
	v_and_b32_e32 v20, 0xfc, v101
	v_add_u32_e32 v21, v20, v13
	v_mad_u32_u24 v23, v100, s11, 0
	v_mul_u32_u24_e32 v15, 0xf0, v13
	v_add_u16_e32 v13, v20, v13
	v_lshl_add_u32 v20, v21, 1, v23
	s_movk_i32 s4, 0x1e0
	v_cmp_gt_u32_e64 s[28:29], 64, v17
	v_mul_lo_u32 v60, s90, v17
	v_lshrrev_b16_e32 v13, 1, v13
	v_add_u32_e32 v118, 64, v20
	v_add_u32_e32 v119, 0x44, v20
	v_cmp_gt_u32_e64 s[10:11], 64, v21
	v_cmp_gt_u32_e64 s[12:13], 63, v21
	;; [unrolled: 1-line block ×8, first 2 shown]
	v_mul_lo_u32 v64, s78, v17
	v_or_b32_e32 v17, 3, v93
	v_or_b32_e32 v20, 2, v93
	v_and_b32_e32 v21, 0xfc, v93
	s_mov_b64 s[30:31], src_private_base
	s_cmp_lg_u64 s[2:3], 0
	v_mad_u32_u24 v16, v91, s4, 0
	v_mul_lo_u32 v58, s90, v18
	v_add3_u32 v19, 0, v102, v81
	v_lshl_add_u32 v13, v13, 2, v23
	v_mul_u32_u24_e32 v17, 0xf0, v17
	v_mul_u32_u24_e32 v20, 0xf0, v20
	;; [unrolled: 1-line block ×3, first 2 shown]
	v_mul_lo_u32 v66, s78, v92
	v_mul_lo_u32 v68, s78, v18
	s_cselect_b64 s[34:35], -1, 0
	v_cmp_lt_u32_e64 s[0:1], 63, v63
	v_add_u32_e32 v105, 0x240, v35
	v_add_u32_e32 v106, 0x480, v35
	;; [unrolled: 1-line block ×7, first 2 shown]
	v_cmp_gt_u32_e64 s[4:5], 64, v18
	v_ashrrev_i32_e32 v59, 31, v58
	v_cmp_gt_u32_e64 s[6:7], 64, v99
	v_add_u32_e32 v116, 0x1e00, v115
	v_cmp_gt_u32_e64 s[8:9], 32, v99
	v_ashrrev_i32_e32 v29, 31, v28
	v_ashrrev_i32_e32 v61, 31, v60
	;; [unrolled: 1-line block ×5, first 2 shown]
	v_add3_u32 v120, v16, v21, v90
	v_add3_u32 v121, v16, v20, v90
	;; [unrolled: 1-line block ×3, first 2 shown]
	v_mov_b32_e32 v70, v22
	v_mov_b32_e32 v71, v22
	s_lshl_b32 s36, s44, 6
	v_mov_b32_e32 v74, 0xfeffffff
	v_lshlrev_b32_e32 v36, 2, v12
	s_mov_b64 s[38:39], 0x80
	v_lshlrev_b32_e32 v72, 2, v14
	v_add_u32_e32 v123, v19, v15
	v_add_u32_e32 v124, 0x3c00, v13
	s_mov_b32 s30, 0x3fb8aa3b
	s_mov_b32 s50, 0xc2ce8ed0
	;; [unrolled: 1-line block ×5, first 2 shown]
	v_mov_b32_e32 v128, v37
	v_mov_b32_e32 v129, v37
	;; [unrolled: 1-line block ×21, first 2 shown]
.LBB19_331:                             ; =>This Inner Loop Header: Depth=1
	v_cndmask_b32_e64 v12, 0, 1, s[34:35]
	v_cmp_ne_u32_e64 s[26:27], 1, v12
	s_andn2_b64 vcc, exec, s[34:35]
	s_ashr_i32 s37, s36, 31
	s_cbranch_vccnz .LBB19_337
; %bb.332:                              ;   in Loop: Header=BB19_331 Depth=1
	s_and_saveexec_b64 s[40:41], s[0:1]
	s_xor_b64 s[40:41], exec, s[40:41]
	s_cbranch_execz .LBB19_334
; %bb.333:                              ;   in Loop: Header=BB19_331 Depth=1
	ds_write_b16 v35, v37 offset:15360
	ds_write_b16 v105, v37 offset:15360
	;; [unrolled: 1-line block ×4, first 2 shown]
.LBB19_334:                             ;   in Loop: Header=BB19_331 Depth=1
	s_or_saveexec_b64 s[40:41], s[40:41]
	v_mov_b32_e32 v12, 0
	v_mov_b32_e32 v13, 0
	;; [unrolled: 1-line block ×4, first 2 shown]
	s_xor_b64 exec, exec, s[40:41]
	s_cbranch_execz .LBB19_336
; %bb.335:                              ;   in Loop: Header=BB19_331 Depth=1
	v_lshl_add_u64 v[12:13], s[36:37], 1, v[40:41]
	v_lshl_add_u64 v[14:15], v[42:43], 1, v[12:13]
	;; [unrolled: 1-line block ×9, first 2 shown]
	global_load_ushort v23, v[14:15], off
	s_nop 0
	global_load_ushort v16, v[16:17], off
	s_nop 0
	;; [unrolled: 2-line block ×3, first 2 shown]
	global_load_ushort v18, v[76:77], off
	global_load_ushort v12, v[138:139], off
	;; [unrolled: 1-line block ×5, first 2 shown]
	s_waitcnt vmcnt(7)
	ds_write_b16 v35, v23 offset:15360
	s_waitcnt vmcnt(6)
	ds_write_b16 v105, v16 offset:15360
	;; [unrolled: 2-line block ×4, first 2 shown]
.LBB19_336:                             ;   in Loop: Header=BB19_331 Depth=1
	s_or_b64 exec, exec, s[40:41]
	s_waitcnt vmcnt(3)
	ds_write_b16 v108, v12 offset:15360
	s_waitcnt vmcnt(2)
	ds_write_b16 v109, v13 offset:15360
	;; [unrolled: 2-line block ×4, first 2 shown]
.LBB19_337:                             ;   in Loop: Header=BB19_331 Depth=1
	s_mul_hi_i32 s41, s36, s90
	s_mul_i32 s40, s36, s90
	s_lshl_b64 s[40:41], s[40:41], 2
	s_add_u32 s40, s47, s40
	s_addc_u32 s41, s48, s41
	scratch_store_dwordx4 off, v[128:131], off
	s_and_saveexec_b64 s[42:43], s[28:29]
	s_cbranch_execz .LBB19_339
; %bb.338:                              ;   in Loop: Header=BB19_331 Depth=1
	v_lshl_add_u64 v[12:13], v[60:61], 2, s[40:41]
	v_lshlrev_b32_e32 v14, 2, v62
	v_mov_b32_e32 v15, v37
	v_lshl_add_u64 v[12:13], v[12:13], 0, v[14:15]
	global_load_dwordx4 v[12:15], v[12:13], off offset:192
	s_waitcnt vmcnt(0)
	ds_write_b128 v117, v[12:15]
.LBB19_339:                             ;   in Loop: Header=BB19_331 Depth=1
	s_or_b64 exec, exec, s[42:43]
	v_lshl_add_u64 v[12:13], v[58:59], 2, s[40:41]
	v_lshl_add_u64 v[12:13], v[12:13], 0, v[36:37]
	;; [unrolled: 1-line block ×3, first 2 shown]
	v_mov_b32_e32 v18, s31
	v_cndmask_b32_e64 v13, v18, v13, s[4:5]
	v_cndmask_b32_e64 v12, v125, v12, s[4:5]
	flat_load_dwordx4 v[12:15], v[12:13]
	v_lshl_add_u64 v[16:17], v[32:33], 2, s[40:41]
	v_mov_b32_e32 v73, v37
	v_lshl_add_u64 v[16:17], v[16:17], 0, v[72:73]
	v_cndmask_b32_e64 v17, v18, v17, s[6:7]
	v_cndmask_b32_e64 v16, v125, v16, s[6:7]
	v_add_u32_e32 v23, 0x1800, v123
	s_and_b64 vcc, exec, s[26:27]
	s_waitcnt vmcnt(0) lgkmcnt(0)
	ds_write_b128 v114, v[12:15]
	flat_load_dwordx4 v[12:15], v[16:17]
	v_lshl_add_u64 v[16:17], v[28:29], 2, s[40:41]
	v_lshl_add_u64 v[16:17], v[16:17], 0, v[72:73]
	v_cndmask_b32_e64 v17, v18, v17, s[8:9]
	v_cndmask_b32_e64 v16, v125, v16, s[8:9]
	s_waitcnt vmcnt(0) lgkmcnt(0)
	ds_write_b128 v115, v[12:15]
	flat_load_dwordx4 v[12:15], v[16:17]
	s_waitcnt vmcnt(0) lgkmcnt(0)
	ds_write_b128 v116, v[12:15]
	s_waitcnt lgkmcnt(0)
	s_barrier
	ds_read2_b64 v[12:15], v123 offset1:4
	ds_read2_b64 v[138:141], v23 offset0:192 offset1:196
	ds_read_b64 v[76:77], v123 offset:192
	s_waitcnt lgkmcnt(2)
	v_mfma_f32_16x16x16_f16 v[16:19], v[12:13], v[8:9], 0
	s_waitcnt lgkmcnt(1)
	v_mfma_f32_16x16x16_f16 v[142:145], v[138:139], v[8:9], 0
	v_mfma_f32_16x16x16_f16 v[12:15], v[14:15], v[10:11], v[16:19]
	;; [unrolled: 1-line block ×3, first 2 shown]
	ds_read2_b64 v[138:141], v123 offset0:8 offset1:12
	s_nop 4
	ds_read2_b64 v[142:145], v23 offset0:200 offset1:204
	s_waitcnt lgkmcnt(0)
	v_mfma_f32_16x16x16_f16 v[16:19], v[142:143], v[4:5], v[16:19]
	v_mfma_f32_16x16x16_f16 v[12:15], v[138:139], v[4:5], v[12:15]
	;; [unrolled: 1-line block ×3, first 2 shown]
	ds_read2_b64 v[142:145], v23 offset0:208 offset1:212
	v_mfma_f32_16x16x16_f16 v[12:15], v[140:141], v[6:7], v[12:15]
	ds_read2_b64 v[138:141], v123 offset0:16 offset1:20
	s_waitcnt lgkmcnt(1)
	v_mfma_f32_16x16x16_f16 v[16:19], v[142:143], v[0:1], v[16:19]
	ds_read_b64 v[142:143], v123 offset:7872
	s_waitcnt lgkmcnt(0)
	s_barrier
	v_mfma_f32_16x16x16_f16 v[12:15], v[138:139], v[0:1], v[12:15]
	v_mfma_f32_16x16x16_f16 v[12:15], v[140:141], v[2:3], v[12:15]
	;; [unrolled: 1-line block ×5, first 2 shown]
	s_cbranch_vccnz .LBB19_341
; %bb.340:                              ;   in Loop: Header=BB19_331 Depth=1
	ds_read2_b32 v[76:77], v124 offset1:1
	ds_read_b32 v73, v118 offset:15360
	ds_read_b32 v75, v119 offset:15360
	v_mov_b32_e32 v23, v22
	s_waitcnt lgkmcnt(2)
	v_cvt_f32_f16_e32 v138, v76
	v_cvt_f32_f16_sdwa v139, v76 dst_sel:DWORD dst_unused:UNUSED_PAD src0_sel:WORD_1
	v_cvt_f32_f16_e32 v76, v77
	v_cvt_f32_f16_sdwa v77, v77 dst_sel:DWORD dst_unused:UNUSED_PAD src0_sel:WORD_1
	s_waitcnt lgkmcnt(1)
	v_cvt_f32_f16_sdwa v141, v73 dst_sel:DWORD dst_unused:UNUSED_PAD src0_sel:WORD_1
	s_waitcnt lgkmcnt(0)
	v_cvt_f32_f16_sdwa v143, v75 dst_sel:DWORD dst_unused:UNUSED_PAD src0_sel:WORD_1
	v_cvt_f32_f16_e32 v142, v75
	v_cvt_f32_f16_e32 v140, v73
	v_pk_fma_f32 v[18:19], v[22:23], v[76:77], v[18:19]
	v_pk_fma_f32 v[16:17], v[70:71], v[138:139], v[16:17]
	;; [unrolled: 1-line block ×4, first 2 shown]
.LBB19_341:                             ;   in Loop: Header=BB19_331 Depth=1
	s_nop 5
	v_add_f32_e32 v23, 0x40051340, v16
	v_max_f32_e32 v73, v74, v74
	v_max_f32_e32 v23, v73, v23
	v_cndmask_b32_e64 v23, v74, v23, s[10:11]
	v_add_f32_e32 v73, 0x40051340, v17
	v_max_f32_e32 v75, v23, v23
	v_max_f32_e32 v73, v75, v73
	v_cndmask_b32_e64 v23, v23, v73, s[12:13]
	;; [unrolled: 4-line block ×8, first 2 shown]
	ds_bpermute_b32 v73, v112, v23
	v_max_f32_e32 v23, v23, v23
	s_mul_hi_i32 s27, s36, s78
	s_mul_i32 s26, s36, s78
	s_lshl_b64 s[26:27], s[26:27], 2
	s_waitcnt lgkmcnt(0)
	v_max_f32_e32 v73, v73, v73
	v_max_f32_e32 v23, v23, v73
	ds_bpermute_b32 v73, v113, v23
	s_add_u32 s26, s33, s26
	s_addc_u32 s27, s45, s27
	scratch_store_dwordx4 off, v[128:131], off
	s_and_saveexec_b64 s[40:41], s[28:29]
	s_cbranch_execz .LBB19_343
; %bb.342:                              ;   in Loop: Header=BB19_331 Depth=1
	v_lshl_add_u64 v[76:77], v[64:65], 2, s[26:27]
	v_lshlrev_b32_e32 v138, 2, v62
	v_mov_b32_e32 v139, v37
	v_lshl_add_u64 v[76:77], v[76:77], 0, v[138:139]
	global_load_dwordx4 v[138:141], v[76:77], off offset:192
	s_waitcnt vmcnt(0)
	ds_write_b128 v117, v[138:141]
.LBB19_343:                             ;   in Loop: Header=BB19_331 Depth=1
	s_or_b64 exec, exec, s[40:41]
	v_lshl_add_u64 v[76:77], v[68:69], 2, s[26:27]
	v_lshl_add_u64 v[76:77], v[76:77], 0, v[36:37]
	;; [unrolled: 1-line block ×3, first 2 shown]
	v_mov_b32_e32 v150, s31
	v_cndmask_b32_e64 v77, v150, v77, s[4:5]
	v_cndmask_b32_e64 v76, v125, v76, s[4:5]
	flat_load_dwordx4 v[138:141], v[76:77]
	s_waitcnt lgkmcnt(0)
	v_max_f32_e32 v151, v73, v73
	v_max_f32_e32 v23, v23, v23
	v_lshl_add_u64 v[146:147], v[24:25], 2, s[26:27]
	v_mov_b32_e32 v73, v37
	v_lshl_add_u64 v[148:149], v[66:67], 2, s[26:27]
	v_max_f32_e32 v23, v23, v151
	v_lshl_add_u64 v[146:147], v[146:147], 0, v[72:73]
	v_lshl_add_u64 v[148:149], v[148:149], 0, v[72:73]
	v_sub_f32_e32 v73, v16, v23
	v_sub_f32_e32 v151, v17, v23
	v_cndmask_b32_e64 v17, v150, v147, s[6:7]
	v_cndmask_b32_e64 v16, v125, v146, s[6:7]
	v_mul_f32_e32 v146, 0x3fb8aa3b, v73
	v_mul_f32_e32 v147, 0x3fb8aa3b, v151
	v_fma_f32 v156, v73, s30, -v146
	v_rndne_f32_e32 v157, v146
	v_fma_f32 v158, v151, s30, -v147
	v_rndne_f32_e32 v159, v147
	v_fmac_f32_e32 v156, 0x32a5705f, v73
	v_sub_f32_e32 v146, v146, v157
	v_fmac_f32_e32 v158, 0x32a5705f, v151
	v_sub_f32_e32 v147, v147, v159
	v_add_f32_e32 v146, v146, v156
	v_cvt_i32_f32_e32 v157, v157
	v_add_f32_e32 v147, v147, v158
	v_exp_f32_e32 v146, v146
	v_sub_f32_e32 v14, v14, v23
	v_cvt_i32_f32_e32 v159, v159
	v_exp_f32_e32 v147, v147
	v_sub_f32_e32 v15, v15, v23
	v_mul_f32_e32 v153, 0x3fb8aa3b, v14
	v_sub_f32_e32 v74, v74, v23
	v_mul_f32_e32 v154, 0x3fb8aa3b, v15
	v_fma_f32 v168, v14, s30, -v153
	v_rndne_f32_e32 v169, v153
	v_mul_f32_e32 v155, 0x3fb8aa3b, v74
	v_fma_f32 v170, v15, s30, -v154
	v_rndne_f32_e32 v171, v154
	v_fmac_f32_e32 v168, 0x32a5705f, v14
	v_sub_f32_e32 v153, v153, v169
	v_ldexp_f32 v146, v146, v157
	v_cmp_ngt_f32_e32 vcc, s50, v73
	v_fma_f32 v172, v74, s30, -v155
	v_rndne_f32_e32 v173, v155
	v_fmac_f32_e32 v170, 0x32a5705f, v15
	v_sub_f32_e32 v154, v154, v171
	v_add_f32_e32 v153, v153, v168
	v_ldexp_f32 v147, v147, v159
	v_cndmask_b32_e32 v146, 0, v146, vcc
	v_cmp_ngt_f32_e32 vcc, s50, v151
	v_cvt_i32_f32_e32 v169, v169
	v_fmac_f32_e32 v172, 0x32a5705f, v74
	v_sub_f32_e32 v155, v155, v173
	v_add_f32_e32 v154, v154, v170
	v_exp_f32_e32 v153, v153
	v_cndmask_b32_e32 v147, 0, v147, vcc
	v_cvt_i32_f32_e32 v171, v171
	v_add_f32_e32 v155, v155, v172
	v_cvt_i32_f32_e32 v173, v173
	v_ldexp_f32 v153, v153, v169
	v_mov_b32_e32 v75, s49
	v_mov_b32_e32 v76, s49
	;; [unrolled: 1-line block ×7, first 2 shown]
	s_add_i32 s44, s44, 1
	s_add_i32 s36, s36, 64
	s_waitcnt vmcnt(0)
	ds_write_b128 v114, v[138:141]
	flat_load_dwordx4 v[138:141], v[16:17]
	v_sub_f32_e32 v16, v18, v23
	v_sub_f32_e32 v17, v19, v23
	;; [unrolled: 1-line block ×4, first 2 shown]
	v_cndmask_b32_e64 v13, v150, v149, s[8:9]
	v_cndmask_b32_e64 v12, v125, v148, s[8:9]
	v_mul_f32_e32 v148, 0x3fb8aa3b, v16
	v_mul_f32_e32 v149, 0x3fb8aa3b, v17
	v_fma_f32 v160, v16, s30, -v148
	v_rndne_f32_e32 v161, v148
	v_mul_f32_e32 v150, 0x3fb8aa3b, v18
	v_fma_f32 v162, v17, s30, -v149
	v_rndne_f32_e32 v163, v149
	v_fmac_f32_e32 v160, 0x32a5705f, v16
	v_sub_f32_e32 v148, v148, v161
	v_mul_f32_e32 v152, 0x3fb8aa3b, v19
	v_fma_f32 v164, v18, s30, -v150
	v_rndne_f32_e32 v165, v150
	v_fmac_f32_e32 v162, 0x32a5705f, v17
	v_sub_f32_e32 v149, v149, v163
	v_add_f32_e32 v148, v148, v160
	v_fma_f32 v166, v19, s30, -v152
	v_rndne_f32_e32 v167, v152
	v_cvt_i32_f32_e32 v161, v161
	v_fmac_f32_e32 v164, 0x32a5705f, v18
	v_sub_f32_e32 v150, v150, v165
	v_add_f32_e32 v149, v149, v162
	v_exp_f32_e32 v148, v148
	v_cvt_i32_f32_e32 v163, v163
	v_fmac_f32_e32 v166, 0x32a5705f, v19
	v_sub_f32_e32 v152, v152, v167
	v_add_f32_e32 v150, v150, v164
	v_exp_f32_e32 v149, v149
	v_cvt_i32_f32_e32 v165, v165
	v_add_f32_e32 v152, v152, v166
	v_exp_f32_e32 v150, v150
	v_cvt_i32_f32_e32 v167, v167
	v_exp_f32_e32 v152, v152
	v_ldexp_f32 v148, v148, v161
	v_cmp_ngt_f32_e32 vcc, s50, v16
	v_ldexp_f32 v149, v149, v163
	v_ldexp_f32 v150, v150, v165
	v_cndmask_b32_e32 v148, 0, v148, vcc
	v_cmp_ngt_f32_e32 vcc, s50, v17
	v_ldexp_f32 v152, v152, v167
	s_waitcnt vmcnt(0) lgkmcnt(0)
	ds_write_b128 v115, v[138:141]
	flat_load_dwordx4 v[138:141], v[12:13]
	v_exp_f32_e32 v12, v154
	v_exp_f32_e32 v13, v155
	v_cndmask_b32_e32 v149, 0, v149, vcc
	v_cmp_ngt_f32_e32 vcc, s50, v18
	v_ldexp_f32 v12, v12, v171
	v_ldexp_f32 v13, v13, v173
	v_cndmask_b32_e32 v150, 0, v150, vcc
	v_cmp_ngt_f32_e32 vcc, s50, v19
	s_waitcnt vmcnt(0) lgkmcnt(0)
	ds_write_b128 v116, v[138:141]
	v_cndmask_b32_e32 v152, 0, v152, vcc
	v_cmp_ngt_f32_e32 vcc, s50, v14
	s_waitcnt lgkmcnt(0)
	s_barrier
	v_cndmask_b32_e32 v153, 0, v153, vcc
	v_cmp_ngt_f32_e32 vcc, s50, v15
	s_nop 1
	v_cndmask_b32_e32 v12, 0, v12, vcc
	v_cmp_ngt_f32_e32 vcc, s50, v74
	s_nop 1
	v_cndmask_b32_e32 v13, 0, v13, vcc
	v_cmp_nlt_f32_e32 vcc, s51, v73
	s_nop 1
	v_cndmask_b32_e32 v73, v126, v146, vcc
	v_cmp_nlt_f32_e32 vcc, s51, v151
	;; [unrolled: 3-line block ×6, first 2 shown]
	v_cndmask_b32_e64 v19, v145, v149, s[16:17]
	v_cndmask_b32_e64 v16, v142, v150, s[18:19]
	v_cndmask_b32_e32 v152, v126, v152, vcc
	v_cmp_nlt_f32_e32 vcc, s51, v14
	v_cndmask_b32_e64 v14, v76, v148, s[14:15]
	s_nop 0
	v_cndmask_b32_e32 v153, v126, v153, vcc
	v_cmp_nlt_f32_e32 vcc, s51, v15
	v_cndmask_b32_e64 v15, v77, v152, s[20:21]
	v_cndmask_b32_e64 v18, v144, v153, s[22:23]
	v_cndmask_b32_e32 v154, v126, v12, vcc
	v_cmp_nlt_f32_e32 vcc, s51, v74
	v_cndmask_b32_e64 v12, 0, v73, s[10:11]
	v_cvt_pk_f16_f32 v76, v16, v15
	v_cndmask_b32_e32 v17, v126, v13, vcc
	v_cmp_le_f32_e32 vcc, s52, v74
	v_cndmask_b32_e64 v13, v75, v151, s[12:13]
	v_cvt_pk_f16_f32 v75, v14, v19
	v_cndmask_b32_e32 v155, 0, v17, vcc
	v_cvt_f16_f32_e32 v73, v155
	v_cndmask_b32_e64 v17, v143, v154, s[24:25]
	v_cvt_pk_f16_f32 v74, v12, v13
	v_cvt_pk_f16_f32 v77, v18, v17
	v_mul_u32_u24_e32 v73, 0x10001, v73
	v_pk_mul_f16 v13, v98, v73
	v_pk_mul_f16 v19, v96, v73
	;; [unrolled: 1-line block ×6, first 2 shown]
	v_cvt_f32_f16_e32 v14, v13
	v_cvt_f32_f16_sdwa v15, v13 dst_sel:DWORD dst_unused:UNUSED_PAD src0_sel:WORD_1
	v_cvt_f32_f16_e32 v20, v94
	v_cvt_f32_f16_sdwa v21, v94 dst_sel:DWORD dst_unused:UNUSED_PAD src0_sel:WORD_1
	;; [unrolled: 2-line block ×3, first 2 shown]
	ds_read_u16 v13, v120 offset:240
	ds_read_u16 v94, v120
	ds_read_u16 v138, v120 offset:32
	ds_read_u16 v146, v120 offset:64
	;; [unrolled: 1-line block ×28, first 2 shown]
	ds_read_u16 v96, v121
	ds_read_u16 v176, v121 offset:32
	ds_read_u16 v177, v121 offset:64
	;; [unrolled: 1-line block ×4, first 2 shown]
	ds_read_u16 v97, v122
	ds_read_u16 v180, v122 offset:32
	ds_read_u16 v181, v122 offset:64
	;; [unrolled: 1-line block ×6, first 2 shown]
	s_waitcnt lgkmcnt(6)
	v_perm_b32 v97, v97, v96, s53
	v_perm_b32 v96, v13, v94, s53
	;; [unrolled: 1-line block ×3, first 2 shown]
	s_waitcnt lgkmcnt(5)
	v_perm_b32 v141, v180, v176, s53
	v_perm_b32 v140, v140, v138, s53
	v_cvt_f32_f16_e32 v16, v17
	v_cvt_f32_f16_sdwa v17, v17 dst_sel:DWORD dst_unused:UNUSED_PAD src0_sel:WORD_1
	v_cvt_f32_f16_e32 v18, v19
	v_cvt_f32_f16_sdwa v19, v19 dst_sel:DWORD dst_unused:UNUSED_PAD src0_sel:WORD_1
	v_mfma_f32_16x16x16_f16 v[14:17], v[96:97], v[74:75], v[14:17]
	ds_read_u16 v13, v120 offset:7920
	ds_read_u16 v94, v120 offset:7952
	;; [unrolled: 1-line block ×4, first 2 shown]
	v_perm_b32 v97, v169, v147, s53
	s_waitcnt lgkmcnt(3)
	v_perm_b32 v138, v13, v144, s53
	v_mfma_f32_16x16x16_f16 v[18:21], v[140:141], v[74:75], v[18:21]
	v_cvt_f16_f32_e32 v13, v14
	v_cvt_f16_f32_e32 v15, v15
	;; [unrolled: 1-line block ×4, first 2 shown]
	s_waitcnt lgkmcnt(2)
	v_perm_b32 v96, v94, v145, s53
	s_nop 1
	v_cvt_f16_f32_e32 v18, v18
	v_cvt_f16_f32_e32 v19, v19
	;; [unrolled: 1-line block ×4, first 2 shown]
	v_perm_b32 v147, v181, v177, s53
	v_perm_b32 v146, v160, v146, s53
	v_cvt_f32_f16_e32 v14, v13
	v_cvt_f32_f16_e32 v15, v15
	;; [unrolled: 1-line block ×9, first 2 shown]
	v_cvt_f32_f16_sdwa v145, v98 dst_sel:DWORD dst_unused:UNUSED_PAD src0_sel:WORD_1
	v_mfma_f32_16x16x16_f16 v[14:17], v[138:139], v[76:77], v[14:17]
	ds_read_u16 v13, v120 offset:7744
	ds_read_u16 v94, v120 offset:7776
	;; [unrolled: 1-line block ×4, first 2 shown]
	v_pk_mul_f16 v89, v89, v73
	v_pk_mul_f16 v88, v88, v73
	v_mfma_f32_16x16x16_f16 v[138:141], v[96:97], v[76:77], v[18:21]
	v_perm_b32 v97, v170, v165, s53
	s_waitcnt lgkmcnt(3)
	v_perm_b32 v96, v186, v13, s53
	ds_read_u16 v13, v121 offset:128
	ds_read_u16 v165, v121 offset:160
	v_mfma_f32_16x16x16_f16 v[18:21], v[146:147], v[74:75], v[142:145]
	v_pk_mul_f16 v87, v87, v73
	v_pk_mul_f16 v147, v86, v73
	v_cvt_f32_f16_e32 v86, v87
	v_cvt_f32_f16_sdwa v87, v87 dst_sel:DWORD dst_unused:UNUSED_PAD src0_sel:WORD_1
	v_pk_mul_f16 v85, v85, v73
	s_nop 2
	v_cvt_f16_f32_e32 v18, v18
	v_cvt_f16_f32_e32 v19, v19
	;; [unrolled: 1-line block ×4, first 2 shown]
	v_cvt_f32_f16_e32 v18, v18
	v_cvt_f32_f16_e32 v19, v19
	;; [unrolled: 1-line block ×4, first 2 shown]
	v_pk_mul_f16 v84, v84, v73
	v_pk_mul_f16 v83, v83, v73
	v_mfma_f32_16x16x16_f16 v[142:145], v[96:97], v[76:77], v[18:21]
	s_waitcnt lgkmcnt(1)
	v_perm_b32 v97, v183, v13, s53
	v_pk_mul_f16 v73, v82, v73
	v_cvt_f32_f16_e32 v18, v89
	v_cvt_f32_f16_sdwa v19, v89 dst_sel:DWORD dst_unused:UNUSED_PAD src0_sel:WORD_1
	v_cvt_f32_f16_e32 v20, v88
	v_cvt_f32_f16_sdwa v21, v88 dst_sel:DWORD dst_unused:UNUSED_PAD src0_sel:WORD_1
	v_perm_b32 v89, v182, v178, s53
	v_perm_b32 v88, v161, v156, s53
	ds_read_u16 v96, v120 offset:8016
	ds_read_u16 v146, v120 offset:8048
	;; [unrolled: 1-line block ×4, first 2 shown]
	v_mfma_f32_16x16x16_f16 v[18:21], v[88:89], v[74:75], v[18:21]
	v_perm_b32 v89, v171, v166, s53
	s_waitcnt lgkmcnt(3)
	v_perm_b32 v88, v96, v94, s53
	v_perm_b32 v96, v162, v157, s53
	s_nop 3
	v_cvt_f16_f32_e32 v18, v18
	v_cvt_f16_f32_e32 v19, v19
	;; [unrolled: 1-line block ×4, first 2 shown]
	v_cvt_f32_f16_e32 v18, v18
	v_cvt_f32_f16_e32 v19, v19
	;; [unrolled: 1-line block ×4, first 2 shown]
	v_add_f32_e32 v94, v151, v12
	v_cndmask_b32_e64 v12, v12, v94, s[12:13]
	v_mfma_f32_16x16x16_f16 v[18:21], v[88:89], v[76:77], v[18:21]
	v_cvt_f32_f16_e32 v88, v147
	v_cvt_f32_f16_sdwa v89, v147 dst_sel:DWORD dst_unused:UNUSED_PAD src0_sel:WORD_1
	v_add_f32_e32 v13, v12, v148
	v_cndmask_b32_e64 v94, v12, v13, s[14:15]
	v_mfma_f32_16x16x16_f16 v[86:89], v[96:97], v[74:75], v[86:89]
	v_add_f32_e32 v96, v94, v149
	v_cvt_f32_f16_sdwa v147, v85 dst_sel:DWORD dst_unused:UNUSED_PAD src0_sel:WORD_1
	v_cvt_f32_f16_e32 v148, v84
	v_cvt_f32_f16_sdwa v149, v84 dst_sel:DWORD dst_unused:UNUSED_PAD src0_sel:WORD_1
	s_nop 3
	v_cvt_f16_f32_e32 v12, v86
	v_cvt_f16_f32_e32 v13, v87
	;; [unrolled: 1-line block ×4, first 2 shown]
	v_cvt_f32_f16_e32 v86, v12
	v_cvt_f32_f16_e32 v87, v13
	v_perm_b32 v13, v172, v167, s53
	s_waitcnt lgkmcnt(2)
	v_perm_b32 v12, v146, v98, s53
	v_cvt_f32_f16_e32 v88, v88
	v_cvt_f32_f16_e32 v89, v89
	;; [unrolled: 1-line block ×3, first 2 shown]
	v_cndmask_b32_e64 v84, v94, v96, s[16:17]
	v_mfma_f32_16x16x16_f16 v[86:89], v[12:13], v[76:77], v[86:89]
	v_perm_b32 v13, v184, v165, s53
	v_perm_b32 v12, v163, v158, s53
	v_add_f32_e32 v85, v150, v84
	v_cndmask_b32_e64 v94, v84, v85, s[18:19]
	v_mfma_f32_16x16x16_f16 v[146:149], v[12:13], v[74:75], v[146:149]
	v_cvt_f32_f16_e32 v82, v83
	v_cvt_f32_f16_sdwa v83, v83 dst_sel:DWORD dst_unused:UNUSED_PAD src0_sel:WORD_1
	v_add_f32_e32 v96, v152, v94
	s_nop 4
	v_cvt_f16_f32_e32 v12, v146
	v_cvt_f16_f32_e32 v13, v147
	v_cvt_f16_f32_e32 v84, v148
	v_cvt_f16_f32_e32 v85, v149
	v_cvt_f32_f16_e32 v146, v12
	v_cvt_f32_f16_e32 v147, v13
	s_waitcnt lgkmcnt(0)
	v_perm_b32 v13, v173, v161, s53
	v_perm_b32 v12, v156, v160, s53
	v_cvt_f32_f16_e32 v148, v84
	v_cvt_f32_f16_e32 v149, v85
	;; [unrolled: 1-line block ×3, first 2 shown]
	v_cvt_f32_f16_sdwa v85, v73 dst_sel:DWORD dst_unused:UNUSED_PAD src0_sel:WORD_1
	v_mfma_f32_16x16x16_f16 v[146:149], v[12:13], v[76:77], v[146:149]
	v_perm_b32 v13, v175, v168, s53
	v_perm_b32 v12, v164, v159, s53
	v_cndmask_b32_e64 v73, v94, v96, s[20:21]
	v_add_f32_e32 v94, v153, v73
	v_mfma_f32_16x16x16_f16 v[82:85], v[12:13], v[74:75], v[82:85]
	v_cndmask_b32_e64 v73, v73, v94, s[22:23]
	v_cmp_lt_i32_e32 vcc, s44, v104
	v_cvt_pk_f16_f32 v87, v86, v87
	s_nop 4
	v_cvt_f16_f32_e32 v12, v82
	v_cvt_f16_f32_e32 v13, v83
	;; [unrolled: 1-line block ×4, first 2 shown]
	v_cvt_f32_f16_e32 v82, v12
	v_cvt_f32_f16_e32 v83, v13
	v_perm_b32 v13, v174, v185, s53
	v_perm_b32 v12, v179, v187, s53
	v_cvt_f32_f16_e32 v84, v74
	v_cvt_f32_f16_e32 v85, v75
	v_add_f32_e32 v74, v154, v73
	v_cndmask_b32_e64 v73, v73, v74, s[24:25]
	v_mfma_f32_16x16x16_f16 v[74:77], v[12:13], v[76:77], v[82:85]
	v_fmac_f32_e32 v73, v127, v155
	v_cvt_pk_f16_f32 v86, v88, v89
	s_nop 0
	v_cvt_pk_f16_f32 v85, v146, v147
	v_cvt_pk_f16_f32 v84, v148, v149
	;; [unrolled: 1-line block ×12, first 2 shown]
	s_barrier
	s_cbranch_vccz .LBB19_346
; %bb.344:                              ;   in Loop: Header=BB19_331 Depth=1
	v_mov_b32_e32 v127, v73
	v_mov_b32_e32 v74, v23
	s_branch .LBB19_331
.LBB19_345:
	v_mov_b32_e32 v23, 0xfeffffff
	v_mov_b32_e32 v73, 0
	v_mov_b32_e32 v82, 0
	v_mov_b32_e32 v83, 0
	v_mov_b32_e32 v97, 0
	v_mov_b32_e32 v98, 0
	v_mov_b32_e32 v94, 0
	v_mov_b32_e32 v96, 0
	v_mov_b32_e32 v20, 0
	v_mov_b32_e32 v21, 0
	v_mov_b32_e32 v88, 0
	v_mov_b32_e32 v89, 0
	v_mov_b32_e32 v86, 0
	v_mov_b32_e32 v87, 0
	v_mov_b32_e32 v84, 0
	v_mov_b32_e32 v85, 0
.LBB19_346:
	s_lshl_b32 s26, s44, 6
	v_readlane_b32 s0, v243, 4
	s_sub_i32 s28, s0, s26
	v_readlane_b32 s1, v243, 5
	s_cmp_lg_u64 s[2:3], 0
	s_cselect_b64 s[0:1], -1, 0
	s_ashr_i32 s27, s26, 31
	s_cmp_eq_u64 s[2:3], 0
	s_cbranch_scc1 .LBB19_364
; %bb.347:
	s_lshl_b64 s[4:5], s[26:27], 1
	s_add_u32 s2, s2, s4
	s_addc_u32 s3, s3, s5
	v_mov_b32_e32 v35, 0
	v_cmp_gt_i32_e32 vcc, s28, v63
	v_lshl_add_u64 v[12:13], s[2:3], 0, v[34:35]
	v_mov_b32_e32 v15, 0
	s_and_saveexec_b64 s[2:3], vcc
	s_cbranch_execz .LBB19_349
; %bb.348:
	v_add_u32_e32 v14, s46, v133
	v_readlane_b32 s4, v243, 10
	v_readlane_b32 s5, v243, 11
	s_nop 0
	v_mul_hi_u32 v15, s4, v14
	v_add_u32_e32 v15, v14, v15
	v_lshrrev_b32_e32 v15, s5, v15
	v_mul_lo_u32 v15, v15, s76
	v_sub_u32_e32 v14, v14, v15
	v_mad_i64_i32 v[14:15], s[4:5], v14, s56, 0
	v_lshl_add_u64 v[14:15], v[14:15], 1, v[12:13]
	global_load_ushort v15, v[14:15], off
.LBB19_349:
	s_or_b64 exec, exec, s[2:3]
	s_movk_i32 s2, 0x90
	v_mad_u32_u24 v14, v133, s2, 0
	v_lshl_add_u32 v16, v63, 1, v14
	s_waitcnt vmcnt(0)
	ds_write_b16 v16, v15 offset:15360
	s_and_saveexec_b64 s[2:3], vcc
	s_cbranch_execz .LBB19_351
; %bb.350:
	v_add3_u32 v15, v133, s46, 4
	v_readlane_b32 s4, v243, 10
	v_readlane_b32 s5, v243, 11
	s_nop 0
	v_mul_hi_u32 v16, s4, v15
	v_add_u32_e32 v16, v15, v16
	v_lshrrev_b32_e32 v16, s5, v16
	v_mul_lo_u32 v16, v16, s76
	v_sub_u32_e32 v15, v15, v16
	v_mad_i64_i32 v[16:17], s[4:5], v15, s56, 0
	v_lshl_add_u64 v[16:17], v[16:17], 1, v[12:13]
	global_load_ushort v35, v[16:17], off
.LBB19_351:
	s_or_b64 exec, exec, s[2:3]
	v_add_u32_e32 v15, 0x240, v14
	v_lshl_add_u32 v14, v63, 1, v15
	s_waitcnt vmcnt(0)
	ds_write_b16 v14, v35 offset:15360
	v_mov_b32_e32 v14, 0
	v_mov_b32_e32 v16, 0
	s_and_saveexec_b64 s[2:3], vcc
	s_cbranch_execz .LBB19_353
; %bb.352:
	v_add3_u32 v16, v133, s46, 8
	v_readlane_b32 s4, v243, 10
	v_readlane_b32 s5, v243, 11
	s_nop 0
	v_mul_hi_u32 v17, s4, v16
	v_add_u32_e32 v17, v16, v17
	v_lshrrev_b32_e32 v17, s5, v17
	v_mul_lo_u32 v17, v17, s76
	v_sub_u32_e32 v16, v16, v17
	v_mad_i64_i32 v[16:17], s[4:5], v16, s56, 0
	v_lshl_add_u64 v[16:17], v[16:17], 1, v[12:13]
	global_load_ushort v16, v[16:17], off
.LBB19_353:
	s_or_b64 exec, exec, s[2:3]
	v_add_u32_e32 v15, 0x240, v15
	v_lshl_add_u32 v17, v63, 1, v15
	s_waitcnt vmcnt(0)
	ds_write_b16 v17, v16 offset:15360
	s_and_saveexec_b64 s[2:3], vcc
	s_cbranch_execz .LBB19_355
; %bb.354:
	v_add3_u32 v14, v133, s46, 12
	v_readlane_b32 s4, v243, 10
	v_readlane_b32 s5, v243, 11
	s_nop 0
	v_mul_hi_u32 v16, s4, v14
	v_add_u32_e32 v16, v14, v16
	v_lshrrev_b32_e32 v16, s5, v16
	v_mul_lo_u32 v16, v16, s76
	v_sub_u32_e32 v14, v14, v16
	v_mad_i64_i32 v[16:17], s[4:5], v14, s56, 0
	v_lshl_add_u64 v[16:17], v[16:17], 1, v[12:13]
	global_load_ushort v14, v[16:17], off
.LBB19_355:
	s_or_b64 exec, exec, s[2:3]
	v_add_u32_e32 v15, 0x240, v15
	v_lshl_add_u32 v16, v63, 1, v15
	s_waitcnt vmcnt(0)
	ds_write_b16 v16, v14 offset:15360
	v_mov_b32_e32 v14, 0
	v_mov_b32_e32 v16, 0
	s_and_saveexec_b64 s[2:3], vcc
	s_cbranch_execz .LBB19_357
; %bb.356:
	v_add3_u32 v16, v133, s46, 16
	v_readlane_b32 s4, v243, 10
	v_readlane_b32 s5, v243, 11
	s_nop 0
	v_mul_hi_u32 v17, s4, v16
	v_add_u32_e32 v17, v16, v17
	v_lshrrev_b32_e32 v17, s5, v17
	v_mul_lo_u32 v17, v17, s76
	v_sub_u32_e32 v16, v16, v17
	v_mad_i64_i32 v[16:17], s[4:5], v16, s56, 0
	v_lshl_add_u64 v[16:17], v[16:17], 1, v[12:13]
	global_load_ushort v16, v[16:17], off
.LBB19_357:
	s_or_b64 exec, exec, s[2:3]
	v_add_u32_e32 v15, 0x240, v15
	;; [unrolled: 44-line block ×3, first 2 shown]
	v_lshl_add_u32 v15, v63, 1, v15
	s_waitcnt vmcnt(0)
	ds_write_b16 v15, v16 offset:15360
	s_and_saveexec_b64 s[2:3], vcc
	s_cbranch_execz .LBB19_363
; %bb.362:
	v_add3_u32 v14, v133, s46, 28
	v_readlane_b32 s4, v243, 10
	v_readlane_b32 s5, v243, 11
	s_nop 0
	v_mul_hi_u32 v16, s4, v14
	v_add_u32_e32 v16, v14, v16
	v_lshrrev_b32_e32 v16, s5, v16
	v_mul_lo_u32 v16, v16, s76
	v_sub_u32_e32 v14, v14, v16
	v_mad_i64_i32 v[16:17], s[4:5], v14, s56, 0
	v_lshl_add_u64 v[12:13], v[16:17], 1, v[12:13]
	global_load_ushort v14, v[12:13], off
.LBB19_363:
	s_or_b64 exec, exec, s[2:3]
	s_waitcnt vmcnt(0)
	ds_write_b16 v15, v14 offset:15936
.LBB19_364:
	s_mul_hi_i32 s3, s26, s90
	s_mul_i32 s2, s26, s90
	s_lshl_b64 s[2:3], s[2:3], 2
	s_add_u32 s2, s47, s2
	v_lshl_add_u32 v35, v133, 5, v103
	v_mov_b32_e32 v12, 0
	s_mov_b64 s[4:5], src_private_base
	s_addc_u32 s3, s48, s3
	v_cmp_gt_u32_e64 s[20:21], 64, v35
	v_mov_b32_e32 v13, v12
	v_mov_b32_e32 v14, v12
	;; [unrolled: 1-line block ×3, first 2 shown]
	scratch_store_dwordx4 off, v[12:15], off
	s_and_saveexec_b64 s[6:7], s[20:21]
	s_cbranch_execz .LBB19_366
; %bb.365:
	v_mul_lo_u32 v14, s90, v35
	v_ashrrev_i32_e32 v15, 31, v14
	v_and_b32_e32 v13, 4, v95
	v_lshl_add_u64 v[14:15], v[14:15], 2, s[2:3]
	v_lshlrev_b32_e32 v18, 2, v13
	v_mov_b32_e32 v19, v12
	v_lshl_add_u64 v[14:15], v[14:15], 0, v[18:19]
	s_mov_b64 s[8:9], 0xc0
	v_lshl_add_u64 v[14:15], v[14:15], 0, s[8:9]
	v_mov_b32_e32 v13, s5
	v_cmp_gt_i32_e32 vcc, s28, v35
	s_nop 1
	v_cndmask_b32_e32 v15, v13, v15, vcc
	v_mov_b32_e32 v13, 0
	v_cndmask_b32_e32 v14, v13, v14, vcc
	flat_load_dwordx4 v[14:17], v[14:15]
	v_mul_u32_u24_e32 v13, 0xf0, v35
	v_add3_u32 v13, 0, v13, v18
	s_waitcnt vmcnt(0) lgkmcnt(0)
	ds_write_b128 v13, v[14:17] offset:192
.LBB19_366:
	s_or_b64 exec, exec, s[6:7]
	v_add_u32_e32 v34, v101, v135
	v_mul_lo_u32 v14, s90, v34
	v_ashrrev_i32_e32 v15, 31, v14
	v_and_b32_e32 v13, 12, v95
	v_lshl_add_u64 v[14:15], v[14:15], 2, s[2:3]
	v_lshlrev_b32_e32 v18, 2, v13
	v_mov_b32_e32 v19, v12
	v_lshl_add_u64 v[14:15], v[14:15], 0, v[18:19]
	s_mov_b64 s[6:7], 0x80
	v_lshl_add_u64 v[14:15], v[14:15], 0, s[6:7]
	v_mov_b32_e32 v36, s5
	v_cmp_gt_i32_e64 s[16:17], s28, v34
	v_mov_b32_e32 v37, 0
	v_and_b32_e32 v13, 28, v95
	v_cndmask_b32_e64 v15, v36, v15, s[16:17]
	v_cndmask_b32_e64 v14, v37, v14, s[16:17]
	flat_load_dwordx4 v[40:43], v[14:15]
	v_lshl_add_u64 v[14:15], v[32:33], 2, s[2:3]
	v_mov_b32_e32 v17, v12
	v_mul_u32_u24_e32 v12, 0xf0, v34
	v_lshlrev_b32_e32 v16, 2, v13
	v_add3_u32 v19, 0, v12, v18
	v_lshl_add_u64 v[12:13], v[14:15], 0, v[16:17]
	v_cmp_gt_i32_e64 s[14:15], s28, v99
	v_ashrrev_i32_e32 v29, 31, v28
	v_lshl_add_u64 v[32:33], v[28:29], 2, s[2:3]
	v_cndmask_b32_e64 v13, v36, v13, s[14:15]
	v_cndmask_b32_e64 v12, v37, v12, s[14:15]
	v_lshl_add_u64 v[32:33], v[32:33], 0, v[16:17]
	v_cmp_gt_i32_e64 s[12:13], s28, v92
	v_and_b32_e32 v17, 16, v135
	v_add_u32_e32 v29, 0, v102
	v_cndmask_b32_e64 v33, v36, v33, s[12:13]
	v_cndmask_b32_e64 v32, v37, v32, s[12:13]
	v_readlane_b32 s48, v243, 26
	v_readlane_b32 s62, v243, 40
	;; [unrolled: 1-line block ×3, first 2 shown]
	s_and_b64 vcc, exec, s[0:1]
	s_mov_b64 s[30:31], s[62:63]
	v_readlane_b32 s49, v243, 27
	v_readlane_b32 s50, v243, 28
	;; [unrolled: 1-line block ×13, first 2 shown]
	s_waitcnt vmcnt(0) lgkmcnt(0)
	ds_write_b128 v19, v[40:43] offset:128
	flat_load_dwordx4 v[12:15], v[12:13]
	v_mul_u32_u24_e32 v40, 0xf0, v99
	v_add3_u32 v28, 0, v40, v16
	s_waitcnt vmcnt(0) lgkmcnt(0)
	ds_write_b128 v28, v[12:15]
	flat_load_dwordx4 v[12:15], v[32:33]
	v_mul_u32_u24_e32 v32, 0xf0, v17
	v_add3_u32 v29, v29, v81, v32
	v_add_u32_e32 v32, 0x1800, v29
	s_waitcnt vmcnt(0) lgkmcnt(0)
	ds_write_b128 v28, v[12:15] offset:7680
	s_waitcnt lgkmcnt(0)
	s_barrier
	ds_read2_b64 v[12:15], v29 offset1:4
	ds_read2_b64 v[44:47], v32 offset0:192 offset1:196
	s_waitcnt lgkmcnt(1)
	v_mfma_f32_16x16x16_f16 v[40:43], v[12:13], v[8:9], 0
	s_waitcnt lgkmcnt(0)
	v_mfma_f32_16x16x16_f16 v[48:51], v[44:45], v[8:9], 0
	v_mfma_f32_16x16x16_f16 v[12:15], v[14:15], v[10:11], v[40:43]
	v_mfma_f32_16x16x16_f16 v[8:11], v[46:47], v[10:11], v[48:51]
	s_nop 3
	ds_read2_b64 v[40:43], v29 offset0:8 offset1:12
	ds_read2_b64 v[44:47], v32 offset0:200 offset1:204
	s_waitcnt lgkmcnt(1)
	v_mfma_f32_16x16x16_f16 v[12:15], v[40:41], v[4:5], v[12:15]
	s_waitcnt lgkmcnt(0)
	v_mfma_f32_16x16x16_f16 v[8:11], v[44:45], v[4:5], v[8:11]
	v_mfma_f32_16x16x16_f16 v[12:15], v[42:43], v[6:7], v[12:15]
	ds_read2_b64 v[40:43], v32 offset0:208 offset1:212
	v_mfma_f32_16x16x16_f16 v[4:7], v[46:47], v[6:7], v[8:11]
	s_nop 4
	ds_read2_b64 v[8:11], v29 offset0:16 offset1:20
	s_waitcnt lgkmcnt(0)
	v_mfma_f32_16x16x16_f16 v[12:15], v[8:9], v[0:1], v[12:15]
	v_mfma_f32_16x16x16_f16 v[4:7], v[40:41], v[0:1], v[4:7]
	;; [unrolled: 1-line block ×3, first 2 shown]
	s_nop 5
	ds_read_b64 v[12:13], v29 offset:192
	ds_read_b64 v[14:15], v29 offset:7872
	s_waitcnt lgkmcnt(0)
	s_barrier
	v_mfma_f32_16x16x16_f16 v[0:3], v[42:43], v[2:3], v[4:7]
	v_mfma_f32_16x16x16_f16 v[8:11], v[12:13], v[26:27], v[8:11]
	s_nop 1
	v_and_b32_e32 v4, 0xfc, v101
	v_add_u32_e32 v17, v4, v17
	v_mfma_f32_16x16x16_f16 v[12:15], v[14:15], v[26:27], v[0:3]
	v_add_u32_e32 v26, 32, v17
	v_add_u32_e32 v27, 34, v17
	s_cbranch_vccz .LBB19_384
; %bb.367:
	s_movk_i32 s0, 0x90
	v_mad_u32_u24 v2, v100, s0, 0
	v_lshlrev_b32_e32 v0, 1, v17
	s_movk_i32 s0, 0x3c00
	v_add_u32_e32 v32, 32, v17
	v_add_u32_e32 v29, 34, v17
	v_add3_u32 v0, v2, v0, s0
	v_lshl_add_u32 v3, v32, 1, v2
	v_lshl_add_u32 v2, v29, 1, v2
	ds_read2_b32 v[0:1], v0 offset1:1
	ds_read_b32 v3, v3 offset:15360
	ds_read_b32 v2, v2 offset:15360
	s_waitcnt lgkmcnt(2)
	v_cvt_f32_f16_e32 v4, v0
	v_cvt_f32_f16_sdwa v5, v0 dst_sel:DWORD dst_unused:UNUSED_PAD src0_sel:WORD_1
	v_cvt_f32_f16_e32 v0, v1
	v_cvt_f32_f16_sdwa v1, v1 dst_sel:DWORD dst_unused:UNUSED_PAD src0_sel:WORD_1
	s_waitcnt lgkmcnt(1)
	v_cvt_f32_f16_e32 v36, v3
	s_waitcnt lgkmcnt(0)
	v_cvt_f32_f16_e32 v6, v2
	v_cvt_f32_f16_sdwa v7, v2 dst_sel:DWORD dst_unused:UNUSED_PAD src0_sel:WORD_1
	v_cvt_f32_f16_sdwa v37, v3 dst_sel:DWORD dst_unused:UNUSED_PAD src0_sel:WORD_1
	v_pk_fma_f32 v[2:3], v[22:23], v[0:1], v[10:11] op_sel_hi:[0,1,1]
	v_pk_fma_f32 v[0:1], v[22:23], v[4:5], v[8:9] op_sel_hi:[0,1,1]
	;; [unrolled: 1-line block ×4, first 2 shown]
	s_cbranch_execnz .LBB19_369
.LBB19_368:
	s_nop 3
	v_mov_b64_e32 v[4:5], v[12:13]
	v_mov_b64_e32 v[0:1], v[8:9]
	v_mov_b32_e32 v29, v27
	v_mov_b32_e32 v32, v26
	v_mov_b64_e32 v[6:7], v[14:15]
	v_mov_b64_e32 v[2:3], v[10:11]
.LBB19_369:
	v_add_f32_e32 v8, 0x40051340, v0
	v_max_f32_e32 v9, v23, v23
	v_max_f32_e32 v8, v9, v8
	v_cmp_gt_u32_e64 s[18:19], s28, v17
	v_or_b32_e32 v9, 1, v17
	v_add_f32_e32 v10, 0x40051340, v1
	v_cndmask_b32_e64 v8, v23, v8, s[18:19]
	v_max_f32_e32 v11, v8, v8
	v_max_f32_e32 v10, v11, v10
	v_cmp_gt_u32_e64 s[10:11], s28, v9
	v_or_b32_e32 v9, 2, v17
	v_cmp_gt_u32_e64 s[8:9], s28, v9
	v_cndmask_b32_e64 v8, v8, v10, s[10:11]
	v_add_f32_e32 v10, 0x40051340, v2
	v_max_f32_e32 v11, v8, v8
	v_max_f32_e32 v10, v11, v10
	v_cndmask_b32_e64 v8, v8, v10, s[8:9]
	v_or_b32_e32 v9, 3, v17
	v_add_f32_e32 v10, 0x40051340, v3
	v_max_f32_e32 v11, v8, v8
	v_max_f32_e32 v10, v11, v10
	v_cmp_gt_u32_e64 s[6:7], s28, v9
	v_add_f32_e32 v9, 0x40051340, v4
	v_cmp_gt_u32_e64 s[4:5], s28, v32
	v_cndmask_b32_e64 v8, v8, v10, s[6:7]
	v_max_f32_e32 v10, v8, v8
	v_max_f32_e32 v9, v10, v9
	v_cndmask_b32_e64 v8, v8, v9, s[4:5]
	v_add_u32_e32 v9, 33, v17
	v_add_f32_e32 v10, 0x40051340, v5
	v_max_f32_e32 v11, v8, v8
	v_max_f32_e32 v10, v11, v10
	v_cmp_gt_u32_e64 s[22:23], s28, v9
	v_add_f32_e32 v9, 0x40051340, v6
	v_cmp_gt_u32_e64 s[0:1], s28, v29
	v_cndmask_b32_e64 v8, v8, v10, s[22:23]
	v_max_f32_e32 v10, v8, v8
	v_max_f32_e32 v9, v10, v9
	v_cndmask_b32_e64 v8, v8, v9, s[0:1]
	v_add_u32_e32 v9, 35, v17
	v_add_f32_e32 v10, 0x40051340, v7
	v_max_f32_e32 v11, v8, v8
	v_max_f32_e32 v10, v11, v10
	v_cmp_gt_u32_e32 vcc, s28, v9
	v_mbcnt_hi_u32_b32 v9, -1, v137
	v_xor_b32_e32 v11, 32, v9
	v_cndmask_b32_e32 v8, v8, v10, vcc
	v_and_b32_e32 v10, 64, v9
	v_add_u32_e32 v10, 64, v10
	v_cmp_lt_i32_e64 s[24:25], v11, v10
	s_mov_b64 s[2:3], src_private_base
	v_add_u32_e32 v13, 0x80, v19
	v_cndmask_b32_e64 v11, v9, v11, s[24:25]
	v_lshlrev_b32_e32 v32, 2, v11
	ds_bpermute_b32 v11, v32, v8
	v_max_f32_e32 v8, v8, v8
	v_add_u32_e32 v12, 0x1e00, v28
	s_mov_b32 s2, 0
	s_waitcnt lgkmcnt(0)
	v_max_f32_e32 v11, v11, v11
	v_max_f32_e32 v14, v8, v11
	v_xor_b32_e32 v8, 16, v9
	v_cmp_lt_i32_e64 s[24:25], v8, v10
	s_nop 1
	v_cndmask_b32_e64 v8, v9, v8, s[24:25]
	v_lshlrev_b32_e32 v33, 2, v8
	ds_bpermute_b32 v15, v33, v14
	s_mul_hi_i32 s25, s26, s78
	s_mul_i32 s24, s26, s78
	s_lshl_b64 s[24:25], s[24:25], 2
	s_add_u32 s24, s33, s24
	v_mov_b32_e32 v8, 0
	s_addc_u32 s25, s45, s25
	v_mov_b32_e32 v9, v8
	v_mov_b32_e32 v10, v8
	;; [unrolled: 1-line block ×3, first 2 shown]
	scratch_store_dwordx4 off, v[8:11], off
	s_and_saveexec_b64 s[26:27], s[20:21]
	s_cbranch_execz .LBB19_371
; %bb.370:
	v_mul_lo_u32 v26, s78, v35
	v_and_b32_e32 v9, 4, v95
	v_ashrrev_i32_e32 v27, 31, v26
	v_lshlrev_b32_e32 v10, 2, v9
	v_lshl_add_u64 v[26:27], v[26:27], 2, s[24:25]
	v_mov_b32_e32 v11, v8
	v_lshl_add_u64 v[26:27], v[26:27], 0, v[10:11]
	s_mov_b64 s[20:21], 0xc0
	v_lshl_add_u64 v[26:27], v[26:27], 0, s[20:21]
	v_mov_b32_e32 v9, s3
	v_cmp_gt_i32_e64 s[20:21], s28, v35
	s_nop 1
	v_cndmask_b32_e64 v27, v9, v27, s[20:21]
	v_mov_b32_e32 v9, 0
	v_cndmask_b32_e64 v26, v9, v26, s[20:21]
	flat_load_dwordx4 v[40:43], v[26:27]
	v_mul_u32_u24_e32 v9, 0xf0, v35
	v_add3_u32 v9, 0, v9, v10
	s_waitcnt vmcnt(0) lgkmcnt(0)
	ds_write_b128 v9, v[40:43] offset:192
.LBB19_371:
	s_or_b64 exec, exec, s[26:27]
	v_mul_lo_u32 v10, s78, v34
	v_ashrrev_i32_e32 v11, 31, v10
	v_lshl_add_u64 v[10:11], v[10:11], 2, s[24:25]
	v_mov_b32_e32 v19, v8
	v_lshl_add_u64 v[10:11], v[10:11], 0, v[18:19]
	s_mov_b64 s[20:21], 0x80
	v_lshl_add_u64 v[10:11], v[10:11], 0, s[20:21]
	v_mov_b32_e32 v22, s3
	v_mov_b32_e32 v29, 0
	v_cndmask_b32_e64 v11, v22, v11, s[16:17]
	v_cndmask_b32_e64 v10, v29, v10, s[16:17]
	flat_load_dwordx4 v[40:43], v[10:11]
	v_lshl_add_u64 v[24:25], v[24:25], 2, s[24:25]
	v_mov_b32_e32 v17, v8
	v_lshl_add_u64 v[24:25], v[24:25], 0, v[16:17]
	s_waitcnt lgkmcnt(0)
	v_max_f32_e32 v26, v15, v15
	v_max_f32_e32 v27, v14, v14
	v_cndmask_b32_e64 v25, v22, v25, s[14:15]
	v_cndmask_b32_e64 v24, v29, v24, s[14:15]
	v_max_f32_e32 v34, v27, v26
	v_or_b32_e32 v37, 3, v93
	v_or_b32_e32 v44, 2, v93
	v_and_b32_e32 v45, 0xfc, v93
	v_mul_lo_u32 v36, s78, v92
	s_movk_i32 s21, 0x1e0
	v_mul_u32_u24_e32 v8, 0xf0, v37
	v_mul_u32_u24_e32 v44, 0xf0, v44
	;; [unrolled: 1-line block ×3, first 2 shown]
	v_ashrrev_i32_e32 v37, 31, v36
	v_sub_f32_e32 v2, v2, v34
	s_mov_b32 s3, 0x3fb8aa3b
	v_sub_f32_e32 v3, v3, v34
	v_sub_f32_e32 v4, v4, v34
	;; [unrolled: 1-line block ×4, first 2 shown]
	v_mul_f32_e32 v46, 0x3fb8aa3b, v5
	v_sub_f32_e32 v7, v7, v34
	v_mul_f32_e32 v47, 0x3fb8aa3b, v6
	v_fma_f32 v58, v5, s3, -v46
	v_rndne_f32_e32 v59, v46
	s_mov_b32 s16, 0xc2ce8ed0
	v_mul_f32_e32 v48, 0x3fb8aa3b, v7
	v_fma_f32 v60, v6, s3, -v47
	v_rndne_f32_e32 v61, v47
	v_fmac_f32_e32 v58, 0x32a5705f, v5
	v_sub_f32_e32 v46, v46, v59
	v_fma_f32 v62, v7, s3, -v48
	v_rndne_f32_e32 v64, v48
	v_fmac_f32_e32 v60, 0x32a5705f, v6
	v_sub_f32_e32 v47, v47, v61
	v_add_f32_e32 v46, v46, v58
	v_fmac_f32_e32 v62, 0x32a5705f, v7
	v_sub_f32_e32 v48, v48, v64
	v_add_f32_e32 v47, v47, v60
	s_mov_b32 s17, 0x42b17218
	v_mov_b32_e32 v35, 0x7f800000
	s_mov_b32 s20, 0xc1a00000
	v_mov_b32_e32 v9, s2
	v_mov_b32_e32 v10, s2
	;; [unrolled: 1-line block ×7, first 2 shown]
	s_mov_b32 s2, 0x5040100
	s_waitcnt vmcnt(0)
	ds_write_b128 v13, v[40:43]
	flat_load_dwordx4 v[24:27], v[24:25]
	v_mad_u32_u24 v13, v91, s21, 0
	v_sub_f32_e32 v40, v0, v34
	v_sub_f32_e32 v41, v1, v34
	;; [unrolled: 1-line block ×3, first 2 shown]
	v_lshl_add_u64 v[0:1], v[36:37], 2, s[24:25]
	v_add3_u32 v36, v13, v45, v90
	v_add3_u32 v37, v13, v44, v90
	;; [unrolled: 1-line block ×3, first 2 shown]
	v_mul_f32_e32 v13, 0x3fb8aa3b, v40
	v_mul_f32_e32 v23, 0x3fb8aa3b, v41
	;; [unrolled: 1-line block ×3, first 2 shown]
	v_lshl_add_u64 v[0:1], v[0:1], 0, v[16:17]
	v_fma_f32 v16, v40, s3, -v13
	v_rndne_f32_e32 v17, v13
	v_fma_f32 v50, v41, s3, -v23
	v_rndne_f32_e32 v51, v23
	;; [unrolled: 2-line block ×3, first 2 shown]
	v_cndmask_b32_e64 v1, v22, v1, s[12:13]
	v_cndmask_b32_e64 v0, v29, v0, s[12:13]
	v_fmac_f32_e32 v16, 0x32a5705f, v40
	v_sub_f32_e32 v13, v13, v17
	v_fmac_f32_e32 v50, 0x32a5705f, v41
	v_sub_f32_e32 v22, v23, v51
	;; [unrolled: 2-line block ×3, first 2 shown]
	v_add_f32_e32 v13, v13, v16
	v_add_f32_e32 v16, v22, v50
	;; [unrolled: 1-line block ×3, first 2 shown]
	v_mul_f32_e32 v44, 0x3fb8aa3b, v3
	v_mul_f32_e32 v45, 0x3fb8aa3b, v4
	v_fma_f32 v54, v3, s3, -v44
	v_rndne_f32_e32 v55, v44
	v_cvt_i32_f32_e32 v17, v17
	v_exp_f32_e32 v13, v13
	v_fma_f32 v56, v4, s3, -v45
	v_rndne_f32_e32 v57, v45
	v_cvt_i32_f32_e32 v29, v51
	v_fmac_f32_e32 v54, 0x32a5705f, v3
	v_sub_f32_e32 v44, v44, v55
	v_exp_f32_e32 v16, v16
	v_cvt_i32_f32_e32 v43, v53
	v_fmac_f32_e32 v56, 0x32a5705f, v4
	v_sub_f32_e32 v45, v45, v57
	v_add_f32_e32 v44, v44, v54
	v_cvt_i32_f32_e32 v51, v55
	v_add_f32_e32 v45, v45, v56
	v_mul_f32_e32 v49, 0x3fb8aa3b, v42
	v_cvt_i32_f32_e32 v53, v57
	v_ldexp_f32 v13, v13, v17
	v_cmp_ngt_f32_e64 s[12:13], s16, v40
	v_fma_f32 v65, v42, s3, -v49
	v_rndne_f32_e32 v66, v49
	v_cvt_i32_f32_e32 v55, v59
	v_ldexp_f32 v16, v16, v29
	v_cndmask_b32_e64 v13, 0, v13, s[12:13]
	v_cmp_ngt_f32_e64 s[12:13], s16, v41
	v_cvt_i32_f32_e32 v57, v61
	v_fmac_f32_e32 v65, 0x32a5705f, v42
	v_sub_f32_e32 v49, v49, v66
	v_cndmask_b32_e64 v16, 0, v16, s[12:13]
	v_cmp_ngt_f32_e64 s[12:13], s16, v2
	v_cvt_i32_f32_e32 v59, v64
	v_cvt_i32_f32_e32 v61, v66
	s_waitcnt vmcnt(0) lgkmcnt(0)
	ds_write_b128 v28, v[24:27]
	flat_load_dwordx4 v[22:25], v[0:1]
	v_exp_f32_e32 v26, v50
	v_exp_f32_e32 v27, v44
	;; [unrolled: 1-line block ×4, first 2 shown]
	v_add_f32_e32 v0, v48, v62
	v_exp_f32_e32 v45, v47
	v_ldexp_f32 v17, v26, v43
	v_add_f32_e32 v1, v49, v65
	v_exp_f32_e32 v0, v0
	v_ldexp_f32 v26, v27, v51
	v_cndmask_b32_e64 v17, 0, v17, s[12:13]
	v_cmp_ngt_f32_e64 s[12:13], s16, v3
	v_exp_f32_e32 v1, v1
	v_ldexp_f32 v27, v28, v53
	v_cndmask_b32_e64 v26, 0, v26, s[12:13]
	v_cmp_ngt_f32_e64 s[12:13], s16, v4
	v_ldexp_f32 v28, v44, v55
	v_ldexp_f32 v29, v45, v57
	v_cndmask_b32_e64 v27, 0, v27, s[12:13]
	v_cmp_ngt_f32_e64 s[12:13], s16, v5
	v_ldexp_f32 v0, v0, v59
	v_ldexp_f32 v1, v1, v61
	v_cndmask_b32_e64 v28, 0, v28, s[12:13]
	v_cmp_ngt_f32_e64 s[12:13], s16, v6
	s_waitcnt vmcnt(0) lgkmcnt(0)
	ds_write_b128 v12, v[22:25]
	v_cndmask_b32_e64 v29, 0, v29, s[12:13]
	v_cmp_ngt_f32_e64 s[12:13], s16, v7
	s_waitcnt lgkmcnt(0)
	s_barrier
	v_cndmask_b32_e64 v0, 0, v0, s[12:13]
	v_cmp_ngt_f32_e64 s[12:13], s16, v42
	s_nop 1
	v_cndmask_b32_e64 v1, 0, v1, s[12:13]
	v_cmp_nlt_f32_e64 s[12:13], s17, v40
	s_nop 1
	v_cndmask_b32_e64 v13, v35, v13, s[12:13]
	v_cmp_nlt_f32_e64 s[12:13], s17, v41
	;; [unrolled: 3-line block ×4, first 2 shown]
	v_cndmask_b32_e64 v2, v10, v41, s[8:9]
	s_nop 0
	v_cndmask_b32_e64 v43, v35, v26, s[12:13]
	v_cmp_nlt_f32_e64 s[12:13], s17, v4
	s_nop 1
	v_cndmask_b32_e64 v44, v35, v27, s[12:13]
	v_cmp_nlt_f32_e64 s[12:13], s17, v5
	v_cndmask_b32_e64 v4, v14, v44, s[4:5]
	s_nop 0
	v_cndmask_b32_e64 v45, v35, v28, s[12:13]
	v_cmp_nlt_f32_e64 s[12:13], s17, v6
	v_cndmask_b32_e64 v3, v11, v45, s[22:23]
	v_cvt_pk_f16_f32 v28, v4, v3
	v_cndmask_b32_e64 v46, v35, v29, s[12:13]
	v_cmp_nlt_f32_e64 s[12:13], s17, v7
	v_cndmask_b32_e64 v6, v18, v46, s[0:1]
	v_cndmask_b32_e64 v7, v19, v43, s[6:7]
	;; [unrolled: 1-line block ×3, first 2 shown]
	v_cmp_nlt_f32_e64 s[12:13], s17, v42
	v_cndmask_b32_e64 v0, 0, v13, s[18:19]
	v_cvt_pk_f16_f32 v27, v2, v7
	v_cndmask_b32_e64 v5, v35, v1, s[12:13]
	v_cmp_le_f32_e64 s[12:13], s20, v42
	v_cndmask_b32_e64 v1, v9, v40, s[10:11]
	v_cvt_pk_f16_f32 v26, v0, v1
	v_cndmask_b32_e64 v35, 0, v5, s[12:13]
	v_cvt_f16_f32_e32 v9, v35
	v_cndmask_b32_e32 v5, v15, v47, vcc
	v_cvt_pk_f16_f32 v29, v6, v5
	v_mul_u32_u24_e32 v42, 0x10001, v9
	v_pk_mul_f16 v1, v98, v42
	v_pk_mul_f16 v5, v97, v42
	v_cvt_f32_f16_e32 v2, v1
	v_cvt_f32_f16_sdwa v3, v1 dst_sel:DWORD dst_unused:UNUSED_PAD src0_sel:WORD_1
	ds_read_u16 v1, v36 offset:240
	ds_read_u16 v6, v36
	ds_read_u16 v12, v36 offset:32
	ds_read_u16 v13, v36 offset:64
	;; [unrolled: 1-line block ×28, first 2 shown]
	ds_read_u16 v7, v37
	ds_read_u16 v62, v37 offset:32
	ds_read_u16 v64, v37 offset:64
	;; [unrolled: 1-line block ×4, first 2 shown]
	ds_read_u16 v67, v8
	ds_read_u16 v68, v8 offset:32
	ds_read_u16 v69, v8 offset:64
	;; [unrolled: 1-line block ×6, first 2 shown]
	s_waitcnt lgkmcnt(6)
	v_perm_b32 v7, v67, v7, s2
	v_perm_b32 v6, v1, v6, s2
	v_cvt_f32_f16_e32 v4, v5
	v_cvt_f32_f16_sdwa v5, v5 dst_sel:DWORD dst_unused:UNUSED_PAD src0_sel:WORD_1
	ds_read_u16 v1, v36 offset:7920
	ds_read_u16 v67, v36 offset:7952
	;; [unrolled: 1-line block ×4, first 2 shown]
	v_mfma_f32_16x16x16_f16 v[2:5], v[6:7], v[26:27], v[2:5]
	s_waitcnt lgkmcnt(3)
	v_perm_b32 v8, v1, v11, s2
	v_perm_b32 v9, v54, v9, s2
	v_pk_mul_f16 v10, v96, v42
	s_nop 3
	v_cvt_f16_f32_e32 v1, v2
	v_cvt_f16_f32_e32 v3, v3
	;; [unrolled: 1-line block ×4, first 2 shown]
	v_cvt_f32_f16_e32 v2, v1
	v_cvt_f32_f16_e32 v3, v3
	;; [unrolled: 1-line block ×4, first 2 shown]
	v_pk_mul_f16 v1, v94, v42
	v_cvt_f32_f16_e32 v6, v10
	v_cvt_f32_f16_sdwa v7, v10 dst_sel:DWORD dst_unused:UNUSED_PAD src0_sel:WORD_1
	v_perm_b32 v11, v68, v62, s2
	v_perm_b32 v10, v14, v12, s2
	v_mfma_f32_16x16x16_f16 v[2:5], v[8:9], v[28:29], v[2:5]
	v_cvt_f32_f16_e32 v8, v1
	v_cvt_f32_f16_sdwa v9, v1 dst_sel:DWORD dst_unused:UNUSED_PAD src0_sel:WORD_1
	v_pk_mul_f16 v12, v21, v42
	v_perm_b32 v14, v16, v13, s2
	v_mfma_f32_16x16x16_f16 v[6:9], v[10:11], v[26:27], v[6:9]
	v_perm_b32 v11, v55, v19, s2
	s_waitcnt lgkmcnt(2)
	v_perm_b32 v10, v67, v15, s2
	v_pk_mul_f16 v19, v20, v42
	v_perm_b32 v15, v69, v64, s2
	s_nop 2
	v_cvt_f16_f32_e32 v1, v6
	v_cvt_f16_f32_e32 v7, v7
	;; [unrolled: 1-line block ×4, first 2 shown]
	v_cvt_f32_f16_e32 v6, v1
	v_cvt_f32_f16_e32 v7, v7
	;; [unrolled: 1-line block ×4, first 2 shown]
	v_cvt_f32_f16_sdwa v13, v19 dst_sel:DWORD dst_unused:UNUSED_PAD src0_sel:WORD_1
	ds_read_u16 v54, v37 offset:128
	ds_read_u16 v62, v37 offset:160
	v_mfma_f32_16x16x16_f16 v[6:9], v[10:11], v[28:29], v[6:9]
	v_cvt_f32_f16_e32 v10, v12
	v_cvt_f32_f16_sdwa v11, v12 dst_sel:DWORD dst_unused:UNUSED_PAD src0_sel:WORD_1
	v_cvt_f32_f16_e32 v12, v19
	ds_read_u16 v1, v36 offset:7744
	ds_read_u16 v55, v36 offset:7776
	;; [unrolled: 1-line block ×4, first 2 shown]
	v_mfma_f32_16x16x16_f16 v[10:13], v[14:15], v[26:27], v[10:13]
	v_perm_b32 v15, v56, v24, s2
	s_waitcnt lgkmcnt(3)
	v_perm_b32 v14, v75, v1, s2
	v_pk_mul_f16 v1, v89, v42
	s_nop 3
	v_cvt_f16_f32_e32 v10, v10
	v_cvt_f16_f32_e32 v11, v11
	;; [unrolled: 1-line block ×4, first 2 shown]
	v_cvt_f32_f16_e32 v10, v10
	v_cvt_f32_f16_e32 v11, v11
	;; [unrolled: 1-line block ×4, first 2 shown]
	v_pk_mul_f16 v21, v88, v42
	v_perm_b32 v19, v70, v65, s2
	v_perm_b32 v18, v18, v17, s2
	v_mfma_f32_16x16x16_f16 v[10:13], v[14:15], v[28:29], v[10:13]
	v_cvt_f32_f16_e32 v14, v1
	v_cvt_f32_f16_sdwa v15, v1 dst_sel:DWORD dst_unused:UNUSED_PAD src0_sel:WORD_1
	v_cvt_f32_f16_e32 v16, v21
	v_cvt_f32_f16_sdwa v17, v21 dst_sel:DWORD dst_unused:UNUSED_PAD src0_sel:WORD_1
	v_add_f32_e32 v1, v40, v0
	v_cndmask_b32_e64 v21, v0, v1, s[10:11]
	v_mfma_f32_16x16x16_f16 v[14:17], v[18:19], v[26:27], v[14:17]
	ds_read_u16 v20, v36 offset:8016
	ds_read_u16 v64, v36 offset:8048
	ds_read_u16 v36, v36 offset:8080
	v_add_f32_e32 v24, v21, v41
	v_cndmask_b32_e64 v24, v21, v24, s[8:9]
	s_nop 2
	v_cvt_f16_f32_e32 v0, v14
	v_cvt_f16_f32_e32 v1, v15
	;; [unrolled: 1-line block ×4, first 2 shown]
	v_cvt_f32_f16_e32 v14, v0
	v_cvt_f32_f16_e32 v15, v1
	v_perm_b32 v1, v57, v51, s2
	s_waitcnt lgkmcnt(2)
	v_perm_b32 v0, v20, v55, s2
	v_cvt_f32_f16_e32 v16, v16
	v_cvt_f32_f16_e32 v17, v17
	v_pk_mul_f16 v19, v87, v42
	v_pk_mul_f16 v21, v86, v42
	v_mfma_f32_16x16x16_f16 v[14:17], v[0:1], v[28:29], v[14:17]
	v_perm_b32 v1, v71, v54, s2
	v_perm_b32 v0, v23, v22, s2
	v_cvt_f32_f16_e32 v18, v19
	v_cvt_f32_f16_sdwa v19, v19 dst_sel:DWORD dst_unused:UNUSED_PAD src0_sel:WORD_1
	v_cvt_f32_f16_e32 v20, v21
	v_cvt_f32_f16_sdwa v21, v21 dst_sel:DWORD dst_unused:UNUSED_PAD src0_sel:WORD_1
	v_add_f32_e32 v22, v24, v43
	v_cndmask_b32_e64 v22, v24, v22, s[6:7]
	v_mfma_f32_16x16x16_f16 v[18:21], v[0:1], v[26:27], v[18:21]
	v_add_f32_e32 v23, v44, v22
	v_cndmask_b32_e64 v40, v22, v23, s[4:5]
	v_pk_mul_f16 v23, v85, v42
	v_pk_mul_f16 v41, v84, v42
	s_nop 3
	v_cvt_f16_f32_e32 v0, v18
	v_cvt_f16_f32_e32 v1, v19
	;; [unrolled: 1-line block ×4, first 2 shown]
	v_cvt_f32_f16_e32 v18, v0
	v_cvt_f32_f16_e32 v19, v1
	v_perm_b32 v1, v58, v52, s2
	s_waitcnt lgkmcnt(1)
	v_perm_b32 v0, v64, v67, s2
	v_cvt_f32_f16_e32 v20, v20
	v_cvt_f32_f16_e32 v21, v21
	;; [unrolled: 1-line block ×3, first 2 shown]
	v_cvt_f32_f16_sdwa v23, v23 dst_sel:DWORD dst_unused:UNUSED_PAD src0_sel:WORD_1
	v_mfma_f32_16x16x16_f16 v[18:21], v[0:1], v[28:29], v[18:21]
	v_perm_b32 v1, v72, v62, s2
	v_perm_b32 v0, v49, v25, s2
	v_cvt_f32_f16_e32 v24, v41
	v_cvt_f32_f16_sdwa v25, v41 dst_sel:DWORD dst_unused:UNUSED_PAD src0_sel:WORD_1
	ds_read_u16 v37, v37 offset:7840
	v_add_f32_e32 v41, v45, v40
	v_mfma_f32_16x16x16_f16 v[22:25], v[0:1], v[26:27], v[22:25]
	v_cndmask_b32_e64 v40, v40, v41, s[22:23]
	v_add_f32_e32 v41, v46, v40
	v_pk_mul_f16 v43, v82, v42
	s_movk_i32 s4, 0xf0
	s_nop 3
	v_cvt_f16_f32_e32 v0, v22
	v_cvt_f16_f32_e32 v1, v23
	;; [unrolled: 1-line block ×4, first 2 shown]
	v_cvt_f32_f16_e32 v22, v0
	v_cvt_f32_f16_e32 v23, v1
	s_waitcnt lgkmcnt(0)
	v_perm_b32 v1, v59, v37, s2
	v_perm_b32 v0, v36, v68, s2
	v_cvt_f32_f16_e32 v24, v24
	v_cvt_f32_f16_e32 v25, v25
	v_pk_mul_f16 v37, v83, v42
	v_cndmask_b32_e64 v36, v40, v41, s[0:1]
	v_mfma_f32_16x16x16_f16 v[22:25], v[0:1], v[28:29], v[22:25]
	v_perm_b32 v1, v61, v53, s2
	v_perm_b32 v0, v50, v48, s2
	v_cvt_f32_f16_e32 v40, v37
	v_cvt_f32_f16_sdwa v41, v37 dst_sel:DWORD dst_unused:UNUSED_PAD src0_sel:WORD_1
	v_cvt_f32_f16_e32 v42, v43
	v_cvt_f32_f16_sdwa v43, v43 dst_sel:DWORD dst_unused:UNUSED_PAD src0_sel:WORD_1
	v_add_f32_e32 v37, v47, v36
	v_cndmask_b32_e32 v36, v36, v37, vcc
	v_mfma_f32_16x16x16_f16 v[40:43], v[0:1], v[26:27], v[40:43]
	v_fmac_f32_e32 v36, v73, v35
	ds_bpermute_b32 v32, v32, v36
	v_cmp_gt_u32_e64 s[0:1], 16, v63
	s_waitcnt lgkmcnt(0)
	s_nop 3
	v_cvt_f16_f32_e32 v0, v40
	v_cvt_f16_f32_e32 v1, v41
	;; [unrolled: 1-line block ×4, first 2 shown]
	v_cvt_f32_f16_e32 v40, v0
	v_cvt_f32_f16_e32 v41, v1
	v_perm_b32 v1, v60, v74, s2
	v_perm_b32 v0, v66, v76, s2
	v_cvt_f32_f16_e32 v42, v26
	v_cvt_f32_f16_e32 v43, v27
	s_barrier
	s_nop 0
	v_mfma_f32_16x16x16_f16 v[26:29], v[0:1], v[28:29], v[40:43]
	v_add_f32_e32 v0, v36, v32
	ds_bpermute_b32 v1, v33, v0
	s_and_saveexec_b64 s[2:3], s[0:1]
	s_cbranch_execz .LBB19_373
; %bb.372:
	s_waitcnt lgkmcnt(0)
	v_add_f32_e32 v0, v0, v1
	v_or_b32_e32 v1, v135, v63
	v_mad_u32_u24 v1, v1, s4, 0
	ds_write2_b32 v1, v34, v0 offset0:56 offset1:57
.LBB19_373:
	s_or_b64 exec, exec, s[2:3]
	v_and_b32_e32 v0, 1, v133
	v_cmp_eq_u32_e32 vcc, 0, v0
	v_cmp_eq_u32_e64 s[4:5], 1, v0
	s_waitcnt lgkmcnt(0)
	s_barrier
	s_and_saveexec_b64 s[2:3], s[4:5]
	s_xor_b64 s[2:3], exec, s[2:3]
	s_cbranch_execz .LBB19_375
; %bb.374:
	s_barrier
                                        ; implicit-def: $vgpr136
                                        ; implicit-def: $vgpr33
.LBB19_375:
	s_andn2_saveexec_b64 s[2:3], s[2:3]
	s_cbranch_execz .LBB19_381
; %bb.376:
	v_or_b32_e32 v1, v135, v38
	s_movk_i32 s4, 0xf0
	v_mad_u32_u24 v0, v1, s4, 0
	ds_read_b64 v[34:35], v0 offset:224
	s_mov_b32 s4, 0x3fb8aa3b
	s_mov_b32 s6, 0x42b17218
	s_waitcnt lgkmcnt(0)
	s_barrier
	ds_bpermute_b32 v0, v33, v34
	v_max_f32_e32 v32, v34, v34
	s_waitcnt lgkmcnt(0)
	v_max_f32_e32 v0, v0, v0
	v_max_f32_e32 v0, v32, v0
	v_sub_f32_e32 v32, v34, v0
	v_mul_f32_e32 v34, 0x3fb8aa3b, v32
	v_fma_f32 v36, v32, s4, -v34
	v_rndne_f32_e32 v37, v34
	v_fmamk_f32 v36, v32, 0x32a5705f, v36
	v_sub_f32_e32 v34, v34, v37
	v_add_f32_e32 v34, v34, v36
	v_cvt_i32_f32_e32 v37, v37
	v_exp_f32_e32 v34, v34
	s_mov_b32 s4, 0xc2ce8ed0
	v_cmp_ngt_f32_e64 s[4:5], s4, v32
	v_mov_b32_e32 v36, 0x7f800000
	v_ldexp_f32 v34, v34, v37
	v_cndmask_b32_e64 v34, 0, v34, s[4:5]
	v_cmp_nlt_f32_e64 s[4:5], s6, v32
	s_nop 1
	v_cndmask_b32_e64 v32, v36, v34, s[4:5]
	v_mul_f32_e32 v34, v35, v32
	ds_bpermute_b32 v33, v33, v34
	v_cmp_gt_u32_e64 s[4:5], 32, v63
	s_waitcnt lgkmcnt(0)
	v_fmac_f32_e32 v33, v35, v32
	s_and_saveexec_b64 s[6:7], s[4:5]
; %bb.377:
	v_mul_u32_u24_e32 v1, 0xf0, v1
	v_add_u32_e32 v1, 0, v1
	ds_write_b64 v1, v[32:33] offset:224
; %bb.378:
	s_or_b64 exec, exec, s[6:7]
	s_and_saveexec_b64 s[4:5], s[0:1]
	s_cbranch_execz .LBB19_380
; %bb.379:
	s_add_i32 s0, s65, s64
	s_lshl_b32 s0, s0, 5
	s_mov_b32 s1, 0
	s_lshl_b64 s[0:1], s[0:1], 3
	s_add_u32 s0, s30, s0
	v_or_b32_e32 v1, v136, v63
	s_addc_u32 s1, s31, s1
	v_lshlrev_b32_e32 v32, 3, v1
	v_mov_b32_e32 v1, v33
	global_store_dwordx2 v32, v[0:1], s[0:1]
.LBB19_380:
	s_or_b64 exec, exec, s[4:5]
.LBB19_381:
	s_or_b64 exec, exec, s[2:3]
	v_cvt_pk_f16_f32 v1, v2, v3
	v_cvt_pk_f16_f32 v3, v6, v7
	;; [unrolled: 1-line block ×3, first 2 shown]
	v_or_b32_e32 v14, v135, v30
	v_mul_u32_u24_e32 v14, 0xf0, v14
	v_cvt_pk_f16_f32 v0, v4, v5
	s_movk_i32 s4, 0xf0
	s_mov_b32 s3, 0
	v_add3_u32 v14, 0, v14, v81
	v_cvt_pk_f16_f32 v2, v8, v9
	v_cvt_pk_f16_f32 v4, v12, v13
	;; [unrolled: 1-line block ×10, first 2 shown]
	ds_write2_b32 v14, v1, v0 offset1:1
	ds_write2_b32 v14, v3, v2 offset0:8 offset1:9
	ds_write2_b32 v14, v5, v4 offset0:16 offset1:17
	;; [unrolled: 1-line block ×6, first 2 shown]
	s_waitcnt lgkmcnt(0)
	s_barrier
	s_and_saveexec_b64 s[0:1], vcc
	s_cbranch_execz .LBB19_383
; %bb.382:
	s_mul_i32 s2, s64, 0x700
	s_lshl_b64 s[6:7], s[2:3], 3
	s_add_u32 s5, s30, s6
	s_addc_u32 s6, s31, s7
	s_lshl_b32 s2, s65, 6
	s_lshl_b64 s[2:3], s[2:3], 3
	v_add_u32_e32 v8, v134, v133
	s_add_u32 s2, s5, s2
	v_lshlrev_b32_e32 v9, 1, v8
	v_and_b32_e32 v10, 15, v8
	s_movk_i32 s5, 0xfe0
	v_and_or_b32 v2, v9, s5, v10
	v_mad_u32_u24 v0, v2, s4, v78
	ds_read2st64_b32 v[0:1], v0 offset1:15
	v_mad_u32_u24 v2, v2, s4, 0
	v_add_u32_e32 v2, 0xe0, v2
	ds_read2st64_b32 v[2:3], v2 offset1:15
	s_movk_i32 s5, 0x1fe0
	s_waitcnt lgkmcnt(1)
	v_cvt_f32_f16_e32 v4, v0
	v_cvt_f32_f16_sdwa v5, v0 dst_sel:DWORD dst_unused:UNUSED_PAD src0_sel:WORD_1
	v_cvt_f32_f16_e32 v0, v1
	v_cvt_f32_f16_sdwa v1, v1 dst_sel:DWORD dst_unused:UNUSED_PAD src0_sel:WORD_1
	v_mul_u32_u24_e32 v6, 56, v8
	s_waitcnt lgkmcnt(0)
	v_pk_fma_f32 v[4:5], v[2:3], v[4:5], 0 op_sel_hi:[0,1,0]
	v_mov_b32_e32 v2, v3
	v_pk_fma_f32 v[0:1], v[2:3], v[0:1], v[4:5] op_sel_hi:[0,1,1]
	v_add_u32_e32 v2, 4, v8
	v_lshlrev_b32_e32 v3, 1, v2
	v_and_b32_e32 v2, 15, v2
	v_and_or_b32 v4, v3, s5, v2
	v_mad_u32_u24 v2, v4, s4, v78
	ds_read2st64_b32 v[2:3], v2 offset1:15
	v_mad_u32_u24 v4, v4, s4, 0
	v_add_u32_e32 v4, 0xe0, v4
	ds_read2st64_b32 v[4:5], v4 offset1:15
	v_add_lshl_u32 v11, v6, v38, 3
	s_waitcnt lgkmcnt(1)
	v_cvt_f32_f16_e32 v6, v2
	v_cvt_f32_f16_sdwa v7, v2 dst_sel:DWORD dst_unused:UNUSED_PAD src0_sel:WORD_1
	v_cvt_f32_f16_e32 v2, v3
	v_cvt_f32_f16_sdwa v3, v3 dst_sel:DWORD dst_unused:UNUSED_PAD src0_sel:WORD_1
	s_addc_u32 s3, s6, s3
	global_store_dwordx2 v11, v[0:1], s[2:3]
	s_waitcnt lgkmcnt(0)
	v_pk_fma_f32 v[0:1], v[4:5], v[6:7], 0 op_sel_hi:[0,1,0]
	v_mov_b32_e32 v4, v5
	v_pk_fma_f32 v[0:1], v[4:5], v[2:3], v[0:1] op_sel_hi:[0,1,1]
	v_add_u32_e32 v2, 8, v8
	v_lshlrev_b32_e32 v3, 1, v2
	v_and_b32_e32 v2, 15, v2
	v_and_or_b32 v4, v3, s5, v2
	v_mad_u32_u24 v2, v4, s4, v78
	ds_read2st64_b32 v[2:3], v2 offset1:15
	global_store_dwordx2 v11, v[0:1], s[2:3] offset:1792
	v_mad_u32_u24 v0, v4, s4, 0
	v_add_u32_e32 v0, 0xe0, v0
	ds_read2st64_b32 v[0:1], v0 offset1:15
	s_waitcnt lgkmcnt(1)
	v_cvt_f32_f16_e32 v4, v2
	v_cvt_f32_f16_sdwa v5, v2 dst_sel:DWORD dst_unused:UNUSED_PAD src0_sel:WORD_1
	v_cvt_f32_f16_e32 v2, v3
	v_cvt_f32_f16_sdwa v3, v3 dst_sel:DWORD dst_unused:UNUSED_PAD src0_sel:WORD_1
	v_add_u32_e32 v6, 0xe00, v11
	s_waitcnt lgkmcnt(0)
	v_pk_fma_f32 v[4:5], v[0:1], v[4:5], 0 op_sel_hi:[0,1,0]
	v_mov_b32_e32 v0, v1
	v_pk_fma_f32 v[0:1], v[0:1], v[2:3], v[4:5] op_sel_hi:[0,1,1]
	v_add_u32_e32 v2, 12, v8
	v_lshlrev_b32_e32 v3, 1, v2
	v_and_b32_e32 v2, 15, v2
	v_and_or_b32 v4, v3, s5, v2
	v_mad_u32_u24 v2, v4, s4, v78
	ds_read2st64_b32 v[2:3], v2 offset1:15
	global_store_dwordx2 v6, v[0:1], s[2:3]
	v_mad_u32_u24 v0, v4, s4, 0
	v_add_u32_e32 v0, 0xe0, v0
	ds_read2st64_b32 v[0:1], v0 offset1:15
	s_waitcnt lgkmcnt(1)
	v_cvt_f32_f16_e32 v4, v2
	v_cvt_f32_f16_sdwa v5, v2 dst_sel:DWORD dst_unused:UNUSED_PAD src0_sel:WORD_1
	v_cvt_f32_f16_e32 v2, v3
	v_cvt_f32_f16_sdwa v3, v3 dst_sel:DWORD dst_unused:UNUSED_PAD src0_sel:WORD_1
	v_add_u32_e32 v6, 0x1500, v11
	s_waitcnt lgkmcnt(0)
	v_pk_fma_f32 v[4:5], v[0:1], v[4:5], 0 op_sel_hi:[0,1,0]
	v_mov_b32_e32 v0, v1
	v_pk_fma_f32 v[0:1], v[0:1], v[2:3], v[4:5] op_sel_hi:[0,1,1]
	v_add_u32_e32 v2, 32, v9
	v_and_or_b32 v4, v2, s5, v10
	v_mad_u32_u24 v2, v4, s4, v78
	ds_read2st64_b32 v[2:3], v2 offset1:15
	global_store_dwordx2 v6, v[0:1], s[2:3]
	v_mad_u32_u24 v0, v4, s4, 0
	v_add_u32_e32 v0, 0xe0, v0
	ds_read2st64_b32 v[0:1], v0 offset1:15
	s_waitcnt lgkmcnt(1)
	v_cvt_f32_f16_e32 v4, v2
	v_cvt_f32_f16_sdwa v5, v2 dst_sel:DWORD dst_unused:UNUSED_PAD src0_sel:WORD_1
	v_cvt_f32_f16_e32 v2, v3
	v_cvt_f32_f16_sdwa v3, v3 dst_sel:DWORD dst_unused:UNUSED_PAD src0_sel:WORD_1
	v_add_u32_e32 v6, 0x1c00, v11
	s_waitcnt lgkmcnt(0)
	v_pk_fma_f32 v[4:5], v[0:1], v[4:5], 0 op_sel_hi:[0,1,0]
	v_mov_b32_e32 v0, v1
	v_pk_fma_f32 v[0:1], v[0:1], v[2:3], v[4:5] op_sel_hi:[0,1,1]
	v_add_u32_e32 v2, 20, v8
	v_lshlrev_b32_e32 v3, 1, v2
	v_and_b32_e32 v2, 15, v2
	v_and_or_b32 v4, v3, s5, v2
	v_mad_u32_u24 v2, v4, s4, v78
	ds_read2st64_b32 v[2:3], v2 offset1:15
	global_store_dwordx2 v6, v[0:1], s[2:3]
	v_mad_u32_u24 v0, v4, s4, 0
	v_add_u32_e32 v0, 0xe0, v0
	ds_read2st64_b32 v[0:1], v0 offset1:15
	s_waitcnt lgkmcnt(1)
	v_cvt_f32_f16_e32 v4, v2
	v_cvt_f32_f16_sdwa v5, v2 dst_sel:DWORD dst_unused:UNUSED_PAD src0_sel:WORD_1
	v_cvt_f32_f16_e32 v2, v3
	v_cvt_f32_f16_sdwa v3, v3 dst_sel:DWORD dst_unused:UNUSED_PAD src0_sel:WORD_1
	v_add_u32_e32 v6, 0x2300, v11
	s_waitcnt lgkmcnt(0)
	v_pk_fma_f32 v[4:5], v[0:1], v[4:5], 0 op_sel_hi:[0,1,0]
	v_mov_b32_e32 v0, v1
	v_pk_fma_f32 v[0:1], v[0:1], v[2:3], v[4:5] op_sel_hi:[0,1,1]
	v_add_u32_e32 v2, 24, v8
	v_lshlrev_b32_e32 v3, 1, v2
	v_and_b32_e32 v2, 15, v2
	;; [unrolled: 20-line block ×3, first 2 shown]
	v_and_or_b32 v4, v3, s5, v2
	v_mad_u32_u24 v2, v4, s4, v78
	ds_read2st64_b32 v[2:3], v2 offset1:15
	global_store_dwordx2 v6, v[0:1], s[2:3]
	v_mad_u32_u24 v0, v4, s4, 0
	v_add_u32_e32 v0, 0xe0, v0
	ds_read2st64_b32 v[0:1], v0 offset1:15
	s_waitcnt lgkmcnt(1)
	v_cvt_f32_f16_e32 v4, v2
	v_cvt_f32_f16_sdwa v5, v2 dst_sel:DWORD dst_unused:UNUSED_PAD src0_sel:WORD_1
	v_cvt_f32_f16_e32 v2, v3
	v_cvt_f32_f16_sdwa v3, v3 dst_sel:DWORD dst_unused:UNUSED_PAD src0_sel:WORD_1
	v_add_u32_e32 v7, v132, v80
	s_waitcnt lgkmcnt(0)
	v_pk_fma_f32 v[4:5], v[0:1], v[4:5], 0 op_sel_hi:[0,1,0]
	v_mov_b32_e32 v0, v1
	v_lshlrev_b32_e32 v8, 1, v7
	v_and_b32_e32 v9, 15, v7
	v_pk_fma_f32 v[0:1], v[0:1], v[2:3], v[4:5] op_sel_hi:[0,1,1]
	v_and_or_b32 v4, v8, s5, v9
	v_mad_u32_u24 v2, v4, s4, v79
	v_add_u32_e32 v2, 0x80, v2
	ds_read2st64_b32 v[2:3], v2 offset1:15
	v_add_u32_e32 v6, 0x3100, v11
	global_store_dwordx2 v6, v[0:1], s[2:3]
	v_mad_u32_u24 v0, v4, s4, 0
	v_add_u32_e32 v0, 0xe0, v0
	ds_read2st64_b32 v[0:1], v0 offset1:15
	s_waitcnt lgkmcnt(1)
	v_cvt_f32_f16_e32 v4, v2
	v_cvt_f32_f16_sdwa v5, v2 dst_sel:DWORD dst_unused:UNUSED_PAD src0_sel:WORD_1
	v_cvt_f32_f16_e32 v2, v3
	v_cvt_f32_f16_sdwa v3, v3 dst_sel:DWORD dst_unused:UNUSED_PAD src0_sel:WORD_1
	s_movk_i32 s5, 0x3fe0
	s_waitcnt lgkmcnt(0)
	v_pk_fma_f32 v[4:5], v[0:1], v[4:5], 0 op_sel_hi:[0,1,0]
	v_mov_b32_e32 v0, v1
	v_pk_fma_f32 v[0:1], v[0:1], v[2:3], v[4:5] op_sel_hi:[0,1,1]
	v_add_u32_e32 v2, 8, v7
	v_lshlrev_b32_e32 v3, 1, v2
	v_and_b32_e32 v2, 15, v2
	v_and_or_b32 v4, v3, s5, v2
	v_mad_u32_u24 v2, v4, s4, v79
	v_add_u32_e32 v2, 0x80, v2
	v_mul_u32_u24_e32 v6, 56, v7
	ds_read2st64_b32 v[2:3], v2 offset1:15
	v_add_lshl_u32 v6, v6, v30, 3
	global_store_dwordx2 v6, v[0:1], s[2:3] offset:256
	v_mad_u32_u24 v0, v4, s4, 0
	v_add_u32_e32 v0, 0xe0, v0
	ds_read2st64_b32 v[0:1], v0 offset1:15
	s_waitcnt lgkmcnt(1)
	v_cvt_f32_f16_e32 v4, v2
	v_cvt_f32_f16_sdwa v5, v2 dst_sel:DWORD dst_unused:UNUSED_PAD src0_sel:WORD_1
	v_cvt_f32_f16_e32 v2, v3
	v_cvt_f32_f16_sdwa v3, v3 dst_sel:DWORD dst_unused:UNUSED_PAD src0_sel:WORD_1
	v_add_u32_e32 v10, 0xe00, v6
	s_waitcnt lgkmcnt(0)
	v_pk_fma_f32 v[4:5], v[0:1], v[4:5], 0 op_sel_hi:[0,1,0]
	v_mov_b32_e32 v0, v1
	v_pk_fma_f32 v[0:1], v[0:1], v[2:3], v[4:5] op_sel_hi:[0,1,1]
	v_add_u32_e32 v2, 32, v8
	v_and_or_b32 v4, v2, s5, v9
	v_mad_u32_u24 v2, v4, s4, v79
	v_add_u32_e32 v2, 0x80, v2
	ds_read2st64_b32 v[2:3], v2 offset1:15
	global_store_dwordx2 v10, v[0:1], s[2:3] offset:256
	v_mad_u32_u24 v0, v4, s4, 0
	v_add_u32_e32 v0, 0xe0, v0
	ds_read2st64_b32 v[0:1], v0 offset1:15
	s_waitcnt lgkmcnt(1)
	v_cvt_f32_f16_e32 v4, v2
	v_cvt_f32_f16_sdwa v5, v2 dst_sel:DWORD dst_unused:UNUSED_PAD src0_sel:WORD_1
	v_cvt_f32_f16_e32 v2, v3
	v_cvt_f32_f16_sdwa v3, v3 dst_sel:DWORD dst_unused:UNUSED_PAD src0_sel:WORD_1
	v_add_u32_e32 v8, 0x1c00, v6
	s_waitcnt lgkmcnt(0)
	v_pk_fma_f32 v[4:5], v[0:1], v[4:5], 0 op_sel_hi:[0,1,0]
	v_mov_b32_e32 v0, v1
	v_pk_fma_f32 v[0:1], v[0:1], v[2:3], v[4:5] op_sel_hi:[0,1,1]
	v_add_u32_e32 v2, 24, v7
	v_lshlrev_b32_e32 v3, 1, v2
	v_and_b32_e32 v2, 15, v2
	v_and_or_b32 v4, v3, s5, v2
	v_mad_u32_u24 v2, v4, s4, v79
	v_add_u32_e32 v2, 0x80, v2
	ds_read2st64_b32 v[2:3], v2 offset1:15
	global_store_dwordx2 v8, v[0:1], s[2:3] offset:256
	v_mad_u32_u24 v0, v4, s4, 0
	v_add_u32_e32 v0, 0xe0, v0
	ds_read2st64_b32 v[0:1], v0 offset1:15
	s_waitcnt lgkmcnt(1)
	v_cvt_f32_f16_e32 v4, v2
	v_cvt_f32_f16_sdwa v5, v2 dst_sel:DWORD dst_unused:UNUSED_PAD src0_sel:WORD_1
	v_cvt_f32_f16_e32 v2, v3
	v_cvt_f32_f16_sdwa v3, v3 dst_sel:DWORD dst_unused:UNUSED_PAD src0_sel:WORD_1
	v_add_u32_e32 v6, 0x2a00, v6
	s_waitcnt lgkmcnt(0)
	v_pk_fma_f32 v[4:5], v[0:1], v[4:5], 0 op_sel_hi:[0,1,0]
	v_mov_b32_e32 v0, v1
	v_pk_fma_f32 v[0:1], v[0:1], v[2:3], v[4:5] op_sel_hi:[0,1,1]
	v_add_u32_e32 v2, v39, v31
	global_store_dwordx2 v6, v[0:1], s[2:3] offset:256
	v_and_b32_e32 v6, 7, v63
	v_and_b32_e32 v8, 15, v2
	v_lshlrev_b32_e32 v9, 1, v2
	v_lshl_add_u32 v7, v6, 2, 0
	v_and_or_b32 v3, v9, s5, v8
	v_mad_u32_u24 v0, v3, s4, v7
	v_add_u32_e32 v0, 0xc0, v0
	ds_read2st64_b32 v[0:1], v0 offset1:15
	v_mad_u32_u24 v3, v3, s4, 0
	v_mul_u32_u24_e32 v10, 56, v2
	v_add_u32_e32 v2, 0xe0, v3
	ds_read2st64_b32 v[2:3], v2 offset1:15
	s_waitcnt lgkmcnt(1)
	v_cvt_f32_f16_e32 v4, v0
	v_cvt_f32_f16_sdwa v5, v0 dst_sel:DWORD dst_unused:UNUSED_PAD src0_sel:WORD_1
	v_cvt_f32_f16_e32 v0, v1
	v_cvt_f32_f16_sdwa v1, v1 dst_sel:DWORD dst_unused:UNUSED_PAD src0_sel:WORD_1
	s_movk_i32 s5, 0x7fe0
	s_waitcnt lgkmcnt(0)
	v_pk_fma_f32 v[4:5], v[2:3], v[4:5], 0 op_sel_hi:[0,1,0]
	v_mov_b32_e32 v2, v3
	v_pk_fma_f32 v[0:1], v[2:3], v[0:1], v[4:5] op_sel_hi:[0,1,1]
	v_add_u32_e32 v2, 32, v9
	v_and_or_b32 v4, v2, s5, v8
	v_mad_u32_u24 v2, v4, s4, v7
	v_add_u32_e32 v2, 0xc0, v2
	v_or_b32_e32 v6, v10, v6
	ds_read2st64_b32 v[2:3], v2 offset1:15
	v_lshlrev_b32_e32 v6, 3, v6
	global_store_dwordx2 v6, v[0:1], s[2:3] offset:384
	v_mad_u32_u24 v0, v4, s4, 0
	v_add_u32_e32 v0, 0xe0, v0
	ds_read2st64_b32 v[0:1], v0 offset1:15
	s_waitcnt lgkmcnt(1)
	v_cvt_f32_f16_e32 v4, v2
	v_cvt_f32_f16_sdwa v5, v2 dst_sel:DWORD dst_unused:UNUSED_PAD src0_sel:WORD_1
	v_cvt_f32_f16_e32 v2, v3
	v_cvt_f32_f16_sdwa v3, v3 dst_sel:DWORD dst_unused:UNUSED_PAD src0_sel:WORD_1
	v_add_u32_e32 v6, 0x1c00, v6
	s_waitcnt lgkmcnt(0)
	v_pk_fma_f32 v[4:5], v[0:1], v[4:5], 0 op_sel_hi:[0,1,0]
	v_mov_b32_e32 v0, v1
	v_pk_fma_f32 v[0:1], v[0:1], v[2:3], v[4:5] op_sel_hi:[0,1,1]
	global_store_dwordx2 v6, v[0:1], s[2:3] offset:384
.LBB19_383:
	s_or_b64 exec, exec, s[0:1]
	s_barrier
	s_endpgm
.LBB19_384:
                                        ; implicit-def: $vgpr0_vgpr1_vgpr2_vgpr3
                                        ; implicit-def: $vgpr4_vgpr5_vgpr6_vgpr7
                                        ; implicit-def: $vgpr32
                                        ; implicit-def: $vgpr29
	s_branch .LBB19_368
	.section	.rodata,"a",@progbits
	.p2align	6, 0x0
	.amdhsa_kernel _ZL18flash_attn_ext_f16ILi112ELi112ELi32ELi1ELb0ELb0EEvPKcS1_S1_S1_S1_PKiPfP15HIP_vector_typeIfLj2EEffffjfiS5_IjLj3EEiiiiiiiiiiiliiliiiiil
		.amdhsa_group_segment_fixed_size 0
		.amdhsa_private_segment_fixed_size 32
		.amdhsa_kernarg_size 464
		.amdhsa_user_sgpr_count 2
		.amdhsa_user_sgpr_dispatch_ptr 0
		.amdhsa_user_sgpr_queue_ptr 0
		.amdhsa_user_sgpr_kernarg_segment_ptr 1
		.amdhsa_user_sgpr_dispatch_id 0
		.amdhsa_user_sgpr_kernarg_preload_length 0
		.amdhsa_user_sgpr_kernarg_preload_offset 0
		.amdhsa_user_sgpr_private_segment_size 0
		.amdhsa_uses_dynamic_stack 0
		.amdhsa_enable_private_segment 1
		.amdhsa_system_sgpr_workgroup_id_x 1
		.amdhsa_system_sgpr_workgroup_id_y 0
		.amdhsa_system_sgpr_workgroup_id_z 0
		.amdhsa_system_sgpr_workgroup_info 0
		.amdhsa_system_vgpr_workitem_id 1
		.amdhsa_next_free_vgpr 244
		.amdhsa_next_free_sgpr 100
		.amdhsa_accum_offset 244
		.amdhsa_reserve_vcc 1
		.amdhsa_float_round_mode_32 0
		.amdhsa_float_round_mode_16_64 0
		.amdhsa_float_denorm_mode_32 3
		.amdhsa_float_denorm_mode_16_64 3
		.amdhsa_dx10_clamp 1
		.amdhsa_ieee_mode 1
		.amdhsa_fp16_overflow 0
		.amdhsa_tg_split 0
		.amdhsa_exception_fp_ieee_invalid_op 0
		.amdhsa_exception_fp_denorm_src 0
		.amdhsa_exception_fp_ieee_div_zero 0
		.amdhsa_exception_fp_ieee_overflow 0
		.amdhsa_exception_fp_ieee_underflow 0
		.amdhsa_exception_fp_ieee_inexact 0
		.amdhsa_exception_int_div_zero 0
	.end_amdhsa_kernel
	.section	.text._ZL18flash_attn_ext_f16ILi112ELi112ELi32ELi1ELb0ELb0EEvPKcS1_S1_S1_S1_PKiPfP15HIP_vector_typeIfLj2EEffffjfiS5_IjLj3EEiiiiiiiiiiiliiliiiiil,"axG",@progbits,_ZL18flash_attn_ext_f16ILi112ELi112ELi32ELi1ELb0ELb0EEvPKcS1_S1_S1_S1_PKiPfP15HIP_vector_typeIfLj2EEffffjfiS5_IjLj3EEiiiiiiiiiiiliiliiiiil,comdat
.Lfunc_end19:
	.size	_ZL18flash_attn_ext_f16ILi112ELi112ELi32ELi1ELb0ELb0EEvPKcS1_S1_S1_S1_PKiPfP15HIP_vector_typeIfLj2EEffffjfiS5_IjLj3EEiiiiiiiiiiiliiliiiiil, .Lfunc_end19-_ZL18flash_attn_ext_f16ILi112ELi112ELi32ELi1ELb0ELb0EEvPKcS1_S1_S1_S1_PKiPfP15HIP_vector_typeIfLj2EEffffjfiS5_IjLj3EEiiiiiiiiiiiliiliiiiil
                                        ; -- End function
	.set _ZL18flash_attn_ext_f16ILi112ELi112ELi32ELi1ELb0ELb0EEvPKcS1_S1_S1_S1_PKiPfP15HIP_vector_typeIfLj2EEffffjfiS5_IjLj3EEiiiiiiiiiiiliiliiiiil.num_vgpr, 244
	.set _ZL18flash_attn_ext_f16ILi112ELi112ELi32ELi1ELb0ELb0EEvPKcS1_S1_S1_S1_PKiPfP15HIP_vector_typeIfLj2EEffffjfiS5_IjLj3EEiiiiiiiiiiiliiliiiiil.num_agpr, 0
	.set _ZL18flash_attn_ext_f16ILi112ELi112ELi32ELi1ELb0ELb0EEvPKcS1_S1_S1_S1_PKiPfP15HIP_vector_typeIfLj2EEffffjfiS5_IjLj3EEiiiiiiiiiiiliiliiiiil.numbered_sgpr, 100
	.set _ZL18flash_attn_ext_f16ILi112ELi112ELi32ELi1ELb0ELb0EEvPKcS1_S1_S1_S1_PKiPfP15HIP_vector_typeIfLj2EEffffjfiS5_IjLj3EEiiiiiiiiiiiliiliiiiil.num_named_barrier, 0
	.set _ZL18flash_attn_ext_f16ILi112ELi112ELi32ELi1ELb0ELb0EEvPKcS1_S1_S1_S1_PKiPfP15HIP_vector_typeIfLj2EEffffjfiS5_IjLj3EEiiiiiiiiiiiliiliiiiil.private_seg_size, 32
	.set _ZL18flash_attn_ext_f16ILi112ELi112ELi32ELi1ELb0ELb0EEvPKcS1_S1_S1_S1_PKiPfP15HIP_vector_typeIfLj2EEffffjfiS5_IjLj3EEiiiiiiiiiiiliiliiiiil.uses_vcc, 1
	.set _ZL18flash_attn_ext_f16ILi112ELi112ELi32ELi1ELb0ELb0EEvPKcS1_S1_S1_S1_PKiPfP15HIP_vector_typeIfLj2EEffffjfiS5_IjLj3EEiiiiiiiiiiiliiliiiiil.uses_flat_scratch, 0
	.set _ZL18flash_attn_ext_f16ILi112ELi112ELi32ELi1ELb0ELb0EEvPKcS1_S1_S1_S1_PKiPfP15HIP_vector_typeIfLj2EEffffjfiS5_IjLj3EEiiiiiiiiiiiliiliiiiil.has_dyn_sized_stack, 0
	.set _ZL18flash_attn_ext_f16ILi112ELi112ELi32ELi1ELb0ELb0EEvPKcS1_S1_S1_S1_PKiPfP15HIP_vector_typeIfLj2EEffffjfiS5_IjLj3EEiiiiiiiiiiiliiliiiiil.has_recursion, 0
	.set _ZL18flash_attn_ext_f16ILi112ELi112ELi32ELi1ELb0ELb0EEvPKcS1_S1_S1_S1_PKiPfP15HIP_vector_typeIfLj2EEffffjfiS5_IjLj3EEiiiiiiiiiiiliiliiiiil.has_indirect_call, 0
	.section	.AMDGPU.csdata,"",@progbits
; Kernel info:
; codeLenInByte = 52724
; TotalNumSgprs: 106
; NumVgprs: 244
; NumAgprs: 0
; TotalNumVgprs: 244
; ScratchSize: 32
; MemoryBound: 0
; FloatMode: 240
; IeeeMode: 1
; LDSByteSize: 0 bytes/workgroup (compile time only)
; SGPRBlocks: 13
; VGPRBlocks: 30
; NumSGPRsForWavesPerEU: 106
; NumVGPRsForWavesPerEU: 244
; AccumOffset: 244
; Occupancy: 2
; WaveLimiterHint : 0
; COMPUTE_PGM_RSRC2:SCRATCH_EN: 1
; COMPUTE_PGM_RSRC2:USER_SGPR: 2
; COMPUTE_PGM_RSRC2:TRAP_HANDLER: 0
; COMPUTE_PGM_RSRC2:TGID_X_EN: 1
; COMPUTE_PGM_RSRC2:TGID_Y_EN: 0
; COMPUTE_PGM_RSRC2:TGID_Z_EN: 0
; COMPUTE_PGM_RSRC2:TIDIG_COMP_CNT: 1
; COMPUTE_PGM_RSRC3_GFX90A:ACCUM_OFFSET: 60
; COMPUTE_PGM_RSRC3_GFX90A:TG_SPLIT: 0
	.section	.text._ZL18flash_attn_ext_f16ILi112ELi112ELi32ELi1ELb1ELb0EEvPKcS1_S1_S1_S1_PKiPfP15HIP_vector_typeIfLj2EEffffjfiS5_IjLj3EEiiiiiiiiiiiliiliiiiil,"axG",@progbits,_ZL18flash_attn_ext_f16ILi112ELi112ELi32ELi1ELb1ELb0EEvPKcS1_S1_S1_S1_PKiPfP15HIP_vector_typeIfLj2EEffffjfiS5_IjLj3EEiiiiiiiiiiiliiliiiiil,comdat
	.globl	_ZL18flash_attn_ext_f16ILi112ELi112ELi32ELi1ELb1ELb0EEvPKcS1_S1_S1_S1_PKiPfP15HIP_vector_typeIfLj2EEffffjfiS5_IjLj3EEiiiiiiiiiiiliiliiiiil ; -- Begin function _ZL18flash_attn_ext_f16ILi112ELi112ELi32ELi1ELb1ELb0EEvPKcS1_S1_S1_S1_PKiPfP15HIP_vector_typeIfLj2EEffffjfiS5_IjLj3EEiiiiiiiiiiiliiliiiiil
	.p2align	8
	.type	_ZL18flash_attn_ext_f16ILi112ELi112ELi32ELi1ELb1ELb0EEvPKcS1_S1_S1_S1_PKiPfP15HIP_vector_typeIfLj2EEffffjfiS5_IjLj3EEiiiiiiiiiiiliiliiiiil,@function
_ZL18flash_attn_ext_f16ILi112ELi112ELi32ELi1ELb1ELb0EEvPKcS1_S1_S1_S1_PKiPfP15HIP_vector_typeIfLj2EEffffjfiS5_IjLj3EEiiiiiiiiiiiliiliiiiil: ; @_ZL18flash_attn_ext_f16ILi112ELi112ELi32ELi1ELb1ELb0EEvPKcS1_S1_S1_S1_PKiPfP15HIP_vector_typeIfLj2EEffffjfiS5_IjLj3EEiiiiiiiiiiiliiliiiiil
; %bb.0:
	s_add_u32 s8, s0, 0xd0
	s_addc_u32 s9, s1, 0
	s_getpc_b64 s[0:1]
	s_add_u32 s0, s0, _ZL14no_device_codePKciS0_iS0_@rel32@lo+4
	s_addc_u32 s1, s1, _ZL14no_device_codePKciS0_iS0_@rel32@hi+12
	s_mov_b32 s32, 0
	s_swappc_b64 s[30:31], s[0:1]
	.section	.rodata,"a",@progbits
	.p2align	6, 0x0
	.amdhsa_kernel _ZL18flash_attn_ext_f16ILi112ELi112ELi32ELi1ELb1ELb0EEvPKcS1_S1_S1_S1_PKiPfP15HIP_vector_typeIfLj2EEffffjfiS5_IjLj3EEiiiiiiiiiiiliiliiiiil
		.amdhsa_group_segment_fixed_size 0
		.amdhsa_private_segment_fixed_size 16
		.amdhsa_kernarg_size 464
		.amdhsa_user_sgpr_count 2
		.amdhsa_user_sgpr_dispatch_ptr 0
		.amdhsa_user_sgpr_queue_ptr 0
		.amdhsa_user_sgpr_kernarg_segment_ptr 1
		.amdhsa_user_sgpr_dispatch_id 0
		.amdhsa_user_sgpr_kernarg_preload_length 0
		.amdhsa_user_sgpr_kernarg_preload_offset 0
		.amdhsa_user_sgpr_private_segment_size 0
		.amdhsa_uses_dynamic_stack 0
		.amdhsa_enable_private_segment 1
		.amdhsa_system_sgpr_workgroup_id_x 1
		.amdhsa_system_sgpr_workgroup_id_y 0
		.amdhsa_system_sgpr_workgroup_id_z 0
		.amdhsa_system_sgpr_workgroup_info 0
		.amdhsa_system_vgpr_workitem_id 0
		.amdhsa_next_free_vgpr 50
		.amdhsa_next_free_sgpr 34
		.amdhsa_accum_offset 52
		.amdhsa_reserve_vcc 1
		.amdhsa_float_round_mode_32 0
		.amdhsa_float_round_mode_16_64 0
		.amdhsa_float_denorm_mode_32 3
		.amdhsa_float_denorm_mode_16_64 3
		.amdhsa_dx10_clamp 1
		.amdhsa_ieee_mode 1
		.amdhsa_fp16_overflow 0
		.amdhsa_tg_split 0
		.amdhsa_exception_fp_ieee_invalid_op 0
		.amdhsa_exception_fp_denorm_src 0
		.amdhsa_exception_fp_ieee_div_zero 0
		.amdhsa_exception_fp_ieee_overflow 0
		.amdhsa_exception_fp_ieee_underflow 0
		.amdhsa_exception_fp_ieee_inexact 0
		.amdhsa_exception_int_div_zero 0
	.end_amdhsa_kernel
	.section	.text._ZL18flash_attn_ext_f16ILi112ELi112ELi32ELi1ELb1ELb0EEvPKcS1_S1_S1_S1_PKiPfP15HIP_vector_typeIfLj2EEffffjfiS5_IjLj3EEiiiiiiiiiiiliiliiiiil,"axG",@progbits,_ZL18flash_attn_ext_f16ILi112ELi112ELi32ELi1ELb1ELb0EEvPKcS1_S1_S1_S1_PKiPfP15HIP_vector_typeIfLj2EEffffjfiS5_IjLj3EEiiiiiiiiiiiliiliiiiil,comdat
.Lfunc_end20:
	.size	_ZL18flash_attn_ext_f16ILi112ELi112ELi32ELi1ELb1ELb0EEvPKcS1_S1_S1_S1_PKiPfP15HIP_vector_typeIfLj2EEffffjfiS5_IjLj3EEiiiiiiiiiiiliiliiiiil, .Lfunc_end20-_ZL18flash_attn_ext_f16ILi112ELi112ELi32ELi1ELb1ELb0EEvPKcS1_S1_S1_S1_PKiPfP15HIP_vector_typeIfLj2EEffffjfiS5_IjLj3EEiiiiiiiiiiiliiliiiiil
                                        ; -- End function
	.set _ZL18flash_attn_ext_f16ILi112ELi112ELi32ELi1ELb1ELb0EEvPKcS1_S1_S1_S1_PKiPfP15HIP_vector_typeIfLj2EEffffjfiS5_IjLj3EEiiiiiiiiiiiliiliiiiil.num_vgpr, max(0, .L_ZL14no_device_codePKciS0_iS0_.num_vgpr)
	.set _ZL18flash_attn_ext_f16ILi112ELi112ELi32ELi1ELb1ELb0EEvPKcS1_S1_S1_S1_PKiPfP15HIP_vector_typeIfLj2EEffffjfiS5_IjLj3EEiiiiiiiiiiiliiliiiiil.num_agpr, max(0, .L_ZL14no_device_codePKciS0_iS0_.num_agpr)
	.set _ZL18flash_attn_ext_f16ILi112ELi112ELi32ELi1ELb1ELb0EEvPKcS1_S1_S1_S1_PKiPfP15HIP_vector_typeIfLj2EEffffjfiS5_IjLj3EEiiiiiiiiiiiliiliiiiil.numbered_sgpr, max(33, .L_ZL14no_device_codePKciS0_iS0_.numbered_sgpr)
	.set _ZL18flash_attn_ext_f16ILi112ELi112ELi32ELi1ELb1ELb0EEvPKcS1_S1_S1_S1_PKiPfP15HIP_vector_typeIfLj2EEffffjfiS5_IjLj3EEiiiiiiiiiiiliiliiiiil.num_named_barrier, max(0, .L_ZL14no_device_codePKciS0_iS0_.num_named_barrier)
	.set _ZL18flash_attn_ext_f16ILi112ELi112ELi32ELi1ELb1ELb0EEvPKcS1_S1_S1_S1_PKiPfP15HIP_vector_typeIfLj2EEffffjfiS5_IjLj3EEiiiiiiiiiiiliiliiiiil.private_seg_size, 0+max(.L_ZL14no_device_codePKciS0_iS0_.private_seg_size)
	.set _ZL18flash_attn_ext_f16ILi112ELi112ELi32ELi1ELb1ELb0EEvPKcS1_S1_S1_S1_PKiPfP15HIP_vector_typeIfLj2EEffffjfiS5_IjLj3EEiiiiiiiiiiiliiliiiiil.uses_vcc, or(1, .L_ZL14no_device_codePKciS0_iS0_.uses_vcc)
	.set _ZL18flash_attn_ext_f16ILi112ELi112ELi32ELi1ELb1ELb0EEvPKcS1_S1_S1_S1_PKiPfP15HIP_vector_typeIfLj2EEffffjfiS5_IjLj3EEiiiiiiiiiiiliiliiiiil.uses_flat_scratch, or(0, .L_ZL14no_device_codePKciS0_iS0_.uses_flat_scratch)
	.set _ZL18flash_attn_ext_f16ILi112ELi112ELi32ELi1ELb1ELb0EEvPKcS1_S1_S1_S1_PKiPfP15HIP_vector_typeIfLj2EEffffjfiS5_IjLj3EEiiiiiiiiiiiliiliiiiil.has_dyn_sized_stack, or(0, .L_ZL14no_device_codePKciS0_iS0_.has_dyn_sized_stack)
	.set _ZL18flash_attn_ext_f16ILi112ELi112ELi32ELi1ELb1ELb0EEvPKcS1_S1_S1_S1_PKiPfP15HIP_vector_typeIfLj2EEffffjfiS5_IjLj3EEiiiiiiiiiiiliiliiiiil.has_recursion, or(0, .L_ZL14no_device_codePKciS0_iS0_.has_recursion)
	.set _ZL18flash_attn_ext_f16ILi112ELi112ELi32ELi1ELb1ELb0EEvPKcS1_S1_S1_S1_PKiPfP15HIP_vector_typeIfLj2EEffffjfiS5_IjLj3EEiiiiiiiiiiiliiliiiiil.has_indirect_call, or(0, .L_ZL14no_device_codePKciS0_iS0_.has_indirect_call)
	.section	.AMDGPU.csdata,"",@progbits
; Kernel info:
; codeLenInByte = 40
; TotalNumSgprs: 40
; NumVgprs: 50
; NumAgprs: 0
; TotalNumVgprs: 50
; ScratchSize: 16
; MemoryBound: 0
; FloatMode: 240
; IeeeMode: 1
; LDSByteSize: 0 bytes/workgroup (compile time only)
; SGPRBlocks: 4
; VGPRBlocks: 6
; NumSGPRsForWavesPerEU: 40
; NumVGPRsForWavesPerEU: 50
; AccumOffset: 52
; Occupancy: 8
; WaveLimiterHint : 1
; COMPUTE_PGM_RSRC2:SCRATCH_EN: 1
; COMPUTE_PGM_RSRC2:USER_SGPR: 2
; COMPUTE_PGM_RSRC2:TRAP_HANDLER: 0
; COMPUTE_PGM_RSRC2:TGID_X_EN: 1
; COMPUTE_PGM_RSRC2:TGID_Y_EN: 0
; COMPUTE_PGM_RSRC2:TGID_Z_EN: 0
; COMPUTE_PGM_RSRC2:TIDIG_COMP_CNT: 0
; COMPUTE_PGM_RSRC3_GFX90A:ACCUM_OFFSET: 12
; COMPUTE_PGM_RSRC3_GFX90A:TG_SPLIT: 0
	.section	.text._ZL33flash_attn_stream_k_fixup_uniformILi112ELi32ELi1EEvPfPK15HIP_vector_typeIfLj2EEiiiiiiS1_IjLj3EES5_S5_,"axG",@progbits,_ZL33flash_attn_stream_k_fixup_uniformILi112ELi32ELi1EEvPfPK15HIP_vector_typeIfLj2EEiiiiiiS1_IjLj3EES5_S5_,comdat
	.globl	_ZL33flash_attn_stream_k_fixup_uniformILi112ELi32ELi1EEvPfPK15HIP_vector_typeIfLj2EEiiiiiiS1_IjLj3EES5_S5_ ; -- Begin function _ZL33flash_attn_stream_k_fixup_uniformILi112ELi32ELi1EEvPfPK15HIP_vector_typeIfLj2EEiiiiiiS1_IjLj3EES5_S5_
	.p2align	8
	.type	_ZL33flash_attn_stream_k_fixup_uniformILi112ELi32ELi1EEvPfPK15HIP_vector_typeIfLj2EEiiiiiiS1_IjLj3EES5_S5_,@function
_ZL33flash_attn_stream_k_fixup_uniformILi112ELi32ELi1EEvPfPK15HIP_vector_typeIfLj2EEiiiiiiS1_IjLj3EES5_S5_: ; @_ZL33flash_attn_stream_k_fixup_uniformILi112ELi32ELi1EEvPfPK15HIP_vector_typeIfLj2EEiiiiiiS1_IjLj3EES5_S5_
; %bb.0:
	s_load_dwordx8 s[8:15], s[0:1], 0x1c
	s_load_dwordx2 s[6:7], s[0:1], 0x10
	s_load_dwordx4 s[16:19], s[0:1], 0x3c
	s_waitcnt lgkmcnt(0)
	s_mul_hi_u32 s5, s11, s2
	s_add_i32 s5, s2, s5
	s_lshr_b32 s5, s5, s12
	s_mul_i32 s11, s5, s13
	s_sub_i32 s12, s2, s11
	s_mul_hi_u32 s11, s12, s14
	s_add_i32 s11, s12, s11
	s_lshr_b32 s11, s11, s15
	s_mul_i32 s13, s11, s16
	s_sub_i32 s12, s12, s13
	;; [unrolled: 5-line block ×3, first 2 shown]
	s_lshl_b32 s12, s17, 5
	s_add_i32 s12, s12, s3
	s_cmp_lt_i32 s12, s6
	s_cselect_b64 s[12:13], -1, 0
	s_add_i32 s16, s16, s4
	s_cmp_lt_i32 s16, s9
	s_cselect_b64 s[14:15], -1, 0
	s_and_b64 s[12:13], s[12:13], s[14:15]
	s_andn2_b64 vcc, exec, s[12:13]
	s_cbranch_vccnz .LBB21_6
; %bb.1:
	s_load_dwordx4 s[12:15], s[0:1], 0x0
	s_mul_i32 s0, s5, s6
	s_mul_i32 s11, s11, s9
	s_add_i32 s0, s0, s3
	s_mul_i32 s0, s0, s7
	s_add_i32 s5, s16, s11
	;; [unrolled: 2-line block ×3, first 2 shown]
	s_mulk_i32 s1, 0xe00
	s_mulk_i32 s0, 0x70
	s_add_i32 s0, s0, s1
	v_add_u32_e32 v4, s0, v0
	s_waitcnt lgkmcnt(0)
	v_mov_b32_e32 v2, s12
	v_mov_b32_e32 v3, s13
	v_ashrrev_i32_e32 v5, 31, v4
	v_lshl_add_u64 v[2:3], v[4:5], 2, v[2:3]
	global_load_dword v5, v[2:3], off
	s_mul_i32 s6, s10, s2
	s_add_i32 s7, s6, s10
	s_add_i32 s3, s3, s4
	s_lshl_b32 s0, s7, 5
	s_add_i32 s0, s3, s0
	s_sub_i32 s0, s0, 32
	s_ashr_i32 s1, s0, 31
	s_lshl_b64 s[0:1], s[0:1], 3
	s_add_u32 s0, s14, s0
	s_addc_u32 s1, s15, s1
	s_load_dword s9, s[0:1], 0x4
	s_add_i32 s4, s7, -2
	s_cmp_lt_i32 s4, s6
	s_cbranch_scc1 .LBB21_4
; %bb.2:
	s_lshl_b32 s4, s8, 7
	s_ashr_i32 s5, s4, 31
	s_lshl_b64 s[4:5], s[4:5], 2
	s_add_u32 s4, s14, s4
	s_addc_u32 s5, s15, s5
	s_load_dword s0, s[0:1], 0x0
	s_add_i32 s2, s2, 1
	s_mul_i32 s10, s10, s2
	s_mul_i32 s1, s3, 0x70
	s_lshl_b32 s2, s10, 5
	s_mulk_i32 s10, 0xe00
	s_add_i32 s2, s3, s2
	s_lshl_b32 s3, s8, 5
	s_add_i32 s1, s1, s10
	s_add_i32 s2, s2, s3
	v_add_u32_e32 v0, s1, v0
	s_add_i32 s7, s7, -1
	s_sub_i32 s2, s2, 64
	v_add_u32_e32 v0, 0xffffe400, v0
	s_waitcnt lgkmcnt(0)
	v_mov_b32_e32 v7, s0
	v_mov_b32_e32 v4, s9
	s_mov_b32 s8, 0x3fb8aa3b
	s_mov_b32 s9, 0xc2ce8ed0
	s_mov_b32 s10, 0x42b17218
	v_mov_b32_e32 v6, 0x7f800000
	s_mov_b32 s11, 0xc1a00000
.LBB21_3:                               ; =>This Inner Loop Header: Depth=1
	v_ashrrev_i32_e32 v1, 31, v0
	v_lshl_add_u64 v[8:9], v[0:1], 2, s[4:5]
	global_load_dword v9, v[8:9], off
	s_ashr_i32 s3, s2, 31
	s_lshl_b64 s[0:1], s[2:3], 3
	s_add_u32 s0, s14, s0
	s_addc_u32 s1, s15, s1
	s_load_dwordx2 s[0:1], s[0:1], 0x0
	v_max_f32_e32 v1, v7, v7
	s_add_i32 s7, s7, -1
	s_sub_i32 s2, s2, 32
	v_add_u32_e32 v0, 0xfffff200, v0
	s_waitcnt lgkmcnt(0)
	v_max_f32_e64 v10, s0, s0
	v_max_f32_e32 v1, v1, v10
	v_sub_f32_e32 v11, s0, v1
	v_sub_f32_e32 v10, v7, v1
	v_mul_f32_e32 v12, 0x3fb8aa3b, v11
	v_mov_b32_e32 v7, v1
	v_mul_f32_e32 v1, 0x3fb8aa3b, v10
	v_fma_f32 v15, v11, s8, -v12
	v_rndne_f32_e32 v16, v12
	v_fma_f32 v13, v10, s8, -v1
	v_rndne_f32_e32 v14, v1
	v_fmac_f32_e32 v15, 0x32a5705f, v11
	v_sub_f32_e32 v12, v12, v16
	v_fmac_f32_e32 v13, 0x32a5705f, v10
	v_sub_f32_e32 v1, v1, v14
	v_add_f32_e32 v12, v12, v15
	v_cvt_i32_f32_e32 v16, v16
	v_add_f32_e32 v1, v1, v13
	v_exp_f32_e32 v12, v12
	v_cvt_i32_f32_e32 v14, v14
	v_exp_f32_e32 v1, v1
	v_cmp_ngt_f32_e32 vcc, s9, v11
	v_ldexp_f32 v12, v12, v16
	v_mov_b32_e32 v8, s1
	v_ldexp_f32 v1, v1, v14
	v_cmp_ngt_f32_e64 s[0:1], s9, v10
	v_cndmask_b32_e32 v12, 0, v12, vcc
	v_cmp_nlt_f32_e32 vcc, s10, v11
	v_cndmask_b32_e64 v1, 0, v1, s[0:1]
	v_cmp_nlt_f32_e64 s[0:1], s10, v10
	v_cndmask_b32_e32 v12, v6, v12, vcc
	v_cmp_le_f32_e32 vcc, s11, v11
	v_cndmask_b32_e64 v1, v6, v1, s[0:1]
	v_cmp_le_f32_e64 s[0:1], s11, v10
	v_cndmask_b32_e32 v12, 0, v12, vcc
	s_cmp_le_i32 s7, s6
	v_cndmask_b32_e64 v10, 0, v1, s[0:1]
	s_waitcnt vmcnt(0)
	v_pk_mul_f32 v[8:9], v[8:9], v[12:13] op_sel_hi:[1,0]
	s_nop 0
	v_pk_fma_f32 v[4:5], v[4:5], v[10:11], v[8:9] op_sel_hi:[1,0,1]
	s_cbranch_scc0 .LBB21_3
	s_branch .LBB21_5
.LBB21_4:
	s_waitcnt lgkmcnt(0)
	v_mov_b32_e32 v4, s9
.LBB21_5:
	s_waitcnt vmcnt(0)
	v_div_scale_f32 v0, s[0:1], v4, v4, v5
	v_rcp_f32_e32 v1, v0
	v_div_scale_f32 v6, vcc, v5, v4, v5
	v_fma_f32 v7, -v0, v1, 1.0
	v_fmac_f32_e32 v1, v7, v1
	v_mul_f32_e32 v7, v6, v1
	v_fma_f32 v8, -v0, v7, v6
	v_fmac_f32_e32 v7, v8, v1
	v_fma_f32 v0, -v0, v7, v6
	v_div_fmas_f32 v0, v0, v1, v7
	v_div_fixup_f32 v0, v0, v4, v5
	global_store_dword v[2:3], v0, off
.LBB21_6:
	s_endpgm
	.section	.rodata,"a",@progbits
	.p2align	6, 0x0
	.amdhsa_kernel _ZL33flash_attn_stream_k_fixup_uniformILi112ELi32ELi1EEvPfPK15HIP_vector_typeIfLj2EEiiiiiiS1_IjLj3EES5_S5_
		.amdhsa_group_segment_fixed_size 0
		.amdhsa_private_segment_fixed_size 0
		.amdhsa_kernarg_size 76
		.amdhsa_user_sgpr_count 2
		.amdhsa_user_sgpr_dispatch_ptr 0
		.amdhsa_user_sgpr_queue_ptr 0
		.amdhsa_user_sgpr_kernarg_segment_ptr 1
		.amdhsa_user_sgpr_dispatch_id 0
		.amdhsa_user_sgpr_kernarg_preload_length 0
		.amdhsa_user_sgpr_kernarg_preload_offset 0
		.amdhsa_user_sgpr_private_segment_size 0
		.amdhsa_uses_dynamic_stack 0
		.amdhsa_enable_private_segment 0
		.amdhsa_system_sgpr_workgroup_id_x 1
		.amdhsa_system_sgpr_workgroup_id_y 1
		.amdhsa_system_sgpr_workgroup_id_z 1
		.amdhsa_system_sgpr_workgroup_info 0
		.amdhsa_system_vgpr_workitem_id 0
		.amdhsa_next_free_vgpr 17
		.amdhsa_next_free_sgpr 20
		.amdhsa_accum_offset 20
		.amdhsa_reserve_vcc 1
		.amdhsa_float_round_mode_32 0
		.amdhsa_float_round_mode_16_64 0
		.amdhsa_float_denorm_mode_32 3
		.amdhsa_float_denorm_mode_16_64 3
		.amdhsa_dx10_clamp 1
		.amdhsa_ieee_mode 1
		.amdhsa_fp16_overflow 0
		.amdhsa_tg_split 0
		.amdhsa_exception_fp_ieee_invalid_op 0
		.amdhsa_exception_fp_denorm_src 0
		.amdhsa_exception_fp_ieee_div_zero 0
		.amdhsa_exception_fp_ieee_overflow 0
		.amdhsa_exception_fp_ieee_underflow 0
		.amdhsa_exception_fp_ieee_inexact 0
		.amdhsa_exception_int_div_zero 0
	.end_amdhsa_kernel
	.section	.text._ZL33flash_attn_stream_k_fixup_uniformILi112ELi32ELi1EEvPfPK15HIP_vector_typeIfLj2EEiiiiiiS1_IjLj3EES5_S5_,"axG",@progbits,_ZL33flash_attn_stream_k_fixup_uniformILi112ELi32ELi1EEvPfPK15HIP_vector_typeIfLj2EEiiiiiiS1_IjLj3EES5_S5_,comdat
.Lfunc_end21:
	.size	_ZL33flash_attn_stream_k_fixup_uniformILi112ELi32ELi1EEvPfPK15HIP_vector_typeIfLj2EEiiiiiiS1_IjLj3EES5_S5_, .Lfunc_end21-_ZL33flash_attn_stream_k_fixup_uniformILi112ELi32ELi1EEvPfPK15HIP_vector_typeIfLj2EEiiiiiiS1_IjLj3EES5_S5_
                                        ; -- End function
	.set _ZL33flash_attn_stream_k_fixup_uniformILi112ELi32ELi1EEvPfPK15HIP_vector_typeIfLj2EEiiiiiiS1_IjLj3EES5_S5_.num_vgpr, 17
	.set _ZL33flash_attn_stream_k_fixup_uniformILi112ELi32ELi1EEvPfPK15HIP_vector_typeIfLj2EEiiiiiiS1_IjLj3EES5_S5_.num_agpr, 0
	.set _ZL33flash_attn_stream_k_fixup_uniformILi112ELi32ELi1EEvPfPK15HIP_vector_typeIfLj2EEiiiiiiS1_IjLj3EES5_S5_.numbered_sgpr, 20
	.set _ZL33flash_attn_stream_k_fixup_uniformILi112ELi32ELi1EEvPfPK15HIP_vector_typeIfLj2EEiiiiiiS1_IjLj3EES5_S5_.num_named_barrier, 0
	.set _ZL33flash_attn_stream_k_fixup_uniformILi112ELi32ELi1EEvPfPK15HIP_vector_typeIfLj2EEiiiiiiS1_IjLj3EES5_S5_.private_seg_size, 0
	.set _ZL33flash_attn_stream_k_fixup_uniformILi112ELi32ELi1EEvPfPK15HIP_vector_typeIfLj2EEiiiiiiS1_IjLj3EES5_S5_.uses_vcc, 1
	.set _ZL33flash_attn_stream_k_fixup_uniformILi112ELi32ELi1EEvPfPK15HIP_vector_typeIfLj2EEiiiiiiS1_IjLj3EES5_S5_.uses_flat_scratch, 0
	.set _ZL33flash_attn_stream_k_fixup_uniformILi112ELi32ELi1EEvPfPK15HIP_vector_typeIfLj2EEiiiiiiS1_IjLj3EES5_S5_.has_dyn_sized_stack, 0
	.set _ZL33flash_attn_stream_k_fixup_uniformILi112ELi32ELi1EEvPfPK15HIP_vector_typeIfLj2EEiiiiiiS1_IjLj3EES5_S5_.has_recursion, 0
	.set _ZL33flash_attn_stream_k_fixup_uniformILi112ELi32ELi1EEvPfPK15HIP_vector_typeIfLj2EEiiiiiiS1_IjLj3EES5_S5_.has_indirect_call, 0
	.section	.AMDGPU.csdata,"",@progbits
; Kernel info:
; codeLenInByte = 816
; TotalNumSgprs: 26
; NumVgprs: 17
; NumAgprs: 0
; TotalNumVgprs: 17
; ScratchSize: 0
; MemoryBound: 0
; FloatMode: 240
; IeeeMode: 1
; LDSByteSize: 0 bytes/workgroup (compile time only)
; SGPRBlocks: 3
; VGPRBlocks: 2
; NumSGPRsForWavesPerEU: 26
; NumVGPRsForWavesPerEU: 17
; AccumOffset: 20
; Occupancy: 8
; WaveLimiterHint : 0
; COMPUTE_PGM_RSRC2:SCRATCH_EN: 0
; COMPUTE_PGM_RSRC2:USER_SGPR: 2
; COMPUTE_PGM_RSRC2:TRAP_HANDLER: 0
; COMPUTE_PGM_RSRC2:TGID_X_EN: 1
; COMPUTE_PGM_RSRC2:TGID_Y_EN: 1
; COMPUTE_PGM_RSRC2:TGID_Z_EN: 1
; COMPUTE_PGM_RSRC2:TIDIG_COMP_CNT: 0
; COMPUTE_PGM_RSRC3_GFX90A:ACCUM_OFFSET: 4
; COMPUTE_PGM_RSRC3_GFX90A:TG_SPLIT: 0
	.section	.text._ZL33flash_attn_stream_k_fixup_generalILi112ELi32ELi1EEvPfPK15HIP_vector_typeIfLj2EEiiiiS1_IjLj3EES5_S5_S5_,"axG",@progbits,_ZL33flash_attn_stream_k_fixup_generalILi112ELi32ELi1EEvPfPK15HIP_vector_typeIfLj2EEiiiiS1_IjLj3EES5_S5_S5_,comdat
	.globl	_ZL33flash_attn_stream_k_fixup_generalILi112ELi32ELi1EEvPfPK15HIP_vector_typeIfLj2EEiiiiS1_IjLj3EES5_S5_S5_ ; -- Begin function _ZL33flash_attn_stream_k_fixup_generalILi112ELi32ELi1EEvPfPK15HIP_vector_typeIfLj2EEiiiiS1_IjLj3EES5_S5_S5_
	.p2align	8
	.type	_ZL33flash_attn_stream_k_fixup_generalILi112ELi32ELi1EEvPfPK15HIP_vector_typeIfLj2EEiiiiS1_IjLj3EES5_S5_S5_,@function
_ZL33flash_attn_stream_k_fixup_generalILi112ELi32ELi1EEvPfPK15HIP_vector_typeIfLj2EEiiiiS1_IjLj3EES5_S5_S5_: ; @_ZL33flash_attn_stream_k_fixup_generalILi112ELi32ELi1EEvPfPK15HIP_vector_typeIfLj2EEiiiiS1_IjLj3EES5_S5_S5_
; %bb.0:
	s_load_dwordx4 s[8:11], s[0:1], 0x10
	s_load_dword s22, s[0:1], 0x50
	s_mov_b32 s12, 0
	s_waitcnt lgkmcnt(0)
	s_mul_hi_i32 s13, s11, s2
	s_cmp_lg_u64 s[12:13], 0
	s_mul_i32 s5, s11, s2
	s_cbranch_scc0 .LBB22_20
; %bb.1:
	s_add_u32 s6, s22, 0
	s_addc_u32 s7, 0, 0
	s_xor_b64 s[6:7], s[6:7], 0
	v_cvt_f32_u32_e32 v1, s6
	v_cvt_f32_u32_e32 v2, s7
	s_sub_u32 s12, 0, s6
	s_subb_u32 s18, 0, s7
	v_fmamk_f32 v1, v2, 0x4f800000, v1
	v_rcp_f32_e32 v1, v1
	s_nop 0
	v_mul_f32_e32 v1, 0x5f7ffffc, v1
	v_mul_f32_e32 v2, 0x2f800000, v1
	v_trunc_f32_e32 v2, v2
	v_fmamk_f32 v1, v2, 0xcf800000, v1
	v_cvt_u32_f32_e32 v2, v2
	v_cvt_u32_f32_e32 v1, v1
	v_readfirstlane_b32 s19, v2
	v_readfirstlane_b32 s14, v1
	s_mul_i32 s15, s12, s19
	s_mul_hi_u32 s21, s12, s14
	s_mul_i32 s20, s18, s14
	s_add_i32 s15, s21, s15
	s_add_i32 s15, s15, s20
	s_mul_i32 s23, s12, s14
	s_mul_i32 s21, s14, s15
	s_mul_hi_u32 s24, s14, s23
	s_mul_hi_u32 s20, s14, s15
	s_add_u32 s21, s24, s21
	s_addc_u32 s20, 0, s20
	s_mul_hi_u32 s25, s19, s23
	s_mul_i32 s23, s19, s23
	s_add_u32 s21, s21, s23
	s_mul_hi_u32 s24, s19, s15
	s_addc_u32 s20, s20, s25
	s_addc_u32 s21, s24, 0
	s_mul_i32 s15, s19, s15
	s_add_u32 s15, s20, s15
	s_addc_u32 s20, 0, s21
	s_add_u32 s21, s14, s15
	s_cselect_b64 s[14:15], -1, 0
	s_cmp_lg_u64 s[14:15], 0
	s_addc_u32 s19, s19, s20
	s_mul_i32 s14, s12, s19
	s_mul_hi_u32 s15, s12, s21
	s_add_i32 s14, s15, s14
	s_mul_i32 s18, s18, s21
	s_add_i32 s14, s14, s18
	s_mul_i32 s12, s12, s21
	s_mul_hi_u32 s18, s19, s12
	s_mul_i32 s20, s19, s12
	s_mul_i32 s24, s21, s14
	s_mul_hi_u32 s12, s21, s12
	s_mul_hi_u32 s23, s21, s14
	s_add_u32 s12, s12, s24
	s_addc_u32 s23, 0, s23
	s_add_u32 s12, s12, s20
	s_mul_hi_u32 s15, s19, s14
	s_addc_u32 s12, s23, s18
	s_addc_u32 s15, s15, 0
	s_mul_i32 s14, s19, s14
	s_add_u32 s12, s12, s14
	s_addc_u32 s18, 0, s15
	s_add_u32 s20, s21, s12
	s_cselect_b64 s[14:15], -1, 0
	s_cmp_lg_u64 s[14:15], 0
	s_addc_u32 s18, s19, s18
	s_ashr_i32 s14, s13, 31
	s_add_u32 s12, s5, s14
	s_mov_b32 s15, s14
	s_addc_u32 s13, s13, s14
	s_xor_b64 s[12:13], s[12:13], s[14:15]
	s_mul_i32 s21, s12, s18
	s_mul_hi_u32 s23, s12, s20
	s_mul_hi_u32 s19, s12, s18
	s_add_u32 s21, s23, s21
	s_addc_u32 s19, 0, s19
	s_mul_hi_u32 s24, s13, s20
	s_mul_i32 s20, s13, s20
	s_add_u32 s20, s21, s20
	s_mul_hi_u32 s23, s13, s18
	s_addc_u32 s19, s19, s24
	s_addc_u32 s20, s23, 0
	s_mul_i32 s18, s13, s18
	s_add_u32 s23, s19, s18
	s_addc_u32 s24, 0, s20
	s_mul_i32 s18, s6, s24
	s_mul_hi_u32 s19, s6, s23
	s_add_i32 s18, s19, s18
	s_mul_i32 s19, s7, s23
	s_add_i32 s25, s18, s19
	s_sub_i32 s20, s13, s25
	s_mul_i32 s18, s6, s23
	s_sub_u32 s12, s12, s18
	s_cselect_b64 s[18:19], -1, 0
	s_cmp_lg_u64 s[18:19], 0
	s_subb_u32 s26, s20, s7
	s_sub_u32 s27, s12, s6
	s_cselect_b64 s[20:21], -1, 0
	s_cmp_lg_u64 s[20:21], 0
	s_subb_u32 s20, s26, 0
	s_cmp_ge_u32 s20, s7
	s_cselect_b32 s21, -1, 0
	s_cmp_ge_u32 s27, s6
	s_cselect_b32 s26, -1, 0
	s_cmp_eq_u32 s20, s7
	s_cselect_b32 s20, s26, s21
	s_add_u32 s21, s23, 1
	s_addc_u32 s26, s24, 0
	s_add_u32 s27, s23, 2
	s_addc_u32 s28, s24, 0
	s_cmp_lg_u32 s20, 0
	s_cselect_b32 s20, s27, s21
	s_cselect_b32 s21, s28, s26
	s_cmp_lg_u64 s[18:19], 0
	s_subb_u32 s13, s13, s25
	s_cmp_ge_u32 s13, s7
	s_cselect_b32 s18, -1, 0
	s_cmp_ge_u32 s12, s6
	s_cselect_b32 s6, -1, 0
	s_cmp_eq_u32 s13, s7
	s_cselect_b32 s6, s6, s18
	s_cmp_lg_u32 s6, 0
	s_cselect_b32 s7, s21, s24
	s_cselect_b32 s6, s20, s23
	s_xor_b64 s[12:13], s[14:15], 0
	s_xor_b64 s[6:7], s[6:7], s[12:13]
	s_sub_u32 s6, s6, s12
	s_load_dwordx4 s[12:15], s[0:1], 0x44
	s_cbranch_execnz .LBB22_3
.LBB22_2:
	v_cvt_f32_u32_e32 v1, s22
	s_sub_i32 s6, 0, s22
	v_rcp_iflag_f32_e32 v1, v1
	s_nop 0
	v_mul_f32_e32 v1, 0x4f7ffffe, v1
	v_cvt_u32_f32_e32 v1, v1
	s_nop 0
	v_readfirstlane_b32 s7, v1
	s_mul_i32 s6, s6, s7
	s_mul_hi_u32 s6, s7, s6
	s_add_i32 s7, s7, s6
	s_mul_hi_u32 s6, s5, s7
	s_waitcnt lgkmcnt(0)
	s_mul_i32 s15, s6, s22
	s_sub_i32 s5, s5, s15
	s_add_i32 s7, s6, 1
	s_sub_i32 s15, s5, s22
	s_cmp_ge_u32 s5, s22
	s_cselect_b32 s6, s7, s6
	s_cselect_b32 s5, s15, s5
	s_add_i32 s7, s6, 1
	s_cmp_ge_u32 s5, s22
	s_cselect_b32 s6, s7, s6
.LBB22_3:
	s_add_i32 s5, s2, 1
	s_mul_hi_i32 s21, s11, s5
	s_mov_b32 s20, 0
	s_cmp_lg_u64 s[20:21], 0
	s_mul_i32 s5, s11, s5
	s_cbranch_scc0 .LBB22_21
; %bb.4:
	s_add_u32 s16, s22, 0
	s_addc_u32 s17, 0, 0
	s_xor_b64 s[18:19], s[16:17], 0
	v_cvt_f32_u32_e32 v1, s18
	v_cvt_f32_u32_e32 v2, s19
	s_sub_u32 s7, 0, s18
	s_waitcnt lgkmcnt(0)
	s_subb_u32 s15, 0, s19
	v_fmamk_f32 v1, v2, 0x4f800000, v1
	v_rcp_f32_e32 v1, v1
	s_nop 0
	v_mul_f32_e32 v1, 0x5f7ffffc, v1
	v_mul_f32_e32 v2, 0x2f800000, v1
	v_trunc_f32_e32 v2, v2
	v_fmamk_f32 v1, v2, 0xcf800000, v1
	v_cvt_u32_f32_e32 v2, v2
	v_cvt_u32_f32_e32 v1, v1
	v_readfirstlane_b32 s20, v2
	v_readfirstlane_b32 s23, v1
	s_mul_i32 s24, s7, s20
	s_mul_hi_u32 s26, s7, s23
	s_mul_i32 s25, s15, s23
	s_add_i32 s24, s26, s24
	s_add_i32 s24, s24, s25
	s_mul_i32 s27, s7, s23
	s_mul_i32 s26, s23, s24
	s_mul_hi_u32 s28, s23, s27
	s_mul_hi_u32 s25, s23, s24
	s_add_u32 s26, s28, s26
	s_addc_u32 s25, 0, s25
	s_mul_hi_u32 s29, s20, s27
	s_mul_i32 s27, s20, s27
	s_add_u32 s26, s26, s27
	s_mul_hi_u32 s28, s20, s24
	s_addc_u32 s25, s25, s29
	s_addc_u32 s26, s28, 0
	s_mul_i32 s24, s20, s24
	s_add_u32 s24, s25, s24
	s_addc_u32 s26, 0, s26
	s_add_u32 s23, s23, s24
	s_cselect_b64 s[24:25], -1, 0
	s_cmp_lg_u64 s[24:25], 0
	s_addc_u32 s20, s20, s26
	s_mul_i32 s24, s7, s20
	s_mul_hi_u32 s25, s7, s23
	s_add_i32 s24, s25, s24
	s_mul_i32 s15, s15, s23
	s_add_i32 s24, s24, s15
	s_mul_i32 s7, s7, s23
	s_mul_hi_u32 s25, s20, s7
	s_mul_i32 s26, s20, s7
	s_mul_i32 s28, s23, s24
	s_mul_hi_u32 s7, s23, s7
	s_mul_hi_u32 s27, s23, s24
	s_add_u32 s7, s7, s28
	s_addc_u32 s27, 0, s27
	s_add_u32 s7, s7, s26
	s_mul_hi_u32 s15, s20, s24
	s_addc_u32 s7, s27, s25
	s_addc_u32 s15, s15, 0
	s_mul_i32 s24, s20, s24
	s_add_u32 s7, s7, s24
	s_addc_u32 s15, 0, s15
	s_add_u32 s7, s23, s7
	s_cselect_b64 s[24:25], -1, 0
	s_cmp_lg_u64 s[24:25], 0
	s_addc_u32 s15, s20, s15
	s_ashr_i32 s24, s21, 31
	s_add_u32 s20, s5, s24
	s_mov_b32 s25, s24
	s_addc_u32 s21, s21, s24
	s_xor_b64 s[20:21], s[20:21], s[24:25]
	s_mul_i32 s26, s20, s15
	s_mul_hi_u32 s27, s20, s7
	s_mul_hi_u32 s23, s20, s15
	s_add_u32 s26, s27, s26
	s_addc_u32 s23, 0, s23
	s_mul_hi_u32 s28, s21, s7
	s_mul_i32 s7, s21, s7
	s_add_u32 s7, s26, s7
	s_mul_hi_u32 s27, s21, s15
	s_addc_u32 s7, s23, s28
	s_addc_u32 s23, s27, 0
	s_mul_i32 s15, s21, s15
	s_add_u32 s7, s7, s15
	s_addc_u32 s15, 0, s23
	s_mul_i32 s23, s18, s15
	s_mul_hi_u32 s26, s18, s7
	s_add_i32 s23, s26, s23
	s_mul_i32 s26, s19, s7
	s_add_i32 s23, s23, s26
	s_sub_i32 s28, s21, s23
	s_mul_i32 s26, s18, s7
	s_sub_u32 s20, s20, s26
	s_cselect_b64 s[26:27], -1, 0
	s_cmp_lg_u64 s[26:27], 0
	s_subb_u32 s30, s28, s19
	s_sub_u32 s31, s20, s18
	s_cselect_b64 s[28:29], -1, 0
	s_cmp_lg_u64 s[28:29], 0
	s_subb_u32 s28, s30, 0
	s_cmp_ge_u32 s28, s19
	s_cselect_b32 s29, -1, 0
	s_cmp_ge_u32 s31, s18
	s_cselect_b32 s30, -1, 0
	s_cmp_eq_u32 s28, s19
	s_cselect_b32 s28, s30, s29
	s_add_u32 s29, s7, 1
	s_addc_u32 s30, s15, 0
	s_add_u32 s31, s7, 2
	s_addc_u32 s33, s15, 0
	s_cmp_lg_u32 s28, 0
	s_cselect_b32 s28, s31, s29
	s_cselect_b32 s29, s33, s30
	s_cmp_lg_u64 s[26:27], 0
	s_subb_u32 s21, s21, s23
	s_cmp_ge_u32 s21, s19
	s_cselect_b32 s23, -1, 0
	s_cmp_ge_u32 s20, s18
	s_cselect_b32 s18, -1, 0
	s_cmp_eq_u32 s21, s19
	s_cselect_b32 s18, s18, s23
	s_cmp_lg_u32 s18, 0
	s_cselect_b32 s19, s29, s15
	s_cselect_b32 s18, s28, s7
	s_xor_b64 s[20:21], s[24:25], 0
	s_xor_b64 s[18:19], s[18:19], s[20:21]
	s_sub_u32 s18, s18, s20
	s_cbranch_execnz .LBB22_6
.LBB22_5:
	v_cvt_f32_u32_e32 v1, s22
	s_sub_i32 s7, 0, s22
	v_rcp_iflag_f32_e32 v1, v1
	s_nop 0
	v_mul_f32_e32 v1, 0x4f7ffffe, v1
	v_cvt_u32_f32_e32 v1, v1
	s_waitcnt lgkmcnt(0)
	v_readfirstlane_b32 s15, v1
	s_mul_i32 s7, s7, s15
	s_mul_hi_u32 s7, s15, s7
	s_add_i32 s15, s15, s7
	s_mul_hi_u32 s7, s5, s15
	s_mul_i32 s16, s7, s22
	s_sub_i32 s5, s5, s16
	s_add_i32 s15, s7, 1
	s_sub_i32 s16, s5, s22
	s_cmp_ge_u32 s5, s22
	s_cselect_b32 s7, s15, s7
	s_cselect_b32 s5, s16, s5
	s_add_i32 s15, s7, 1
	s_cmp_ge_u32 s5, s22
	s_cselect_b32 s18, s15, s7
.LBB22_6:
	s_cmp_eq_u32 s6, s18
	s_waitcnt lgkmcnt(0)
	s_mul_hi_u32 s5, s6, s12
	s_cselect_b64 s[16:17], -1, 0
	s_add_i32 s5, s5, s6
	s_lshr_b32 s7, s5, s13
	s_mul_i32 s5, s7, s14
	s_cmp_eq_u32 s5, s6
	s_mul_hi_u32 s5, s18, s12
	s_cselect_b64 s[20:21], -1, 0
	s_add_i32 s5, s5, s18
	s_lshr_b32 s5, s5, s13
	s_cmp_eq_u32 s7, s5
	s_mul_i32 s5, s5, s14
	s_cselect_b64 s[24:25], -1, 0
	s_cmp_lg_u32 s5, s18
	s_cselect_b64 s[18:19], -1, 0
	s_and_b64 s[18:19], s[24:25], s[18:19]
	s_or_b64 s[16:17], s[16:17], s[20:21]
	s_or_b64 s[16:17], s[16:17], s[18:19]
	s_and_b64 vcc, exec, s[16:17]
	s_cbranch_vccnz .LBB22_23
; %bb.7:
	s_load_dwordx8 s[24:31], s[0:1], 0x20
	s_load_dword s5, s[0:1], 0x40
	s_waitcnt lgkmcnt(0)
	s_mul_hi_u32 s15, s6, s24
	s_add_i32 s15, s15, s6
	s_lshr_b32 s20, s15, s25
	s_mul_i32 s15, s20, s26
	s_sub_i32 s15, s6, s15
	s_mul_hi_u32 s16, s15, s27
	s_add_i32 s16, s15, s16
	s_lshr_b32 s21, s16, s28
	s_mul_i32 s16, s21, s29
	s_sub_i32 s15, s15, s16
	;; [unrolled: 5-line block ×3, first 2 shown]
	s_mul_hi_u32 s15, s5, s12
	s_add_i32 s5, s5, s15
	s_lshr_b32 s23, s5, s13
	s_lshl_b32 s5, s23, 5
	s_add_i32 s5, s5, s3
	s_cmp_lt_i32 s5, s8
	s_cselect_b64 s[16:17], -1, 0
	s_add_i32 s24, s24, s4
	s_cmp_lt_i32 s24, s10
	s_cselect_b64 s[18:19], -1, 0
	s_and_b64 s[16:17], s[16:17], s[18:19]
	s_andn2_b64 vcc, exec, s[16:17]
	s_cbranch_vccnz .LBB22_23
; %bb.8:
	s_load_dwordx4 s[16:19], s[0:1], 0x0
	s_mov_b32 s0, 0
	s_add_i32 s15, s3, s4
	s_lshl_b32 s4, s22, 7
	s_mov_b32 s5, s0
	s_lshl_b64 s[4:5], s[4:5], 2
	s_waitcnt lgkmcnt(0)
	s_add_u32 s4, s18, s4
	s_mul_i32 s1, s20, s8
	s_addc_u32 s5, s19, s5
	s_mul_i32 s21, s21, s10
	s_add_i32 s1, s1, s3
	s_mul_i32 s1, s1, s9
	s_add_i32 s3, s24, s21
	;; [unrolled: 2-line block ×3, first 2 shown]
	s_mulk_i32 s8, 0xe00
	s_mulk_i32 s1, 0x70
	s_add_i32 s8, s8, s1
	v_add_u32_e32 v4, s8, v0
	v_mov_b32_e32 v2, s16
	v_mov_b32_e32 v3, s17
	v_ashrrev_i32_e32 v5, 31, v4
	v_lshl_add_u64 v[2:3], v[4:5], 2, v[2:3]
	global_load_dword v1, v[2:3], off
	v_cvt_f32_u32_e32 v4, s22
	s_lshl_b32 s1, s2, 5
	s_add_i32 s8, s1, s15
	s_ashr_i32 s9, s8, 31
	s_lshl_b64 s[8:9], s[8:9], 3
	v_rcp_iflag_f32_e32 v4, v4
	s_add_u32 s8, s18, s8
	s_addc_u32 s9, s19, s9
	s_load_dwordx2 s[8:9], s[8:9], 0x0
	v_mul_f32_e32 v4, 0x4f7ffffe, v4
	v_cvt_u32_f32_e32 v7, v4
	s_mul_i32 s1, s15, 0x70
	s_add_i32 s21, s2, -1
	v_add_u32_e32 v6, s1, v0
	s_waitcnt lgkmcnt(0)
	v_mov_b32_e32 v0, s9
	v_mov_b32_e32 v9, s8
	s_mov_b32 s10, 0x3fb8aa3b
	s_mov_b32 s20, 0xc2ce8ed0
	;; [unrolled: 1-line block ×4, first 2 shown]
	v_mov_b32_e32 v8, 0x7f800000
	s_mul_hi_i32 s1, s21, s11
	s_cmp_lg_u64 s[0:1], 0
	s_mul_i32 s16, s21, s11
	s_cbranch_scc0 .LBB22_19
.LBB22_9:
	s_add_u32 s2, s22, 0
	s_addc_u32 s3, 0, 0
	s_xor_b64 s[2:3], s[2:3], 0
	v_cvt_f32_u32_e32 v4, s2
	v_cvt_f32_u32_e32 v5, s3
	s_sub_u32 s17, 0, s2
	s_subb_u32 s25, 0, s3
	v_fmac_f32_e32 v4, 0x4f800000, v5
	v_rcp_f32_e32 v4, v4
	s_nop 0
	v_mul_f32_e32 v4, 0x5f7ffffc, v4
	v_mul_f32_e32 v5, 0x2f800000, v4
	v_trunc_f32_e32 v5, v5
	v_fmac_f32_e32 v4, 0xcf800000, v5
	v_cvt_u32_f32_e32 v5, v5
	v_cvt_u32_f32_e32 v4, v4
	v_readfirstlane_b32 s26, v5
	v_readfirstlane_b32 s8, v4
	s_mul_i32 s9, s17, s26
	s_mul_hi_u32 s28, s17, s8
	s_mul_i32 s27, s25, s8
	s_add_i32 s9, s28, s9
	s_mul_i32 s29, s17, s8
	s_add_i32 s9, s9, s27
	s_mul_i32 s28, s8, s9
	s_mul_hi_u32 s30, s8, s29
	s_mul_hi_u32 s27, s8, s9
	s_add_u32 s28, s30, s28
	s_addc_u32 s27, 0, s27
	s_mul_hi_u32 s31, s26, s29
	s_mul_i32 s29, s26, s29
	s_add_u32 s28, s28, s29
	s_mul_hi_u32 s30, s26, s9
	s_addc_u32 s27, s27, s31
	s_addc_u32 s28, s30, 0
	s_mul_i32 s9, s26, s9
	s_add_u32 s9, s27, s9
	s_addc_u32 s27, 0, s28
	s_add_u32 s28, s8, s9
	s_cselect_b64 s[8:9], -1, 0
	s_cmp_lg_u64 s[8:9], 0
	s_addc_u32 s26, s26, s27
	s_mul_i32 s8, s17, s26
	s_mul_hi_u32 s9, s17, s28
	s_add_i32 s8, s9, s8
	s_mul_i32 s25, s25, s28
	s_add_i32 s8, s8, s25
	s_mul_i32 s17, s17, s28
	s_mul_hi_u32 s25, s26, s17
	s_mul_i32 s27, s26, s17
	s_mul_i32 s30, s28, s8
	s_mul_hi_u32 s17, s28, s17
	s_mul_hi_u32 s29, s28, s8
	s_add_u32 s17, s17, s30
	s_addc_u32 s29, 0, s29
	s_add_u32 s17, s17, s27
	s_mul_hi_u32 s9, s26, s8
	s_addc_u32 s17, s29, s25
	s_addc_u32 s9, s9, 0
	s_mul_i32 s8, s26, s8
	s_add_u32 s8, s17, s8
	s_addc_u32 s17, 0, s9
	s_add_u32 s25, s28, s8
	s_cselect_b64 s[8:9], -1, 0
	s_cmp_lg_u64 s[8:9], 0
	s_addc_u32 s17, s26, s17
	s_ashr_i32 s8, s1, 31
	s_add_u32 s26, s16, s8
	s_mov_b32 s9, s8
	s_addc_u32 s27, s1, s8
	s_xor_b64 s[26:27], s[26:27], s[8:9]
	s_mul_i32 s28, s26, s17
	s_mul_hi_u32 s29, s26, s25
	s_mul_hi_u32 s1, s26, s17
	s_add_u32 s28, s29, s28
	s_addc_u32 s1, 0, s1
	s_mul_hi_u32 s30, s27, s25
	s_mul_i32 s25, s27, s25
	s_add_u32 s25, s28, s25
	s_mul_hi_u32 s29, s27, s17
	s_addc_u32 s1, s1, s30
	s_addc_u32 s25, s29, 0
	s_mul_i32 s17, s27, s17
	s_add_u32 s1, s1, s17
	s_addc_u32 s17, 0, s25
	s_mul_i32 s25, s2, s17
	s_mul_hi_u32 s28, s2, s1
	s_add_i32 s25, s28, s25
	s_mul_i32 s28, s3, s1
	s_add_i32 s25, s25, s28
	s_sub_i32 s30, s27, s25
	s_mul_i32 s28, s2, s1
	s_sub_u32 s26, s26, s28
	s_cselect_b64 s[28:29], -1, 0
	s_cmp_lg_u64 s[28:29], 0
	s_subb_u32 s33, s30, s3
	s_sub_u32 s34, s26, s2
	s_cselect_b64 s[30:31], -1, 0
	s_cmp_lg_u64 s[30:31], 0
	s_subb_u32 s30, s33, 0
	s_cmp_ge_u32 s30, s3
	s_cselect_b32 s31, -1, 0
	s_cmp_ge_u32 s34, s2
	s_cselect_b32 s33, -1, 0
	s_cmp_eq_u32 s30, s3
	s_cselect_b32 s30, s33, s31
	s_add_u32 s31, s1, 1
	s_addc_u32 s33, s17, 0
	s_add_u32 s34, s1, 2
	s_addc_u32 s35, s17, 0
	s_cmp_lg_u32 s30, 0
	s_cselect_b32 s30, s34, s31
	s_cselect_b32 s31, s35, s33
	s_cmp_lg_u64 s[28:29], 0
	s_subb_u32 s25, s27, s25
	s_cmp_ge_u32 s25, s3
	s_cselect_b32 s27, -1, 0
	s_cmp_ge_u32 s26, s2
	s_cselect_b32 s2, -1, 0
	s_cmp_eq_u32 s25, s3
	s_cselect_b32 s2, s2, s27
	s_cmp_lg_u32 s2, 0
	s_cselect_b32 s3, s31, s17
	s_cselect_b32 s2, s30, s1
	s_xor_b64 s[8:9], s[8:9], 0
	s_xor_b64 s[2:3], s[2:3], s[8:9]
	s_sub_u32 s8, s2, s8
	s_cbranch_execnz .LBB22_11
.LBB22_10:
	s_sub_i32 s1, 0, s22
	v_readfirstlane_b32 s2, v7
	s_mul_i32 s1, s1, s2
	s_mul_hi_u32 s1, s2, s1
	s_add_i32 s2, s2, s1
	s_mul_hi_u32 s1, s16, s2
	s_mul_i32 s3, s1, s22
	s_sub_i32 s3, s16, s3
	s_add_i32 s2, s1, 1
	s_sub_i32 s8, s3, s22
	s_cmp_ge_u32 s3, s22
	s_cselect_b32 s1, s2, s1
	s_cselect_b32 s3, s8, s3
	s_add_i32 s2, s1, 1
	s_cmp_ge_u32 s3, s22
	s_cselect_b32 s8, s2, s1
.LBB22_11:
	s_cmp_lg_u32 s6, s8
	s_cbranch_scc0 .LBB22_15
; %bb.12:
	s_add_i32 s1, s21, s22
	s_lshl_b32 s1, s1, 5
	s_add_i32 s2, s1, s15
	s_mov_b32 s3, s0
	s_lshl_b64 s[2:3], s[2:3], 3
	s_add_u32 s16, s18, s2
	s_mul_hi_u32 s1, s8, s12
	s_addc_u32 s17, s19, s3
	s_add_i32 s1, s1, s8
	s_lshr_b32 s1, s1, s13
	s_mul_i32 s2, s1, s14
	s_cmp_eq_u32 s2, s8
	s_cselect_b64 s[2:3], -1, 0
	s_cmp_lt_u32 s1, s7
	s_cselect_b64 s[26:27], -1, 0
	s_or_b64 s[26:27], s[26:27], s[2:3]
	s_mov_b64 s[2:3], -1
	s_and_b64 vcc, exec, s[26:27]
	s_mov_b32 s1, s21
	s_mov_b32 s25, s6
	s_cbranch_vccnz .LBB22_14
; %bb.13:
	s_add_i32 s1, s21, -1
	s_mov_b64 s[2:3], 0
	s_mov_b32 s25, s8
.LBB22_14:
	s_mul_i32 s8, s21, 0xe00
	v_add_u32_e32 v4, s8, v6
	v_ashrrev_i32_e32 v5, 31, v4
	v_lshl_add_u64 v[4:5], v[4:5], 2, s[4:5]
	global_load_dword v5, v[4:5], off
	s_load_dwordx2 s[8:9], s[16:17], 0x0
	v_max_f32_e32 v4, v9, v9
	s_waitcnt lgkmcnt(0)
	v_max_f32_e64 v10, s8, s8
	v_max_f32_e32 v10, v4, v10
	v_sub_f32_e32 v11, v9, v10
	v_sub_f32_e32 v13, s8, v10
	v_mul_f32_e32 v4, 0x3fb8aa3b, v11
	v_mul_f32_e32 v12, 0x3fb8aa3b, v13
	v_fma_f32 v14, v11, s10, -v4
	v_rndne_f32_e32 v15, v4
	v_fma_f32 v16, v13, s10, -v12
	v_rndne_f32_e32 v17, v12
	v_fmac_f32_e32 v14, 0x32a5705f, v11
	v_sub_f32_e32 v4, v4, v15
	v_fmac_f32_e32 v16, 0x32a5705f, v13
	v_sub_f32_e32 v12, v12, v17
	v_add_f32_e32 v4, v4, v14
	v_cvt_i32_f32_e32 v15, v15
	v_add_f32_e32 v12, v12, v16
	v_exp_f32_e32 v14, v4
	v_cvt_i32_f32_e32 v17, v17
	v_exp_f32_e32 v12, v12
	v_cmp_ngt_f32_e32 vcc, s20, v11
	v_ldexp_f32 v14, v14, v15
	v_mov_b32_e32 v4, s9
	v_ldexp_f32 v12, v12, v17
	v_cndmask_b32_e32 v14, 0, v14, vcc
	v_cmp_ngt_f32_e32 vcc, s20, v13
	s_nop 1
	v_cndmask_b32_e32 v12, 0, v12, vcc
	v_cmp_nlt_f32_e32 vcc, s23, v11
	s_nop 1
	v_cndmask_b32_e32 v14, v8, v14, vcc
	v_cmp_nlt_f32_e32 vcc, s23, v13
	s_nop 1
	v_cndmask_b32_e32 v15, v8, v12, vcc
	v_cmp_le_f32_e32 vcc, s24, v11
	s_nop 1
	v_cndmask_b32_e32 v12, 0, v14, vcc
	v_cmp_le_f32_e32 vcc, s24, v13
	s_nop 1
	v_cndmask_b32_e32 v14, 0, v15, vcc
	s_waitcnt vmcnt(0)
	v_pk_mul_f32 v[4:5], v[4:5], v[14:15] op_sel_hi:[1,0]
	s_nop 0
	v_pk_fma_f32 v[4:5], v[0:1], v[12:13], v[4:5] op_sel_hi:[1,0,1]
	s_cbranch_execz .LBB22_16
	s_branch .LBB22_17
.LBB22_15:
                                        ; implicit-def: $vgpr4_vgpr5
                                        ; implicit-def: $sgpr2_sgpr3
                                        ; implicit-def: $vgpr10
                                        ; implicit-def: $sgpr1
                                        ; implicit-def: $sgpr25
.LBB22_16:
	s_add_i32 s1, s21, -1
	s_mov_b64 s[2:3], 0
	s_mov_b32 s25, s6
	v_mov_b32_e32 v10, v9
	s_waitcnt vmcnt(0)
	v_mov_b64_e32 v[4:5], v[0:1]
.LBB22_17:
	s_andn2_b64 vcc, exec, s[2:3]
	s_cbranch_vccz .LBB22_22
; %bb.18:
	s_mov_b32 s6, s25
	s_mov_b32 s21, s1
	v_mov_b32_e32 v9, v10
	s_waitcnt vmcnt(0)
	v_mov_b64_e32 v[0:1], v[4:5]
	s_mul_hi_i32 s1, s21, s11
	s_cmp_lg_u64 s[0:1], 0
	s_mul_i32 s16, s21, s11
	s_cbranch_scc1 .LBB22_9
.LBB22_19:
                                        ; implicit-def: $sgpr8_sgpr9
	s_branch .LBB22_10
.LBB22_20:
                                        ; implicit-def: $sgpr6_sgpr7
	s_load_dwordx4 s[12:15], s[0:1], 0x44
	s_branch .LBB22_2
.LBB22_21:
                                        ; implicit-def: $sgpr18_sgpr19
	s_branch .LBB22_5
.LBB22_22:
	v_div_scale_f32 v0, s[0:1], v4, v4, v5
	s_waitcnt vmcnt(0)
	v_rcp_f32_e32 v1, v0
	v_div_scale_f32 v6, vcc, v5, v4, v5
	v_fma_f32 v7, -v0, v1, 1.0
	v_fmac_f32_e32 v1, v7, v1
	v_mul_f32_e32 v7, v6, v1
	v_fma_f32 v8, -v0, v7, v6
	v_fmac_f32_e32 v7, v8, v1
	v_fma_f32 v0, -v0, v7, v6
	v_div_fmas_f32 v0, v0, v1, v7
	v_div_fixup_f32 v0, v0, v4, v5
	global_store_dword v[2:3], v0, off
.LBB22_23:
	s_endpgm
	.section	.rodata,"a",@progbits
	.p2align	6, 0x0
	.amdhsa_kernel _ZL33flash_attn_stream_k_fixup_generalILi112ELi32ELi1EEvPfPK15HIP_vector_typeIfLj2EEiiiiS1_IjLj3EES5_S5_S5_
		.amdhsa_group_segment_fixed_size 0
		.amdhsa_private_segment_fixed_size 0
		.amdhsa_kernarg_size 336
		.amdhsa_user_sgpr_count 2
		.amdhsa_user_sgpr_dispatch_ptr 0
		.amdhsa_user_sgpr_queue_ptr 0
		.amdhsa_user_sgpr_kernarg_segment_ptr 1
		.amdhsa_user_sgpr_dispatch_id 0
		.amdhsa_user_sgpr_kernarg_preload_length 0
		.amdhsa_user_sgpr_kernarg_preload_offset 0
		.amdhsa_user_sgpr_private_segment_size 0
		.amdhsa_uses_dynamic_stack 0
		.amdhsa_enable_private_segment 0
		.amdhsa_system_sgpr_workgroup_id_x 1
		.amdhsa_system_sgpr_workgroup_id_y 1
		.amdhsa_system_sgpr_workgroup_id_z 1
		.amdhsa_system_sgpr_workgroup_info 0
		.amdhsa_system_vgpr_workitem_id 0
		.amdhsa_next_free_vgpr 18
		.amdhsa_next_free_sgpr 36
		.amdhsa_accum_offset 20
		.amdhsa_reserve_vcc 1
		.amdhsa_float_round_mode_32 0
		.amdhsa_float_round_mode_16_64 0
		.amdhsa_float_denorm_mode_32 3
		.amdhsa_float_denorm_mode_16_64 3
		.amdhsa_dx10_clamp 1
		.amdhsa_ieee_mode 1
		.amdhsa_fp16_overflow 0
		.amdhsa_tg_split 0
		.amdhsa_exception_fp_ieee_invalid_op 0
		.amdhsa_exception_fp_denorm_src 0
		.amdhsa_exception_fp_ieee_div_zero 0
		.amdhsa_exception_fp_ieee_overflow 0
		.amdhsa_exception_fp_ieee_underflow 0
		.amdhsa_exception_fp_ieee_inexact 0
		.amdhsa_exception_int_div_zero 0
	.end_amdhsa_kernel
	.section	.text._ZL33flash_attn_stream_k_fixup_generalILi112ELi32ELi1EEvPfPK15HIP_vector_typeIfLj2EEiiiiS1_IjLj3EES5_S5_S5_,"axG",@progbits,_ZL33flash_attn_stream_k_fixup_generalILi112ELi32ELi1EEvPfPK15HIP_vector_typeIfLj2EEiiiiS1_IjLj3EES5_S5_S5_,comdat
.Lfunc_end22:
	.size	_ZL33flash_attn_stream_k_fixup_generalILi112ELi32ELi1EEvPfPK15HIP_vector_typeIfLj2EEiiiiS1_IjLj3EES5_S5_S5_, .Lfunc_end22-_ZL33flash_attn_stream_k_fixup_generalILi112ELi32ELi1EEvPfPK15HIP_vector_typeIfLj2EEiiiiS1_IjLj3EES5_S5_S5_
                                        ; -- End function
	.set _ZL33flash_attn_stream_k_fixup_generalILi112ELi32ELi1EEvPfPK15HIP_vector_typeIfLj2EEiiiiS1_IjLj3EES5_S5_S5_.num_vgpr, 18
	.set _ZL33flash_attn_stream_k_fixup_generalILi112ELi32ELi1EEvPfPK15HIP_vector_typeIfLj2EEiiiiS1_IjLj3EES5_S5_S5_.num_agpr, 0
	.set _ZL33flash_attn_stream_k_fixup_generalILi112ELi32ELi1EEvPfPK15HIP_vector_typeIfLj2EEiiiiS1_IjLj3EES5_S5_S5_.numbered_sgpr, 36
	.set _ZL33flash_attn_stream_k_fixup_generalILi112ELi32ELi1EEvPfPK15HIP_vector_typeIfLj2EEiiiiS1_IjLj3EES5_S5_S5_.num_named_barrier, 0
	.set _ZL33flash_attn_stream_k_fixup_generalILi112ELi32ELi1EEvPfPK15HIP_vector_typeIfLj2EEiiiiS1_IjLj3EES5_S5_S5_.private_seg_size, 0
	.set _ZL33flash_attn_stream_k_fixup_generalILi112ELi32ELi1EEvPfPK15HIP_vector_typeIfLj2EEiiiiS1_IjLj3EES5_S5_S5_.uses_vcc, 1
	.set _ZL33flash_attn_stream_k_fixup_generalILi112ELi32ELi1EEvPfPK15HIP_vector_typeIfLj2EEiiiiS1_IjLj3EES5_S5_S5_.uses_flat_scratch, 0
	.set _ZL33flash_attn_stream_k_fixup_generalILi112ELi32ELi1EEvPfPK15HIP_vector_typeIfLj2EEiiiiS1_IjLj3EES5_S5_S5_.has_dyn_sized_stack, 0
	.set _ZL33flash_attn_stream_k_fixup_generalILi112ELi32ELi1EEvPfPK15HIP_vector_typeIfLj2EEiiiiS1_IjLj3EES5_S5_S5_.has_recursion, 0
	.set _ZL33flash_attn_stream_k_fixup_generalILi112ELi32ELi1EEvPfPK15HIP_vector_typeIfLj2EEiiiiS1_IjLj3EES5_S5_S5_.has_indirect_call, 0
	.section	.AMDGPU.csdata,"",@progbits
; Kernel info:
; codeLenInByte = 2936
; TotalNumSgprs: 42
; NumVgprs: 18
; NumAgprs: 0
; TotalNumVgprs: 18
; ScratchSize: 0
; MemoryBound: 0
; FloatMode: 240
; IeeeMode: 1
; LDSByteSize: 0 bytes/workgroup (compile time only)
; SGPRBlocks: 5
; VGPRBlocks: 2
; NumSGPRsForWavesPerEU: 42
; NumVGPRsForWavesPerEU: 18
; AccumOffset: 20
; Occupancy: 8
; WaveLimiterHint : 0
; COMPUTE_PGM_RSRC2:SCRATCH_EN: 0
; COMPUTE_PGM_RSRC2:USER_SGPR: 2
; COMPUTE_PGM_RSRC2:TRAP_HANDLER: 0
; COMPUTE_PGM_RSRC2:TGID_X_EN: 1
; COMPUTE_PGM_RSRC2:TGID_Y_EN: 1
; COMPUTE_PGM_RSRC2:TGID_Z_EN: 1
; COMPUTE_PGM_RSRC2:TIDIG_COMP_CNT: 0
; COMPUTE_PGM_RSRC3_GFX90A:ACCUM_OFFSET: 4
; COMPUTE_PGM_RSRC3_GFX90A:TG_SPLIT: 0
	.section	.text._ZL26flash_attn_combine_resultsILi112EEvPKfPK15HIP_vector_typeIfLj2EEPfi,"axG",@progbits,_ZL26flash_attn_combine_resultsILi112EEvPKfPK15HIP_vector_typeIfLj2EEPfi,comdat
	.globl	_ZL26flash_attn_combine_resultsILi112EEvPKfPK15HIP_vector_typeIfLj2EEPfi ; -- Begin function _ZL26flash_attn_combine_resultsILi112EEvPKfPK15HIP_vector_typeIfLj2EEPfi
	.p2align	8
	.type	_ZL26flash_attn_combine_resultsILi112EEvPKfPK15HIP_vector_typeIfLj2EEPfi,@function
_ZL26flash_attn_combine_resultsILi112EEvPKfPK15HIP_vector_typeIfLj2EEPfi: ; @_ZL26flash_attn_combine_resultsILi112EEvPKfPK15HIP_vector_typeIfLj2EEPfi
; %bb.0:
	s_load_dwordx2 s[6:7], s[0:1], 0x20
	s_load_dword s23, s[0:1], 0x18
	s_load_dwordx4 s[16:19], s[0:1], 0x0
	s_load_dwordx2 s[14:15], s[0:1], 0x10
	s_waitcnt lgkmcnt(0)
	s_mul_i32 s0, s6, s4
	s_add_i32 s0, s0, s2
	s_mul_i32 s22, s0, s7
	s_add_i32 s22, s22, s3
	s_lshl_b32 s12, s23, 1
	s_mul_i32 s2, s22, s23
	v_cmp_gt_i32_e32 vcc, s12, v0
	s_and_saveexec_b64 s[0:1], vcc
	s_cbranch_execz .LBB23_13
; %bb.1:
	v_xad_u32 v1, v0, -1, s12
	s_movk_i32 s4, 0x6f
	s_ashr_i32 s3, s2, 31
	v_cmp_lt_u32_e32 vcc, s4, v1
	s_mov_b64 s[6:7], -1
	v_mov_b32_e32 v2, v0
	s_and_saveexec_b64 s[4:5], vcc
	s_cbranch_execz .LBB23_10
; %bb.2:
	v_lshrrev_b32_e32 v1, 4, v1
	s_mov_b32 s6, 0x24924925
	v_mul_hi_u32 v6, v1, s6
	s_lshl_b64 s[6:7], s[2:3], 3
	v_add_u32_e32 v2, -1, v6
	s_add_u32 s6, s18, s6
	v_add_u32_e32 v1, 0x70, v0
	v_lshrrev_b32_e32 v3, 1, v2
	s_addc_u32 s7, s19, s7
	v_add_u32_e32 v7, 1, v3
	v_cmp_lt_u32_e32 vcc, 13, v2
	v_mov_b32_e32 v4, 0
	v_mov_b64_e32 v[2:3], v[0:1]
	s_and_saveexec_b64 s[8:9], vcc
	s_cbranch_execz .LBB23_6
; %bb.3:
	v_and_b32_e32 v8, -8, v7
	s_mov_b32 s13, 0
	v_lshl_add_u32 v9, v0, 2, 0
	s_mov_b64 s[10:11], 0
	v_mov_b32_e32 v5, 0
	v_mov_b64_e32 v[2:3], v[0:1]
.LBB23_4:                               ; =>This Inner Loop Header: Depth=1
	v_mov_b32_e32 v4, v2
	v_lshl_add_u64 v[24:25], v[4:5], 2, s[6:7]
	v_mov_b32_e32 v4, v3
	v_add_u32_e32 v10, 0xe0, v3
	v_mov_b32_e32 v11, v5
	v_lshl_add_u64 v[26:27], v[4:5], 2, s[6:7]
	v_add_u32_e32 v4, 0xe0, v2
	v_lshl_add_u64 v[10:11], v[10:11], 2, s[6:7]
	global_load_dword v1, v[24:25], off
	v_lshl_add_u64 v[24:25], v[4:5], 2, s[6:7]
	v_add_u32_e32 v4, 0x1c0, v2
	global_load_dword v28, v[26:27], off
	global_load_dword v29, v[24:25], off
	;; [unrolled: 1-line block ×3, first 2 shown]
	v_lshl_add_u64 v[10:11], v[4:5], 2, s[6:7]
	v_add_u32_e32 v4, 0x2a0, v2
	v_add_u32_e32 v12, 0x1c0, v3
	v_mov_b32_e32 v13, v5
	v_add_u32_e32 v14, 0x2a0, v3
	v_mov_b32_e32 v15, v5
	v_lshl_add_u64 v[24:25], v[4:5], 2, s[6:7]
	v_add_u32_e32 v4, 0x380, v2
	v_lshl_add_u64 v[12:13], v[12:13], 2, s[6:7]
	v_lshl_add_u64 v[14:15], v[14:15], 2, s[6:7]
	global_load_dword v26, v[10:11], off
	global_load_dword v27, v[12:13], off
	;; [unrolled: 1-line block ×4, first 2 shown]
	v_lshl_add_u64 v[10:11], v[4:5], 2, s[6:7]
	v_add_u32_e32 v4, 0x460, v2
	v_add_u32_e32 v16, 0x380, v3
	v_mov_b32_e32 v17, v5
	v_add_u32_e32 v18, 0x460, v3
	v_mov_b32_e32 v19, v5
	v_lshl_add_u64 v[12:13], v[4:5], 2, s[6:7]
	v_add_u32_e32 v4, 0x540, v2
	v_add_u32_e32 v20, 0x540, v3
	v_mov_b32_e32 v21, v5
	v_add_u32_e32 v22, 0x620, v3
	v_mov_b32_e32 v23, v5
	v_lshl_add_u64 v[16:17], v[16:17], 2, s[6:7]
	v_lshl_add_u64 v[18:19], v[18:19], 2, s[6:7]
	global_load_dword v14, v[10:11], off
	global_load_dword v15, v[16:17], off
	;; [unrolled: 1-line block ×4, first 2 shown]
	v_lshl_add_u64 v[10:11], v[4:5], 2, s[6:7]
	v_add_u32_e32 v4, 0x620, v2
	v_lshl_add_u64 v[20:21], v[20:21], 2, s[6:7]
	v_lshl_add_u64 v[22:23], v[22:23], 2, s[6:7]
	v_lshl_add_u64 v[12:13], v[4:5], 2, s[6:7]
	global_load_dword v16, v[10:11], off
	global_load_dword v17, v[20:21], off
	;; [unrolled: 1-line block ×4, first 2 shown]
	v_add_u32_e32 v8, -8, v8
	s_add_i32 s13, s13, 16
	v_cmp_eq_u32_e32 vcc, 0, v8
	v_add_u32_e32 v10, 0x200, v9
	v_add_u32_e32 v11, 0x600, v9
	;; [unrolled: 1-line block ×8, first 2 shown]
	v_mov_b32_e32 v4, s13
	s_or_b64 s[10:11], vcc, s[10:11]
	v_add_u32_e32 v2, 0x700, v2
	s_waitcnt vmcnt(14)
	ds_write2_b32 v9, v1, v28 offset1:112
	v_add_u32_e32 v9, 0x1c00, v9
	s_waitcnt vmcnt(12)
	ds_write2_b32 v10, v29, v30 offset0:96 offset1:208
	s_waitcnt vmcnt(10)
	ds_write2_b32 v11, v26, v27 offset0:64 offset1:176
	;; [unrolled: 2-line block ×7, first 2 shown]
	s_andn2_b64 exec, exec, s[10:11]
	s_cbranch_execnz .LBB23_4
; %bb.5:
	s_or_b64 exec, exec, s[10:11]
.LBB23_6:
	s_or_b64 exec, exec, s[8:9]
	v_and_b32_e32 v1, 7, v7
	v_cmp_ne_u32_e32 vcc, 0, v1
	s_and_saveexec_b64 s[8:9], vcc
	s_cbranch_execz .LBB23_9
; %bb.7:
	s_movk_i32 s10, 0x1c0
	v_mul_lo_u32 v4, v4, s10
	v_lshlrev_b32_e32 v5, 2, v0
	v_add3_u32 v7, v4, v5, 0
	s_mov_b64 s[10:11], 0
	v_mov_b32_e32 v5, 0
.LBB23_8:                               ; =>This Inner Loop Header: Depth=1
	v_mov_b32_e32 v4, v2
	v_lshl_add_u64 v[8:9], v[4:5], 2, s[6:7]
	v_mov_b32_e32 v4, v3
	v_lshl_add_u64 v[10:11], v[4:5], 2, s[6:7]
	global_load_dword v4, v[8:9], off
	global_load_dword v12, v[10:11], off
	v_add_u32_e32 v1, -1, v1
	v_cmp_eq_u32_e32 vcc, 0, v1
	v_add_u32_e32 v2, 0xe0, v2
	v_add_u32_e32 v3, 0xe0, v3
	s_or_b64 s[10:11], vcc, s[10:11]
	s_waitcnt vmcnt(0)
	ds_write2_b32 v7, v4, v12 offset1:112
	v_add_u32_e32 v7, 0x380, v7
	s_andn2_b64 exec, exec, s[10:11]
	s_cbranch_execnz .LBB23_8
.LBB23_9:
	s_or_b64 exec, exec, s[8:9]
	v_add_u32_e32 v1, 1, v6
	v_and_b32_e32 v4, 0x7fffffe, v1
	s_movk_i32 s6, 0x70
	v_mad_u64_u32 v[2:3], s[6:7], v4, s6, v[0:1]
	v_cmp_ne_u32_e32 vcc, v1, v4
	s_orn2_b64 s[6:7], vcc, exec
.LBB23_10:
	s_or_b64 exec, exec, s[4:5]
	s_and_b64 exec, exec, s[6:7]
	s_cbranch_execz .LBB23_13
; %bb.11:
	s_lshl_b64 s[4:5], s[2:3], 3
	s_add_u32 s4, s18, s4
	v_mov_b32_e32 v3, 0
	s_addc_u32 s5, s19, s5
	v_lshl_add_u64 v[4:5], v[2:3], 2, s[4:5]
	v_lshl_add_u32 v1, v2, 2, 0
	s_mov_b64 s[4:5], 0
	s_mov_b64 s[6:7], 0x1c0
.LBB23_12:                              ; =>This Inner Loop Header: Depth=1
	global_load_dword v3, v[4:5], off
	v_add_u32_e32 v2, 0x70, v2
	v_cmp_le_i32_e32 vcc, s12, v2
	v_lshl_add_u64 v[4:5], v[4:5], 0, s[6:7]
	s_or_b64 s[4:5], vcc, s[4:5]
	s_waitcnt vmcnt(0)
	ds_write_b32 v1, v3
	v_add_u32_e32 v1, 0x1c0, v1
	s_andn2_b64 exec, exec, s[4:5]
	s_cbranch_execnz .LBB23_12
.LBB23_13:
	s_or_b64 exec, exec, s[0:1]
	v_mov_b32_e32 v1, 0
	s_waitcnt lgkmcnt(0)
	s_barrier
	ds_read_b32 v1, v1
	s_cmp_lt_i32 s23, 2
	s_cbranch_scc1 .LBB23_21
; %bb.14:
	s_cmp_eq_u32 s23, 2
	s_cbranch_scc1 .LBB23_18
; %bb.15:
	s_add_i32 s3, s23, -1
	s_and_b32 s4, s3, -2
	s_add_i32 s6, 0, 8
	s_mov_b32 s5, 2
	s_waitcnt lgkmcnt(0)
	v_mov_b32_e32 v4, v1
.LBB23_16:                              ; =>This Inner Loop Header: Depth=1
	v_mov_b32_e32 v2, v1
	v_mov_b32_e32 v1, s6
	;; [unrolled: 1-line block ×3, first 2 shown]
	ds_read2_b32 v[4:5], v1 offset1:2
	s_cmp_lg_u32 s4, s5
	s_cselect_b64 s[8:9], -1, 0
	v_max_f32_e32 v1, v3, v3
	v_max_f32_e32 v6, v2, v2
	s_waitcnt lgkmcnt(0)
	v_cmp_u_f32_e32 vcc, v5, v5
	v_max_f32_e32 v7, v5, v5
	v_max_f32_e32 v8, v4, v4
	v_cndmask_b32_e64 v5, 0, 1, vcc
	v_cmp_u_f32_e32 vcc, v4, v4
	v_readfirstlane_b32 s0, v5
	s_lshl_b32 s0, s0, 1
	v_cndmask_b32_e64 v9, 0, 1, vcc
	v_max_f32_e32 v4, v1, v7
	v_readfirstlane_b32 s1, v9
	s_or_b32 s0, s1, s0
	s_and_b32 s7, s0, 3
	s_cmp_lg_u32 s7, 0
	s_cselect_b64 s[0:1], -1, 0
	s_cmp_eq_u32 s7, 0
	s_cselect_b64 s[10:11], -1, 0
	s_and_b64 s[8:9], s[10:11], s[8:9]
	v_max_f32_e32 v1, v6, v8
	s_add_i32 s5, s5, 2
	s_add_i32 s6, s6, 16
	s_and_b64 vcc, exec, s[8:9]
	s_cbranch_vccnz .LBB23_16
; %bb.17:
	s_add_i32 s5, s5, -4
	s_and_b64 s[6:7], s[0:1], exec
	s_cselect_b32 s5, s5, s3
	s_or_b32 s5, s5, 1
	v_cndmask_b32_e64 v1, v1, v2, s[0:1]
	v_cndmask_b32_e64 v2, v4, v3, s[0:1]
	s_cmp_lg_u32 s3, s4
	v_max_f32_e32 v2, v2, v2
	v_max_f32_e32 v1, v1, v1
	s_cselect_b64 s[6:7], -1, 0
	v_max_f32_e32 v1, v1, v2
	s_or_b64 s[0:1], s[6:7], s[0:1]
	s_and_b64 vcc, exec, s[0:1]
	s_cbranch_vccnz .LBB23_19
	s_branch .LBB23_21
.LBB23_18:
	s_mov_b32 s5, 1
	s_cbranch_execz .LBB23_21
.LBB23_19:
	s_lshl_b32 s1, s5, 3
	s_sub_i32 s0, s23, s5
	s_add_i32 s1, s1, 0
.LBB23_20:                              ; =>This Inner Loop Header: Depth=1
	v_mov_b32_e32 v2, s1
	ds_read_b32 v2, v2
	s_waitcnt lgkmcnt(1)
	v_max_f32_e32 v1, v1, v1
	s_add_i32 s0, s0, -1
	s_add_i32 s1, s1, 8
	s_cmp_eq_u32 s0, 0
	s_waitcnt lgkmcnt(0)
	v_max_f32_e32 v2, v2, v2
	v_max_f32_e32 v1, v1, v2
	s_cbranch_scc0 .LBB23_20
.LBB23_21:
	s_cmp_lt_i32 s23, 1
	s_cbranch_scc1 .LBB23_26
; %bb.22:
	s_mul_i32 s18, s2, 0x70
	s_ashr_i32 s19, s18, 31
	s_cmp_lt_u32 s23, 8
	s_cbranch_scc1 .LBB23_27
; %bb.23:
	s_lshl_b64 s[0:1], s[18:19], 2
	s_add_u32 s20, s16, s0
	v_mov_b32_e32 v7, 0
	s_addc_u32 s21, s17, s1
	s_and_b32 s24, s23, 0x7ffffff8
	v_add_u32_e32 v4, 0x1c0, v0
	s_mov_b32 s25, 0
	s_mov_b32 s26, 0x3fb8aa3b
	;; [unrolled: 1-line block ×4, first 2 shown]
	v_mov_b32_e32 v8, 0x7f800000
	s_mov_b32 s29, 0
	v_mov_b32_e32 v2, v7
	v_mov_b32_e32 v3, v7
.LBB23_24:                              ; =>This Inner Loop Header: Depth=1
	v_add_u32_e32 v6, 0xfffffe40, v4
	v_mov_b32_e32 v9, s25
	v_lshl_add_u64 v[26:27], v[6:7], 2, s[20:21]
	v_add_u32_e32 v6, 0xfffffeb0, v4
	ds_read2_b64 v[10:13], v9 offset1:1
	ds_read2_b64 v[14:17], v9 offset0:2 offset1:3
	ds_read2_b64 v[18:21], v9 offset0:4 offset1:5
	;; [unrolled: 1-line block ×3, first 2 shown]
	v_lshl_add_u64 v[30:31], v[6:7], 2, s[20:21]
	v_add_u32_e32 v6, 0xffffff20, v4
	global_load_dword v33, v[26:27], off
	global_load_dword v35, v[30:31], off
	v_lshl_add_u64 v[26:27], v[6:7], 2, s[20:21]
	v_add_u32_e32 v6, 0xffffff90, v4
	v_mov_b32_e32 v5, v7
	v_lshl_add_u64 v[30:31], v[6:7], 2, s[20:21]
	v_add_u32_e32 v6, 0x70, v4
	v_lshl_add_u64 v[28:29], v[4:5], 2, s[20:21]
	global_load_dword v37, v[26:27], off
	global_load_dword v39, v[30:31], off
	;; [unrolled: 1-line block ×3, first 2 shown]
	v_lshl_add_u64 v[26:27], v[6:7], 2, s[20:21]
	v_add_u32_e32 v6, 0xe0, v4
	s_waitcnt lgkmcnt(3)
	v_mov_b32_e32 v32, v11
	v_sub_f32_e32 v9, v12, v1
	v_mov_b32_e32 v34, v13
	global_load_dword v11, v[26:27], off
	v_lshl_add_u64 v[12:13], v[6:7], 2, s[20:21]
	v_add_u32_e32 v6, 0x150, v4
	s_waitcnt lgkmcnt(2)
	v_mov_b32_e32 v36, v15
	global_load_dword v15, v[12:13], off
	v_lshl_add_u64 v[12:13], v[6:7], 2, s[20:21]
	v_mov_b32_e32 v38, v17
	global_load_dword v17, v[12:13], off
	v_sub_f32_e32 v5, v10, v1
	s_waitcnt lgkmcnt(1)
	v_mov_b32_e32 v40, v19
	v_sub_f32_e32 v19, v20, v1
	s_waitcnt lgkmcnt(0)
	v_sub_f32_e32 v20, v22, v1
	v_mul_f32_e32 v22, 0x3fb8aa3b, v5
	v_sub_f32_e32 v28, v14, v1
	v_sub_f32_e32 v29, v16, v1
	v_mov_b32_e32 v14, v23
	v_mul_f32_e32 v23, 0x3fb8aa3b, v9
	v_fma_f32 v6, v5, s26, -v22
	v_rndne_f32_e32 v42, v22
	v_sub_f32_e32 v18, v18, v1
	v_mov_b32_e32 v10, v21
	v_sub_f32_e32 v21, v24, v1
	v_mov_b32_e32 v16, v25
	v_mul_f32_e32 v24, 0x3fb8aa3b, v28
	v_mul_f32_e32 v25, 0x3fb8aa3b, v29
	v_fma_f32 v43, v9, s26, -v23
	v_rndne_f32_e32 v44, v23
	v_fmac_f32_e32 v6, 0x32a5705f, v5
	v_sub_f32_e32 v12, v22, v42
	v_mul_f32_e32 v26, 0x3fb8aa3b, v18
	v_mul_f32_e32 v27, 0x3fb8aa3b, v19
	v_mul_f32_e32 v30, 0x3fb8aa3b, v20
	v_fma_f32 v45, v28, s26, -v24
	v_rndne_f32_e32 v46, v24
	v_fma_f32 v47, v29, s26, -v25
	v_rndne_f32_e32 v48, v25
	v_fmac_f32_e32 v43, 0x32a5705f, v9
	v_sub_f32_e32 v22, v23, v44
	v_add_f32_e32 v6, v12, v6
	v_fma_f32 v49, v18, s26, -v26
	v_rndne_f32_e32 v50, v26
	v_fma_f32 v51, v19, s26, -v27
	v_rndne_f32_e32 v52, v27
	;; [unrolled: 2-line block ×3, first 2 shown]
	v_cvt_i32_f32_e32 v13, v42
	v_fmac_f32_e32 v45, 0x32a5705f, v28
	v_sub_f32_e32 v24, v24, v46
	v_fmac_f32_e32 v47, 0x32a5705f, v29
	v_sub_f32_e32 v25, v25, v48
	v_add_f32_e32 v12, v22, v43
	v_exp_f32_e32 v6, v6
	v_cvt_i32_f32_e32 v23, v44
	v_fmac_f32_e32 v49, 0x32a5705f, v18
	v_sub_f32_e32 v26, v26, v50
	v_fmac_f32_e32 v51, 0x32a5705f, v19
	v_sub_f32_e32 v27, v27, v52
	;; [unrolled: 2-line block ×3, first 2 shown]
	v_add_f32_e32 v22, v24, v45
	v_add_f32_e32 v24, v25, v47
	v_exp_f32_e32 v12, v12
	v_mul_f32_e32 v31, 0x3fb8aa3b, v21
	v_cvt_i32_f32_e32 v42, v46
	v_cvt_i32_f32_e32 v44, v48
	v_add_f32_e32 v25, v26, v49
	v_add_f32_e32 v26, v27, v51
	;; [unrolled: 1-line block ×3, first 2 shown]
	v_exp_f32_e32 v22, v22
	v_exp_f32_e32 v24, v24
	v_fma_f32 v55, v21, s26, -v31
	v_rndne_f32_e32 v56, v31
	v_cvt_i32_f32_e32 v46, v50
	v_cvt_i32_f32_e32 v48, v52
	;; [unrolled: 1-line block ×3, first 2 shown]
	v_exp_f32_e32 v25, v25
	v_exp_f32_e32 v26, v26
	;; [unrolled: 1-line block ×3, first 2 shown]
	v_fmac_f32_e32 v55, 0x32a5705f, v21
	v_sub_f32_e32 v31, v31, v56
	v_ldexp_f32 v6, v6, v13
	v_cmp_ngt_f32_e64 s[12:13], s27, v5
	v_add_f32_e32 v30, v31, v55
	v_ldexp_f32 v12, v12, v23
	v_cmp_ngt_f32_e32 vcc, s27, v9
	v_cndmask_b32_e64 v6, 0, v6, s[12:13]
	v_cmp_nlt_f32_e64 s[12:13], s28, v5
	v_cvt_i32_f32_e32 v52, v56
	v_exp_f32_e32 v30, v30
	v_ldexp_f32 v13, v22, v42
	v_cmp_ngt_f32_e64 s[0:1], s27, v28
	v_ldexp_f32 v22, v24, v44
	v_cmp_ngt_f32_e64 s[2:3], s27, v29
	v_cndmask_b32_e32 v12, 0, v12, vcc
	v_cmp_nlt_f32_e32 vcc, s28, v9
	v_cndmask_b32_e64 v6, v8, v6, s[12:13]
	v_ldexp_f32 v23, v25, v46
	v_cmp_ngt_f32_e64 s[4:5], s27, v18
	v_ldexp_f32 v24, v26, v48
	v_cmp_ngt_f32_e64 s[6:7], s27, v19
	;; [unrolled: 2-line block ×3, first 2 shown]
	v_cndmask_b32_e64 v9, 0, v13, s[0:1]
	v_cmp_nlt_f32_e64 s[0:1], s28, v28
	v_cndmask_b32_e64 v13, 0, v22, s[2:3]
	v_cndmask_b32_e32 v12, v8, v12, vcc
	s_waitcnt vmcnt(7)
	v_pk_fma_f32 v[2:3], v[6:7], v[32:33], v[2:3] op_sel_hi:[0,1,1]
	v_cmp_nlt_f32_e64 s[2:3], s28, v29
	v_cndmask_b32_e64 v22, 0, v23, s[4:5]
	v_cmp_nlt_f32_e64 s[4:5], s28, v18
	v_cndmask_b32_e64 v23, 0, v24, s[6:7]
	;; [unrolled: 2-line block ×3, first 2 shown]
	v_cndmask_b32_e64 v18, v8, v9, s[0:1]
	s_waitcnt vmcnt(6)
	v_pk_fma_f32 v[2:3], v[12:13], v[34:35], v[2:3] op_sel_hi:[0,1,1]
	v_cmp_nlt_f32_e64 s[8:9], s28, v20
	v_cndmask_b32_e64 v20, v8, v13, s[2:3]
	s_waitcnt vmcnt(5)
	v_pk_fma_f32 v[2:3], v[18:19], v[36:37], v[2:3] op_sel_hi:[0,1,1]
	v_ldexp_f32 v26, v30, v52
	v_cmp_ngt_f32_e64 s[10:11], s27, v21
	v_cndmask_b32_e64 v22, v8, v22, s[4:5]
	s_waitcnt vmcnt(4)
	v_pk_fma_f32 v[2:3], v[20:21], v[38:39], v[2:3] op_sel_hi:[0,1,1]
	v_cndmask_b32_e64 v25, 0, v26, s[10:11]
	v_cndmask_b32_e64 v24, v8, v23, s[6:7]
	s_waitcnt vmcnt(3)
	v_pk_fma_f32 v[2:3], v[22:23], v[40:41], v[2:3] op_sel_hi:[0,1,1]
	v_cmp_nlt_f32_e64 s[10:11], s28, v21
	v_cndmask_b32_e64 v26, v8, v19, s[8:9]
	s_waitcnt vmcnt(2)
	v_pk_fma_f32 v[2:3], v[24:25], v[10:11], v[2:3] op_sel_hi:[0,1,1]
	s_add_i32 s29, s29, 8
	s_add_i32 s25, s25, 64
	v_cndmask_b32_e64 v28, v8, v25, s[10:11]
	s_waitcnt vmcnt(1)
	v_pk_fma_f32 v[2:3], v[26:27], v[14:15], v[2:3] op_sel_hi:[0,1,1]
	s_cmp_eq_u32 s24, s29
	v_add_u32_e32 v4, 0x380, v4
	s_waitcnt vmcnt(0)
	v_pk_fma_f32 v[2:3], v[28:29], v[16:17], v[2:3] op_sel_hi:[0,1,1]
	s_cbranch_scc0 .LBB23_24
; %bb.25:
	s_and_b32 s2, s23, 7
	s_cmp_eq_u32 s2, 0
	s_cbranch_scc0 .LBB23_28
	s_branch .LBB23_30
.LBB23_26:
	s_waitcnt lgkmcnt(0)
	v_mov_b32_e32 v1, 0x7fc00000
	s_branch .LBB23_31
.LBB23_27:
	v_mov_b32_e32 v2, 0
	s_mov_b32 s24, 0
	v_mov_b32_e32 v3, v2
	s_and_b32 s2, s23, 7
	s_cmp_eq_u32 s2, 0
	s_cbranch_scc1 .LBB23_30
.LBB23_28:
	s_lshl_b64 s[0:1], s[18:19], 2
	s_mul_i32 s3, s24, 0x70
	s_add_u32 s0, s16, s0
	v_add_u32_e32 v4, s3, v0
	v_mov_b32_e32 v5, 0
	s_addc_u32 s1, s17, s1
	v_lshl_add_u64 v[4:5], v[4:5], 2, s[0:1]
	s_lshl_b32 s0, s24, 3
	s_add_i32 s3, s0, 0
	s_mov_b32 s4, 0x3fb8aa3b
	s_mov_b32 s5, 0xc2ce8ed0
	;; [unrolled: 1-line block ×3, first 2 shown]
	v_mov_b32_e32 v6, 0x7f800000
	s_mov_b64 s[0:1], 0x1c0
.LBB23_29:                              ; =>This Inner Loop Header: Depth=1
	global_load_dword v9, v[4:5], off
	v_mov_b32_e32 v7, s3
	ds_read_b64 v[10:11], v7
	s_add_i32 s3, s3, 8
	s_add_i32 s2, s2, -1
	v_lshl_add_u64 v[4:5], v[4:5], 0, s[0:1]
	s_cmp_lg_u32 s2, 0
	s_waitcnt lgkmcnt(0)
	v_sub_f32_e32 v7, v10, v1
	v_mul_f32_e32 v8, 0x3fb8aa3b, v7
	v_fma_f32 v10, v7, s4, -v8
	v_rndne_f32_e32 v12, v8
	v_fmac_f32_e32 v10, 0x32a5705f, v7
	v_sub_f32_e32 v8, v8, v12
	v_add_f32_e32 v8, v8, v10
	v_cvt_i32_f32_e32 v12, v12
	v_exp_f32_e32 v10, v8
	v_cmp_ngt_f32_e32 vcc, s5, v7
	v_mov_b32_e32 v8, v11
	v_ldexp_f32 v10, v10, v12
	v_cndmask_b32_e32 v10, 0, v10, vcc
	v_cmp_nlt_f32_e32 vcc, s6, v7
	s_nop 1
	v_cndmask_b32_e32 v10, v6, v10, vcc
	s_waitcnt vmcnt(0)
	v_pk_fma_f32 v[2:3], v[10:11], v[8:9], v[2:3] op_sel_hi:[0,1,1]
	s_cbranch_scc1 .LBB23_29
.LBB23_30:
	s_waitcnt lgkmcnt(0)
	v_div_scale_f32 v1, s[0:1], v2, v2, v3
	v_rcp_f32_e32 v4, v1
	v_div_scale_f32 v5, vcc, v3, v2, v3
	v_fma_f32 v6, -v1, v4, 1.0
	v_fmac_f32_e32 v4, v6, v4
	v_mul_f32_e32 v6, v5, v4
	v_fma_f32 v7, -v1, v6, v5
	v_fmac_f32_e32 v6, v7, v4
	v_fma_f32 v1, -v1, v6, v5
	v_div_fmas_f32 v1, v1, v4, v6
	v_div_fixup_f32 v1, v1, v2, v3
.LBB23_31:
	s_mul_i32 s0, s22, 0x70
	s_ashr_i32 s1, s0, 31
	s_lshl_b64 s[0:1], s[0:1], 2
	s_add_u32 s0, s14, s0
	s_addc_u32 s1, s15, s1
	v_lshlrev_b32_e32 v0, 2, v0
	global_store_dword v0, v1, s[0:1]
	s_endpgm
	.section	.rodata,"a",@progbits
	.p2align	6, 0x0
	.amdhsa_kernel _ZL26flash_attn_combine_resultsILi112EEvPKfPK15HIP_vector_typeIfLj2EEPfi
		.amdhsa_group_segment_fixed_size 0
		.amdhsa_private_segment_fixed_size 0
		.amdhsa_kernarg_size 288
		.amdhsa_user_sgpr_count 2
		.amdhsa_user_sgpr_dispatch_ptr 0
		.amdhsa_user_sgpr_queue_ptr 0
		.amdhsa_user_sgpr_kernarg_segment_ptr 1
		.amdhsa_user_sgpr_dispatch_id 0
		.amdhsa_user_sgpr_kernarg_preload_length 0
		.amdhsa_user_sgpr_kernarg_preload_offset 0
		.amdhsa_user_sgpr_private_segment_size 0
		.amdhsa_uses_dynamic_stack 0
		.amdhsa_enable_private_segment 0
		.amdhsa_system_sgpr_workgroup_id_x 1
		.amdhsa_system_sgpr_workgroup_id_y 1
		.amdhsa_system_sgpr_workgroup_id_z 1
		.amdhsa_system_sgpr_workgroup_info 0
		.amdhsa_system_vgpr_workitem_id 0
		.amdhsa_next_free_vgpr 57
		.amdhsa_next_free_sgpr 30
		.amdhsa_accum_offset 60
		.amdhsa_reserve_vcc 1
		.amdhsa_float_round_mode_32 0
		.amdhsa_float_round_mode_16_64 0
		.amdhsa_float_denorm_mode_32 3
		.amdhsa_float_denorm_mode_16_64 3
		.amdhsa_dx10_clamp 1
		.amdhsa_ieee_mode 1
		.amdhsa_fp16_overflow 0
		.amdhsa_tg_split 0
		.amdhsa_exception_fp_ieee_invalid_op 0
		.amdhsa_exception_fp_denorm_src 0
		.amdhsa_exception_fp_ieee_div_zero 0
		.amdhsa_exception_fp_ieee_overflow 0
		.amdhsa_exception_fp_ieee_underflow 0
		.amdhsa_exception_fp_ieee_inexact 0
		.amdhsa_exception_int_div_zero 0
	.end_amdhsa_kernel
	.section	.text._ZL26flash_attn_combine_resultsILi112EEvPKfPK15HIP_vector_typeIfLj2EEPfi,"axG",@progbits,_ZL26flash_attn_combine_resultsILi112EEvPKfPK15HIP_vector_typeIfLj2EEPfi,comdat
.Lfunc_end23:
	.size	_ZL26flash_attn_combine_resultsILi112EEvPKfPK15HIP_vector_typeIfLj2EEPfi, .Lfunc_end23-_ZL26flash_attn_combine_resultsILi112EEvPKfPK15HIP_vector_typeIfLj2EEPfi
                                        ; -- End function
	.set _ZL26flash_attn_combine_resultsILi112EEvPKfPK15HIP_vector_typeIfLj2EEPfi.num_vgpr, 57
	.set _ZL26flash_attn_combine_resultsILi112EEvPKfPK15HIP_vector_typeIfLj2EEPfi.num_agpr, 0
	.set _ZL26flash_attn_combine_resultsILi112EEvPKfPK15HIP_vector_typeIfLj2EEPfi.numbered_sgpr, 30
	.set _ZL26flash_attn_combine_resultsILi112EEvPKfPK15HIP_vector_typeIfLj2EEPfi.num_named_barrier, 0
	.set _ZL26flash_attn_combine_resultsILi112EEvPKfPK15HIP_vector_typeIfLj2EEPfi.private_seg_size, 0
	.set _ZL26flash_attn_combine_resultsILi112EEvPKfPK15HIP_vector_typeIfLj2EEPfi.uses_vcc, 1
	.set _ZL26flash_attn_combine_resultsILi112EEvPKfPK15HIP_vector_typeIfLj2EEPfi.uses_flat_scratch, 0
	.set _ZL26flash_attn_combine_resultsILi112EEvPKfPK15HIP_vector_typeIfLj2EEPfi.has_dyn_sized_stack, 0
	.set _ZL26flash_attn_combine_resultsILi112EEvPKfPK15HIP_vector_typeIfLj2EEPfi.has_recursion, 0
	.set _ZL26flash_attn_combine_resultsILi112EEvPKfPK15HIP_vector_typeIfLj2EEPfi.has_indirect_call, 0
	.section	.AMDGPU.csdata,"",@progbits
; Kernel info:
; codeLenInByte = 3040
; TotalNumSgprs: 36
; NumVgprs: 57
; NumAgprs: 0
; TotalNumVgprs: 57
; ScratchSize: 0
; MemoryBound: 0
; FloatMode: 240
; IeeeMode: 1
; LDSByteSize: 0 bytes/workgroup (compile time only)
; SGPRBlocks: 4
; VGPRBlocks: 7
; NumSGPRsForWavesPerEU: 36
; NumVGPRsForWavesPerEU: 57
; AccumOffset: 60
; Occupancy: 8
; WaveLimiterHint : 0
; COMPUTE_PGM_RSRC2:SCRATCH_EN: 0
; COMPUTE_PGM_RSRC2:USER_SGPR: 2
; COMPUTE_PGM_RSRC2:TRAP_HANDLER: 0
; COMPUTE_PGM_RSRC2:TGID_X_EN: 1
; COMPUTE_PGM_RSRC2:TGID_Y_EN: 1
; COMPUTE_PGM_RSRC2:TGID_Z_EN: 1
; COMPUTE_PGM_RSRC2:TIDIG_COMP_CNT: 0
; COMPUTE_PGM_RSRC3_GFX90A:ACCUM_OFFSET: 14
; COMPUTE_PGM_RSRC3_GFX90A:TG_SPLIT: 0
	.section	.text._ZL18flash_attn_ext_f16ILi128ELi128ELi32ELi1ELb0ELb0EEvPKcS1_S1_S1_S1_PKiPfP15HIP_vector_typeIfLj2EEffffjfiS5_IjLj3EEiiiiiiiiiiiliiliiiiil,"axG",@progbits,_ZL18flash_attn_ext_f16ILi128ELi128ELi32ELi1ELb0ELb0EEvPKcS1_S1_S1_S1_PKiPfP15HIP_vector_typeIfLj2EEffffjfiS5_IjLj3EEiiiiiiiiiiiliiliiiiil,comdat
	.globl	_ZL18flash_attn_ext_f16ILi128ELi128ELi32ELi1ELb0ELb0EEvPKcS1_S1_S1_S1_PKiPfP15HIP_vector_typeIfLj2EEffffjfiS5_IjLj3EEiiiiiiiiiiiliiliiiiil ; -- Begin function _ZL18flash_attn_ext_f16ILi128ELi128ELi32ELi1ELb0ELb0EEvPKcS1_S1_S1_S1_PKiPfP15HIP_vector_typeIfLj2EEffffjfiS5_IjLj3EEiiiiiiiiiiiliiliiiiil
	.p2align	8
	.type	_ZL18flash_attn_ext_f16ILi128ELi128ELi32ELi1ELb0ELb0EEvPKcS1_S1_S1_S1_PKiPfP15HIP_vector_typeIfLj2EEffffjfiS5_IjLj3EEiiiiiiiiiiiliiliiiiil,@function
_ZL18flash_attn_ext_f16ILi128ELi128ELi32ELi1ELb0ELb0EEvPKcS1_S1_S1_S1_PKiPfP15HIP_vector_typeIfLj2EEffffjfiS5_IjLj3EEiiiiiiiiiiiliiliiiiil: ; @_ZL18flash_attn_ext_f16ILi128ELi128ELi32ELi1ELb0ELb0EEvPKcS1_S1_S1_S1_PKiPfP15HIP_vector_typeIfLj2EEffffjfiS5_IjLj3EEiiiiiiiiiiiliiliiiiil
; %bb.0:
	s_load_dwordx2 s[10:11], s[0:1], 0x80
	s_load_dwordx4 s[72:75], s[0:1], 0x64
	s_mov_b32 s54, s2
                                        ; implicit-def: $vgpr240 : SGPR spill to VGPR lane
	s_load_dword s49, s[0:1], 0xd0
	s_mov_b32 s4, 0
	s_waitcnt lgkmcnt(0)
	s_abs_i32 s2, s11
	v_cvt_f32_u32_e32 v1, s2
	s_sub_i32 s6, 0, s2
	s_abs_i32 s5, s73
	s_xor_b32 s3, s73, s11
	v_rcp_iflag_f32_e32 v1, v1
	s_ashr_i32 s3, s3, 31
	v_mul_f32_e32 v1, 0x4f7ffffe, v1
	v_cvt_u32_f32_e32 v1, v1
	s_nop 0
	v_readfirstlane_b32 s7, v1
	s_mul_i32 s6, s6, s7
	s_mul_hi_u32 s6, s7, s6
	s_add_i32 s7, s7, s6
	s_mul_hi_u32 s6, s5, s7
	s_mul_i32 s7, s6, s2
	s_sub_i32 s5, s5, s7
	s_add_i32 s8, s6, 1
	s_sub_i32 s7, s5, s2
	s_cmp_ge_u32 s5, s2
	s_cselect_b32 s6, s8, s6
	s_cselect_b32 s5, s7, s5
	s_add_i32 s7, s6, 1
	s_cmp_ge_u32 s5, s2
	s_cselect_b32 s2, s7, s6
	s_add_i32 s5, s10, 63
	s_xor_b32 s2, s2, s3
	s_ashr_i32 s6, s5, 31
	s_sub_i32 s3, s2, s3
	s_lshr_b32 s2, s6, 26
	s_add_i32 s5, s5, s2
	s_add_i32 s2, s72, 31
	s_lshr_b32 s2, s2, 5
	s_ashr_i32 s5, s5, 6
	v_writelane_b32 v240, s2, 0
	v_writelane_b32 v240, s5, 1
	s_mul_i32 s2, s2, s5
	v_writelane_b32 v240, s3, 2
	v_writelane_b32 v240, s2, 3
	s_mul_i32 s3, s2, s3
	s_mov_b32 s2, s10
	v_writelane_b32 v240, s2, 4
	s_nop 1
	v_writelane_b32 v240, s3, 5
	s_mul_i32 s2, s3, s11
	s_mul_i32 s8, s2, s74
	v_writelane_b32 v240, s3, 6
	s_ashr_i32 s9, s8, 31
	v_writelane_b32 v240, s2, 7
	s_mul_i32 s2, s9, s54
	s_mul_hi_u32 s3, s8, s54
	s_add_i32 s5, s3, s2
	s_cmp_lg_u64 s[4:5], 0
	s_mul_i32 s4, s8, s54
	s_cbranch_scc0 .LBB24_2
; %bb.1:
	s_add_u32 s2, s49, 0
	s_addc_u32 s3, 0, 0
	s_xor_b64 s[6:7], s[2:3], 0
	v_cvt_f32_u32_e32 v1, s6
	v_cvt_f32_u32_e32 v2, s7
	s_sub_u32 s12, 0, s6
	s_subb_u32 s13, 0, s7
	s_mov_b64 s[2:3], 0
	v_fmamk_f32 v1, v2, 0x4f800000, v1
	v_rcp_f32_e32 v1, v1
	s_nop 0
	v_mul_f32_e32 v1, 0x5f7ffffc, v1
	v_mul_f32_e32 v2, 0x2f800000, v1
	v_trunc_f32_e32 v2, v2
	v_fmamk_f32 v1, v2, 0xcf800000, v1
	v_cvt_u32_f32_e32 v2, v2
	v_cvt_u32_f32_e32 v1, v1
	v_readfirstlane_b32 s14, v2
	v_readfirstlane_b32 s10, v1
	s_mul_i32 s11, s12, s14
	s_mul_hi_u32 s16, s12, s10
	s_mul_i32 s15, s13, s10
	s_add_i32 s11, s16, s11
	s_add_i32 s11, s11, s15
	s_mul_i32 s17, s12, s10
	s_mul_i32 s16, s10, s11
	s_mul_hi_u32 s18, s10, s17
	s_mul_hi_u32 s15, s10, s11
	s_add_u32 s16, s18, s16
	s_addc_u32 s15, 0, s15
	s_mul_hi_u32 s19, s14, s17
	s_mul_i32 s17, s14, s17
	s_add_u32 s16, s16, s17
	s_mul_hi_u32 s18, s14, s11
	s_addc_u32 s15, s15, s19
	s_addc_u32 s16, s18, 0
	s_mul_i32 s11, s14, s11
	s_add_u32 s11, s15, s11
	s_addc_u32 s15, 0, s16
	s_add_u32 s16, s10, s11
	s_cselect_b64 s[10:11], -1, 0
	s_cmp_lg_u64 s[10:11], 0
	s_addc_u32 s14, s14, s15
	s_mul_i32 s10, s12, s14
	s_mul_hi_u32 s11, s12, s16
	s_add_i32 s10, s11, s10
	s_mul_i32 s13, s13, s16
	s_add_i32 s10, s10, s13
	s_mul_i32 s12, s12, s16
	s_mul_hi_u32 s13, s14, s12
	s_mul_i32 s15, s14, s12
	s_mul_i32 s18, s16, s10
	s_mul_hi_u32 s12, s16, s12
	s_mul_hi_u32 s17, s16, s10
	s_add_u32 s12, s12, s18
	s_addc_u32 s17, 0, s17
	s_add_u32 s12, s12, s15
	s_mul_hi_u32 s11, s14, s10
	s_addc_u32 s12, s17, s13
	s_addc_u32 s11, s11, 0
	s_mul_i32 s10, s14, s10
	s_add_u32 s10, s12, s10
	s_addc_u32 s12, 0, s11
	s_add_u32 s15, s16, s10
	s_cselect_b64 s[10:11], -1, 0
	s_cmp_lg_u64 s[10:11], 0
	s_addc_u32 s14, s14, s12
	s_ashr_i32 s10, s5, 31
	s_add_u32 s12, s4, s10
	s_mov_b32 s11, s10
	s_addc_u32 s13, s5, s10
	s_xor_b64 s[12:13], s[12:13], s[10:11]
	s_mul_i32 s16, s12, s14
	s_mul_hi_u32 s17, s12, s15
	s_mul_hi_u32 s5, s12, s14
	s_add_u32 s16, s17, s16
	s_addc_u32 s5, 0, s5
	s_mul_hi_u32 s18, s13, s15
	s_mul_i32 s15, s13, s15
	s_add_u32 s15, s16, s15
	s_mul_hi_u32 s17, s13, s14
	s_addc_u32 s5, s5, s18
	s_addc_u32 s15, s17, 0
	s_mul_i32 s14, s13, s14
	s_add_u32 s5, s5, s14
	s_addc_u32 s18, 0, s15
	s_mul_i32 s14, s6, s18
	s_mul_hi_u32 s15, s6, s5
	s_add_i32 s14, s15, s14
	s_mul_i32 s15, s7, s5
	s_add_i32 s19, s14, s15
	s_sub_i32 s16, s13, s19
	s_mul_i32 s14, s6, s5
	s_sub_u32 s12, s12, s14
	s_cselect_b64 s[14:15], -1, 0
	s_cmp_lg_u64 s[14:15], 0
	s_subb_u32 s20, s16, s7
	s_sub_u32 s21, s12, s6
	s_cselect_b64 s[16:17], -1, 0
	s_cmp_lg_u64 s[16:17], 0
	s_subb_u32 s16, s20, 0
	s_cmp_ge_u32 s16, s7
	s_cselect_b32 s17, -1, 0
	s_cmp_ge_u32 s21, s6
	s_cselect_b32 s20, -1, 0
	s_cmp_eq_u32 s16, s7
	s_cselect_b32 s16, s20, s17
	s_add_u32 s17, s5, 1
	s_addc_u32 s20, s18, 0
	s_add_u32 s21, s5, 2
	s_addc_u32 s22, s18, 0
	s_cmp_lg_u32 s16, 0
	s_cselect_b32 s16, s21, s17
	s_cselect_b32 s17, s22, s20
	s_cmp_lg_u64 s[14:15], 0
	s_subb_u32 s13, s13, s19
	s_cmp_ge_u32 s13, s7
	s_cselect_b32 s14, -1, 0
	s_cmp_ge_u32 s12, s6
	s_cselect_b32 s6, -1, 0
	s_cmp_eq_u32 s13, s7
	s_cselect_b32 s6, s6, s14
	s_cmp_lg_u32 s6, 0
	s_cselect_b32 s7, s17, s18
	s_cselect_b32 s6, s16, s5
	s_xor_b64 s[10:11], s[10:11], 0
	s_xor_b64 s[6:7], s[6:7], s[10:11]
	s_sub_u32 s98, s6, s10
	s_branch .LBB24_3
.LBB24_2:
	s_mov_b64 s[2:3], -1
                                        ; implicit-def: $sgpr98_sgpr99
.LBB24_3:
	s_load_dwordx2 s[6:7], s[0:1], 0x74
	v_cvt_f32_u32_e32 v1, s49
	s_andn2_b64 vcc, exec, s[2:3]
	s_waitcnt lgkmcnt(0)
	v_writelane_b32 v240, s6, 8
	s_nop 1
	v_writelane_b32 v240, s7, 9
	s_cbranch_vccnz .LBB24_5
; %bb.4:
	v_rcp_iflag_f32_e32 v2, v1
	s_sub_i32 s2, 0, s49
	v_mul_f32_e32 v2, 0x4f7ffffe, v2
	v_cvt_u32_f32_e32 v2, v2
	s_nop 0
	v_readfirstlane_b32 s3, v2
	s_mul_i32 s2, s2, s3
	s_mul_hi_u32 s2, s3, s2
	s_add_i32 s3, s3, s2
	s_mul_hi_u32 s2, s4, s3
	s_mul_i32 s5, s2, s49
	s_sub_i32 s4, s4, s5
	s_add_i32 s3, s2, 1
	s_sub_i32 s5, s4, s49
	s_cmp_ge_u32 s4, s49
	s_cselect_b32 s2, s3, s2
	s_cselect_b32 s4, s5, s4
	s_add_i32 s3, s2, 1
	s_cmp_ge_u32 s4, s49
	s_cselect_b32 s98, s3, s2
.LBB24_5:
	s_add_i32 s2, s54, 1
	s_mul_i32 s3, s9, s2
	s_mul_hi_u32 s4, s8, s2
	s_add_i32 s7, s4, s3
	s_mov_b32 s6, 0
	s_cmp_lg_u64 s[6:7], 0
	s_mul_i32 s6, s8, s2
	s_cbranch_scc0 .LBB24_366
; %bb.6:
	s_add_u32 s2, s49, 0
	s_addc_u32 s3, 0, 0
	s_xor_b64 s[4:5], s[2:3], 0
	v_cvt_f32_u32_e32 v2, s4
	v_cvt_f32_u32_e32 v3, s5
	s_sub_u32 s10, 0, s4
	s_subb_u32 s11, 0, s5
	v_fmamk_f32 v2, v3, 0x4f800000, v2
	v_rcp_f32_e32 v2, v2
	s_nop 0
	v_mul_f32_e32 v2, 0x5f7ffffc, v2
	v_mul_f32_e32 v3, 0x2f800000, v2
	v_trunc_f32_e32 v3, v3
	v_fmamk_f32 v2, v3, 0xcf800000, v2
	v_cvt_u32_f32_e32 v3, v3
	v_cvt_u32_f32_e32 v2, v2
	v_readfirstlane_b32 s12, v3
	v_readfirstlane_b32 s8, v2
	s_mul_i32 s9, s10, s12
	s_mul_hi_u32 s14, s10, s8
	s_mul_i32 s13, s11, s8
	s_add_i32 s9, s14, s9
	s_add_i32 s9, s9, s13
	s_mul_i32 s15, s10, s8
	s_mul_i32 s14, s8, s9
	s_mul_hi_u32 s16, s8, s15
	s_mul_hi_u32 s13, s8, s9
	s_add_u32 s14, s16, s14
	s_addc_u32 s13, 0, s13
	s_mul_hi_u32 s17, s12, s15
	s_mul_i32 s15, s12, s15
	s_add_u32 s14, s14, s15
	s_mul_hi_u32 s16, s12, s9
	s_addc_u32 s13, s13, s17
	s_addc_u32 s14, s16, 0
	s_mul_i32 s9, s12, s9
	s_add_u32 s9, s13, s9
	s_addc_u32 s13, 0, s14
	s_add_u32 s14, s8, s9
	s_cselect_b64 s[8:9], -1, 0
	s_cmp_lg_u64 s[8:9], 0
	s_addc_u32 s12, s12, s13
	s_mul_i32 s8, s10, s12
	s_mul_hi_u32 s9, s10, s14
	s_add_i32 s8, s9, s8
	s_mul_i32 s11, s11, s14
	s_add_i32 s8, s8, s11
	s_mul_i32 s10, s10, s14
	s_mul_hi_u32 s11, s12, s10
	s_mul_i32 s13, s12, s10
	s_mul_i32 s16, s14, s8
	s_mul_hi_u32 s10, s14, s10
	s_mul_hi_u32 s15, s14, s8
	s_add_u32 s10, s10, s16
	s_addc_u32 s15, 0, s15
	s_add_u32 s10, s10, s13
	s_mul_hi_u32 s9, s12, s8
	s_addc_u32 s10, s15, s11
	s_addc_u32 s9, s9, 0
	s_mul_i32 s8, s12, s8
	s_add_u32 s8, s10, s8
	s_addc_u32 s10, 0, s9
	s_add_u32 s13, s14, s8
	s_cselect_b64 s[8:9], -1, 0
	s_cmp_lg_u64 s[8:9], 0
	s_addc_u32 s12, s12, s10
	s_ashr_i32 s8, s7, 31
	s_add_u32 s10, s6, s8
	s_mov_b32 s9, s8
	s_addc_u32 s11, s7, s8
	s_xor_b64 s[10:11], s[10:11], s[8:9]
	s_mul_i32 s14, s10, s12
	s_mul_hi_u32 s15, s10, s13
	s_mul_hi_u32 s7, s10, s12
	s_add_u32 s14, s15, s14
	s_addc_u32 s7, 0, s7
	s_mul_hi_u32 s16, s11, s13
	s_mul_i32 s13, s11, s13
	s_add_u32 s13, s14, s13
	s_mul_hi_u32 s15, s11, s12
	s_addc_u32 s7, s7, s16
	s_addc_u32 s13, s15, 0
	s_mul_i32 s12, s11, s12
	s_add_u32 s7, s7, s12
	s_addc_u32 s16, 0, s13
	s_mul_i32 s12, s4, s16
	s_mul_hi_u32 s13, s4, s7
	s_add_i32 s12, s13, s12
	s_mul_i32 s13, s5, s7
	s_add_i32 s17, s12, s13
	s_sub_i32 s14, s11, s17
	s_mul_i32 s12, s4, s7
	s_sub_u32 s10, s10, s12
	s_cselect_b64 s[12:13], -1, 0
	s_cmp_lg_u64 s[12:13], 0
	s_subb_u32 s18, s14, s5
	s_sub_u32 s19, s10, s4
	s_cselect_b64 s[14:15], -1, 0
	s_cmp_lg_u64 s[14:15], 0
	s_subb_u32 s14, s18, 0
	s_cmp_ge_u32 s14, s5
	s_cselect_b32 s15, -1, 0
	s_cmp_ge_u32 s19, s4
	s_cselect_b32 s18, -1, 0
	s_cmp_eq_u32 s14, s5
	s_cselect_b32 s14, s18, s15
	s_add_u32 s15, s7, 1
	s_addc_u32 s18, s16, 0
	s_add_u32 s19, s7, 2
	s_addc_u32 s20, s16, 0
	s_cmp_lg_u32 s14, 0
	s_cselect_b32 s14, s19, s15
	s_cselect_b32 s15, s20, s18
	s_cmp_lg_u64 s[12:13], 0
	s_subb_u32 s11, s11, s17
	s_cmp_ge_u32 s11, s5
	s_cselect_b32 s12, -1, 0
	s_cmp_ge_u32 s10, s4
	s_cselect_b32 s4, -1, 0
	s_cmp_eq_u32 s11, s5
	s_cselect_b32 s4, s4, s12
	s_cmp_lg_u32 s4, 0
	s_cselect_b32 s5, s15, s16
	s_cselect_b32 s4, s14, s7
	s_xor_b64 s[8:9], s[8:9], 0
	s_xor_b64 s[4:5], s[4:5], s[8:9]
	s_sub_u32 s4, s4, s8
	v_writelane_b32 v240, s4, 10
	s_nop 1
	v_writelane_b32 v240, s5, 11
	s_load_dwordx2 s[88:89], s[0:1], 0x5c
	s_cbranch_execnz .LBB24_8
.LBB24_7:
	v_rcp_iflag_f32_e32 v1, v1
	s_sub_i32 s2, 0, s49
	v_mul_f32_e32 v1, 0x4f7ffffe, v1
	v_cvt_u32_f32_e32 v1, v1
	s_nop 0
	v_readfirstlane_b32 s3, v1
	s_mul_i32 s2, s2, s3
	s_mul_hi_u32 s2, s3, s2
	s_add_i32 s3, s3, s2
	s_mul_hi_u32 s2, s6, s3
	s_mul_i32 s4, s2, s49
	s_sub_i32 s4, s6, s4
	s_add_i32 s3, s2, 1
	s_sub_i32 s5, s4, s49
	s_cmp_ge_u32 s4, s49
	s_cselect_b32 s2, s3, s2
	s_cselect_b32 s4, s5, s4
	s_add_i32 s3, s2, 1
	s_cmp_ge_u32 s4, s49
	s_cselect_b32 s2, s3, s2
	v_writelane_b32 v240, s2, 10
	s_nop 1
	v_writelane_b32 v240, s3, 11
.LBB24_8:
	s_load_dwordx16 s[56:71], s[0:1], 0x0
	s_load_dwordx4 s[12:15], s[0:1], 0x40
	s_load_dword s2, s[0:1], 0x50
	s_ashr_i32 s81, s75, 3
	v_bfe_u32 v130, v0, 10, 10
	s_mov_b32 s93, 0
	s_waitcnt lgkmcnt(0)
	v_cvt_f16_f32_e32 v139, s12
	v_writelane_b32 v240, s2, 12
	s_load_dwordx2 s[2:3], s[0:1], 0x8c
	s_load_dwordx4 s[4:7], s[0:1], 0x98
	s_load_dwordx2 s[8:9], s[0:1], 0xa8
	s_load_dwordx2 s[20:21], s[0:1], 0xb8
	s_nop 0
	s_load_dwordx2 s[0:1], s[0:1], 0xc8
	v_lshlrev_b32_e32 v132, 3, v130
	s_waitcnt lgkmcnt(0)
	s_ashr_i32 s86, s2, 2
	s_ashr_i32 s74, s6, 2
	v_writelane_b32 v240, s8, 13
	s_ashr_i32 s52, s21, 1
	v_add_u32_e32 v138, 4, v130
	v_writelane_b32 v240, s9, 14
	v_writelane_b32 v240, s0, 15
	v_add_u32_e32 v137, 8, v130
	v_add_u32_e32 v136, 12, v130
	v_writelane_b32 v240, s1, 16
	s_mov_b32 s1, s3
	v_readlane_b32 s8, v240, 1
	s_abs_i32 s33, s8
	v_cvt_f32_u32_e32 v1, s33
	v_writelane_b32 v240, s0, 17
	s_mov_b32 s3, s7
	v_add_u32_e32 v135, 16, v130
	v_rcp_iflag_f32_e32 v1, v1
	v_writelane_b32 v240, s1, 18
	s_mov_b64 s[0:1], s[4:5]
	v_writelane_b32 v240, s0, 19
	v_mul_f32_e32 v1, 0x4f7ffffe, v1
	v_cvt_u32_f32_e32 v1, v1
	v_writelane_b32 v240, s1, 20
	v_writelane_b32 v240, s2, 21
	;; [unrolled: 1-line block ×3, first 2 shown]
	s_sub_i32 s2, 0, s33
	v_readfirstlane_b32 s3, v1
	s_mul_i32 s2, s2, s3
	s_ashr_i32 s1, s8, 31
	s_mul_hi_u32 s2, s3, s2
	v_writelane_b32 v240, s1, 23
	s_abs_i32 s1, s98
	s_add_i32 s45, s3, s2
	s_mul_hi_u32 s2, s1, s45
	s_mul_i32 s2, s2, s33
	s_sub_i32 s1, s1, s2
	s_ashr_i32 s0, s98, 31
	s_sub_i32 s2, s1, s33
	s_cmp_ge_u32 s1, s33
	s_cselect_b32 s1, s2, s1
	s_sub_i32 s2, s1, s33
	s_cmp_ge_u32 s1, s33
	s_cselect_b32 s1, s2, s1
	s_xor_b32 s1, s1, s0
	s_sub_i32 s42, s1, s0
	v_readlane_b32 s0, v240, 10
	v_readlane_b32 s1, v240, 11
	v_writelane_b32 v240, s56, 24
	s_mov_b32 s6, s0
	s_sub_i32 s0, s0, s98
	v_writelane_b32 v240, s57, 25
	v_writelane_b32 v240, s58, 26
	;; [unrolled: 1-line block ×6, first 2 shown]
	s_add_i32 s4, s0, s42
	v_writelane_b32 v240, s63, 31
	s_min_i32 s90, s8, s4
	v_writelane_b32 v240, s64, 32
	s_cmp_gt_i32 s6, s98
	v_writelane_b32 v240, s65, 33
	s_cselect_b64 s[2:3], -1, 0
	s_cmp_le_i32 s6, s98
	v_writelane_b32 v240, s66, 34
	s_cselect_b64 s[0:1], -1, 0
	s_cmp_gt_i32 s8, s4
	v_writelane_b32 v240, s67, 35
	s_cselect_b64 s[4:5], -1, 0
	v_writelane_b32 v240, s68, 36
	s_or_b64 s[0:1], s[4:5], s[0:1]
	v_writelane_b32 v240, s69, 37
	s_and_b64 vcc, exec, s[0:1]
	v_add_u32_e32 v134, 20, v130
	v_add_u32_e32 v53, 24, v130
	;; [unrolled: 1-line block ×3, first 2 shown]
	v_lshlrev_b32_e32 v131, 4, v130
	v_mbcnt_lo_u32_b32 v133, -1, 0
	v_writelane_b32 v240, s70, 38
	v_writelane_b32 v240, s71, 39
	s_cbranch_vccz .LBB24_11
; %bb.9:
	s_andn2_b64 vcc, exec, s[2:3]
	s_cbranch_vccz .LBB24_316
.LBB24_10:
	s_endpgm
.LBB24_11:
	s_cmp_lg_u64 s[62:63], 0
	v_writelane_b32 v240, s49, 40
	s_cselect_b64 s[0:1], -1, 0
	v_writelane_b32 v240, s0, 41
	s_cmp_eq_u64 s[64:65], 0
	s_mov_b64 s[2:3], s[14:15]
	v_writelane_b32 v240, s1, 42
	s_mul_i32 s0, s72, s73
	v_writelane_b32 v240, s0, 43
	s_cselect_b64 s[0:1], -1, 0
	v_writelane_b32 v240, s0, 44
	v_and_b32_e32 v46, 0x3ff, v0
	v_lshlrev_b32_e32 v1, 2, v46
	v_writelane_b32 v240, s1, 45
	s_mov_b32 s1, s13
	v_writelane_b32 v240, s0, 46
	v_bfe_u32 v6, v0, 4, 6
	v_lshl_add_u32 v143, v130, 2, v6
	v_writelane_b32 v240, s1, 47
	v_and_b32_e32 v52, 60, v1
	v_writelane_b32 v240, s2, 48
	v_add_u32_e32 v140, 0, v1
	v_mul_u32_u24_e32 v6, 0x110, v143
	v_lshlrev_b32_e32 v1, 2, v52
	v_writelane_b32 v240, s3, 49
	v_cmp_nle_f32_e64 s[0:1], s13, 0
	v_add3_u32 v144, 0, v6, v1
	v_bfe_u32 v1, v0, 2, 8
	v_writelane_b32 v240, s0, 50
	s_cmp_lg_u64 s[66:67], 0
	v_and_b32_e32 v2, 15, v0
	v_and_b32_e32 v5, 8, v132
	s_movk_i32 s2, 0x220
	v_and_b32_e32 v6, 60, v1
	v_or_b32_e32 v1, 3, v1
	v_writelane_b32 v240, s1, 51
	s_cselect_b64 s[0:1], -1, 0
	v_mad_u32_u24 v5, v5, s2, 0
	v_mul_u32_u24_e32 v1, 0x110, v1
	v_lshlrev_b32_e32 v8, 1, v2
	v_writelane_b32 v240, s0, 52
	v_add3_u32 v146, v5, v1, v8
	v_bfe_u32 v1, v0, 10, 1
	v_writelane_b32 v240, s1, 53
	v_cmp_eq_u32_e64 s[2:3], 0, v1
	v_and_b32_e32 v1, 0x400, v0
	v_lshrrev_b32_e32 v4, 1, v0
	v_writelane_b32 v240, s2, 54
	v_and_b32_e32 v4, 0x78, v4
	v_mul_u32_u24_e32 v3, 0x110, v2
	v_writelane_b32 v240, s3, 55
	v_cmp_ne_u32_e64 s[2:3], 0, v1
	v_or_b32_e32 v1, v132, v46
	v_lshlrev_b32_e32 v48, 3, v1
	v_or_b32_e32 v1, v131, v2
	v_mul_u32_u24_e32 v1, 0x110, v1
	v_add3_u32 v147, 0, v1, v4
	v_lshrrev_b32_e32 v1, 10, v0
	v_bfe_u32 v148, v1, 1, 9
	v_add3_u32 v141, 0, v3, v4
	v_mul_u32_u24_e32 v7, 0x110, v6
	v_bfe_u32 v4, v130, 1, 4
	s_movk_i32 s6, 0xe0
	v_add_u32_e32 v149, 2, v148
	v_add3_u32 v145, v5, v7, v8
	v_and_or_b32 v1, v1, s6, v4
	v_lshlrev_b32_e32 v5, 1, v149
	v_and_b32_e32 v7, 15, v149
	s_movk_i32 s6, 0x1e0
	v_add_u32_e32 v150, 4, v148
	v_and_or_b32 v5, v5, s6, v7
	v_lshlrev_b32_e32 v7, 1, v150
	v_and_b32_e32 v8, 15, v150
	v_add_u32_e32 v151, 6, v148
	v_and_or_b32 v7, v7, s6, v8
	v_lshlrev_b32_e32 v8, 1, v151
	v_and_b32_e32 v9, 15, v151
	;; [unrolled: 4-line block ×3, first 2 shown]
	v_add_u32_e32 v153, 10, v148
	v_writelane_b32 v240, s2, 56
	v_and_or_b32 v9, v9, s6, v10
	v_lshlrev_b32_e32 v10, 1, v153
	v_and_b32_e32 v11, 15, v153
	v_add_u32_e32 v154, 12, v148
	v_writelane_b32 v240, s3, 57
	s_lshl_b32 s92, s54, 5
	v_and_or_b32 v10, v10, s6, v11
	v_lshlrev_b32_e32 v11, 1, v154
	v_and_b32_e32 v12, 15, v154
	v_add_u32_e32 v155, 14, v148
	s_ashr_i32 s53, s52, 31
	s_ashr_i32 s87, s86, 31
	s_ashr_i32 s75, s74, 31
	s_lshl_b32 s15, s86, 4
	s_lshl_b32 s17, s74, 4
	v_writelane_b32 v240, s54, 58
	s_lshl_b64 s[2:3], s[92:93], 3
	v_and_or_b32 v11, v11, s6, v12
	v_lshlrev_b32_e32 v12, 1, v155
	v_and_b32_e32 v13, 15, v155
	v_add_u32_e32 v156, 16, v148
	s_add_u32 s2, s70, s2
	v_and_or_b32 v12, v12, s6, v13
	v_lshlrev_b32_e32 v13, 1, v156
	v_add_u32_e32 v157, 18, v148
	v_readlane_b32 s24, v240, 7
	s_addc_u32 s3, s71, s3
	v_and_or_b32 v4, v13, s6, v4
	v_lshlrev_b32_e32 v13, 1, v157
	v_and_b32_e32 v14, 15, v157
	v_add_u32_e32 v158, 20, v148
	s_abs_i32 s25, s24
	v_and_or_b32 v13, v13, s6, v14
	v_lshlrev_b32_e32 v14, 1, v158
	v_and_b32_e32 v15, 15, v158
	v_add_u32_e32 v159, 22, v148
	v_cvt_f32_u32_e32 v19, s25
	v_and_or_b32 v14, v14, s6, v15
	v_lshlrev_b32_e32 v15, 1, v159
	v_and_b32_e32 v16, 15, v159
	v_add_u32_e32 v160, 24, v148
	v_and_or_b32 v15, v15, s6, v16
	v_lshlrev_b32_e32 v16, 1, v160
	v_and_b32_e32 v17, 15, v160
	v_add_u32_e32 v161, 26, v148
	;; [unrolled: 4-line block ×3, first 2 shown]
	v_readlane_b32 s23, v240, 6
	v_and_or_b32 v17, v17, s6, v18
	v_lshlrev_b32_e32 v18, 1, v162
	v_and_b32_e32 v20, 15, v162
	v_rcp_iflag_f32_e32 v19, v19
	s_abs_i32 s26, s23
	v_and_or_b32 v18, v18, s6, v20
	v_cvt_f32_u32_e32 v20, s26
	v_mul_f32_e32 v19, 0x4f7ffffe, v19
	v_cvt_u32_f32_e32 v19, v19
	v_add_u32_e32 v163, 30, v148
	v_rcp_iflag_f32_e32 v20, v20
	v_mul_u32_u24_e32 v3, 0x90, v130
	v_lshlrev_b32_e32 v50, 1, v46
	v_lshlrev_b32_e32 v21, 1, v163
	v_and_b32_e32 v22, 15, v163
	v_readlane_b32 s22, v240, 3
	s_mov_b64 s[4:5], src_private_base
	v_add3_u32 v142, 0, v3, v50
	v_and_b32_e32 v3, 16, v131
	v_and_or_b32 v21, v21, s6, v22
	v_readfirstlane_b32 s18, v19
	v_mul_f32_e32 v19, 0x4f7ffffe, v20
	s_abs_i32 s27, s22
	s_mov_b32 s6, s20
	s_movk_i32 s4, 0x110
	v_cvt_u32_f32_e32 v19, v19
	v_cvt_f32_u32_e32 v20, s27
	v_writelane_b32 v240, s6, 59
	v_add_u32_e32 v164, v6, v3
	v_add_u16_e32 v6, v6, v3
	v_mul_u32_u24_e32 v165, 0x110, v3
	v_and_b32_e32 v3, 0x7f0, v132
	v_writelane_b32 v240, s7, 60
	v_mad_u32_u24 v166, v3, s4, v141
	s_lshl_b32 s4, s73, 6
	v_writelane_b32 v240, s4, 61
	s_ashr_i32 s4, s24, 31
	s_abs_i32 s28, s20
	v_writelane_b32 v240, s4, 62
	s_sub_i32 s4, 0, s25
	v_cvt_f32_u32_e32 v22, s28
	v_readfirstlane_b32 s19, v19
	v_rcp_iflag_f32_e32 v19, v20
	s_mul_i32 s4, s4, s18
	s_mul_hi_u32 s4, s18, s4
	s_add_i32 s4, s18, s4
                                        ; implicit-def: $vgpr239 : SGPR spill to VGPR lane
	v_rcp_iflag_f32_e32 v20, v22
	v_writelane_b32 v239, s4, 0
	s_ashr_i32 s4, s23, 31
	v_mul_f32_e32 v19, 0x4f7ffffe, v19
	v_writelane_b32 v239, s4, 1
	s_sub_i32 s4, 0, s26
	v_cvt_u32_f32_e32 v19, v19
	s_mul_i32 s4, s4, s19
	s_mul_hi_u32 s4, s19, s4
	v_writelane_b32 v239, s26, 2
	s_add_i32 s4, s19, s4
	v_mul_f32_e32 v20, 0x4f7ffffe, v20
	v_writelane_b32 v239, s4, 3
	s_ashr_i32 s4, s22, 31
	v_cvt_u32_f32_e32 v20, v20
	v_readfirstlane_b32 s20, v19
	v_writelane_b32 v239, s4, 4
	s_sub_i32 s4, 0, s27
	s_mul_i32 s4, s4, s20
	s_mul_hi_u32 s4, s20, s4
	v_writelane_b32 v239, s27, 5
	s_add_i32 s4, s20, s4
	v_readfirstlane_b32 s21, v20
	v_writelane_b32 v239, s4, 6
	s_sub_i32 s4, 0, s28
	s_mul_i32 s4, s4, s21
	s_mul_hi_u32 s4, s21, s4
	v_mov_b32_e32 v49, 0
	v_writelane_b32 v239, s28, 7
	s_add_i32 s4, s21, s4
	v_writelane_b32 v239, s4, 8
	v_lshl_add_u64 v[72:73], s[2:3], 0, v[48:49]
	v_cmp_gt_u32_e64 s[2:3], 16, v46
	s_movk_i32 s14, 0x90
	v_mul_lo_u32 v54, s86, v143
	v_writelane_b32 v239, s2, 9
	v_or_b32_e32 v3, v3, v2
	v_mul_lo_u32 v62, s74, v143
	v_writelane_b32 v239, s3, 10
	v_cmp_gt_u32_e64 s[2:3], 32, v46
	v_add_u32_e32 v56, s15, v54
	v_mad_u32_u24 v3, v3, s14, 0
	v_writelane_b32 v239, s2, 11
	v_lshrrev_b16_e32 v6, 1, v6
	v_add_u32_e32 v168, 32, v164
	v_add_u32_e32 v170, 34, v164
	;; [unrolled: 1-line block ×3, first 2 shown]
	v_writelane_b32 v239, s3, 12
	s_mov_b32 s2, s52
	v_add_u32_e32 v58, s15, v56
	v_lshl_add_u32 v167, v6, 2, v3
	v_lshl_add_u32 v169, v168, 1, v3
	;; [unrolled: 1-line block ×3, first 2 shown]
	v_add_u32_e32 v66, s17, v64
	v_add_u32_e32 v3, v131, v46
	v_writelane_b32 v239, s2, 13
	v_add_u32_e32 v60, s15, v58
	v_add_u32_e32 v68, s17, v66
	v_mul_u32_u24_e32 v172, 0x110, v3
	v_and_b32_e32 v3, 31, v0
	v_writelane_b32 v239, s3, 14
	s_lshl_b64 s[2:3], s[52:53], 1
	s_mov_b32 s16, 0x10001
	v_ashrrev_i32_e32 v55, 31, v54
	v_ashrrev_i32_e32 v57, 31, v56
	;; [unrolled: 1-line block ×8, first 2 shown]
	v_add_u32_e32 v3, v131, v3
	v_writelane_b32 v239, s2, 15
	v_cmp_lt_u32_e64 s[0:1], 63, v46
	v_cmp_gt_u32_e64 s[6:7], 64, v143
	v_cmp_gt_u32_e64 s[8:9], 48, v143
	;; [unrolled: 1-line block ×5, first 2 shown]
	v_mul_u32_u24_e32 v173, 0x110, v3
	v_mul_u32_u24_e32 v174, 0x110, v1
	;; [unrolled: 1-line block ×17, first 2 shown]
	v_writelane_b32 v240, s25, 63
	v_mov_b32_e32 v51, v49
	v_lshlrev_b32_e32 v70, 4, v2
	v_mov_b32_e32 v71, v49
	s_mov_b32 s73, 0x42b17218
	s_mov_b32 s97, 0x3fb8aa3b
	;; [unrolled: 1-line block ×4, first 2 shown]
	v_mov_b32_e32 v228, v49
	v_mov_b32_e32 v229, v49
	;; [unrolled: 1-line block ×4, first 2 shown]
	s_mov_b32 s4, 0x5040100
	v_mul_lo_u32 v190, v139, s16
	v_add_u32_e32 v191, 0x240, v142
	v_add_u32_e32 v192, 0x480, v142
	;; [unrolled: 1-line block ×13, first 2 shown]
	v_or_b32_e32 v204, 1, v164
	v_or_b32_e32 v205, 2, v164
	;; [unrolled: 1-line block ×3, first 2 shown]
	v_add_u32_e32 v207, 33, v164
	v_add_u32_e32 v208, 35, v164
	v_mul_u32_u24_e32 v209, 0x110, v130
	v_mov_b32_e32 v210, 0x3e91f4c4
	v_mov_b32_e32 v211, 0x37000000
	;; [unrolled: 1-line block ×4, first 2 shown]
	v_mbcnt_hi_u32_b32 v214, -1, v133
	v_mov_b32_e32 v215, 0
	v_lshl_add_u64 v[74:75], v[62:63], 2, s[60:61]
	v_lshl_add_u64 v[76:77], v[64:65], 2, s[60:61]
	;; [unrolled: 1-line block ×8, first 2 shown]
	v_cmp_gt_u32_e64 s[16:17], 63, v164
	v_cmp_gt_u32_e64 s[18:19], 62, v164
	;; [unrolled: 1-line block ×7, first 2 shown]
	v_writelane_b32 v239, s3, 16
	s_lshl_b64 s[82:83], s[74:75], 8
	s_lshl_b64 s[84:85], s[86:87], 8
	s_mov_b64 s[30:31], 0x80
                                        ; implicit-def: $vgpr1
	v_writelane_b32 v239, s45, 17
	s_branch .LBB24_14
.LBB24_12:                              ;   in Loop: Header=BB24_14 Depth=1
	s_or_b64 exec, exec, s[2:3]
	s_barrier
.LBB24_13:                              ;   in Loop: Header=BB24_14 Depth=1
	v_readlane_b32 s36, v240, 1
	s_add_i32 s2, s98, s36
	s_abs_i32 s34, s2
	v_readlane_b32 s45, v239, 17
	s_mul_hi_u32 s35, s34, s45
	s_mul_i32 s35, s35, s33
	s_sub_i32 s34, s34, s35
	s_ashr_i32 s3, s2, 31
	s_sub_i32 s35, s34, s33
	s_cmp_ge_u32 s34, s33
	s_cselect_b32 s34, s35, s34
	s_sub_i32 s35, s34, s33
	s_cmp_ge_u32 s34, s33
	s_cselect_b32 s34, s35, s34
	s_xor_b32 s34, s34, s3
	s_sub_i32 s3, s3, s34
	s_add_i32 s98, s2, s3
	v_readlane_b32 s2, v240, 10
	s_sub_i32 s34, s2, s98
	s_min_i32 s90, s36, s34
	v_readlane_b32 s3, v240, 11
	s_cmp_gt_i32 s2, s98
	s_cselect_b64 s[2:3], -1, 0
	s_cmp_le_i32 s36, s34
	s_cselect_b64 s[34:35], -1, 0
	s_and_b64 s[34:35], s[34:35], s[2:3]
	s_mov_b32 s42, 0
	s_and_b64 vcc, exec, s[34:35]
	s_cbranch_vccz .LBB24_315
.LBB24_14:                              ; =>This Loop Header: Depth=1
                                        ;     Child Loop BB24_209 Depth 2
                                        ;     Child Loop BB24_55 Depth 2
	s_ashr_i32 s2, s98, 31
	v_readlane_b32 s3, v240, 62
	s_xor_b32 s2, s2, s3
	s_abs_i32 s3, s98
	v_readlane_b32 s34, v239, 0
	s_mul_hi_u32 s34, s3, s34
	v_readlane_b32 s37, v240, 63
	s_mul_i32 s35, s34, s37
	s_sub_i32 s3, s3, s35
	s_add_i32 s35, s34, 1
	s_sub_i32 s36, s3, s37
	s_cmp_ge_u32 s3, s37
	s_cselect_b32 s34, s35, s34
	s_cselect_b32 s3, s36, s3
	s_add_i32 s35, s34, 1
	s_cmp_ge_u32 s3, s37
	s_cselect_b32 s3, s35, s34
	s_xor_b32 s3, s3, s2
	s_sub_i32 s34, s3, s2
	v_readlane_b32 s2, v240, 41
	v_readlane_b32 s3, v240, 42
	;; [unrolled: 1-line block ×3, first 2 shown]
	s_ashr_i32 s35, s34, 31
	s_andn2_b64 vcc, exec, s[2:3]
	s_mov_b64 s[2:3], 0
	v_readlane_b32 s53, v240, 25
	v_readlane_b32 s54, v240, 26
	v_readlane_b32 s55, v240, 27
	v_readlane_b32 s56, v240, 28
	v_readlane_b32 s57, v240, 29
	v_readlane_b32 s58, v240, 30
	v_readlane_b32 s59, v240, 31
	v_readlane_b32 s60, v240, 32
	v_readlane_b32 s61, v240, 33
	v_readlane_b32 s62, v240, 34
	v_readlane_b32 s63, v240, 35
	v_readlane_b32 s64, v240, 36
	v_readlane_b32 s65, v240, 37
	v_readlane_b32 s66, v240, 38
	v_readlane_b32 s67, v240, 39
	s_cbranch_vccnz .LBB24_16
; %bb.15:                               ;   in Loop: Header=BB24_14 Depth=1
	s_abs_i32 s2, s34
	v_readlane_b32 s3, v239, 8
	s_mul_hi_u32 s3, s2, s3
	v_readlane_b32 s36, v239, 7
	s_mul_i32 s3, s3, s36
	s_sub_i32 s2, s2, s3
	s_sub_i32 s3, s2, s36
	s_cmp_ge_u32 s2, s36
	s_cselect_b32 s2, s3, s2
	s_sub_i32 s3, s2, s36
	s_cmp_ge_u32 s2, s36
	s_cselect_b32 s2, s3, s2
	s_xor_b32 s2, s2, s35
	s_sub_i32 s2, s2, s35
	s_ashr_i32 s3, s2, 31
	v_readlane_b32 s38, v240, 15
	v_readlane_b32 s39, v240, 16
	s_mul_i32 s3, s38, s3
	s_mul_hi_u32 s36, s38, s2
	s_add_i32 s3, s36, s3
	s_mul_i32 s36, s39, s2
	s_add_i32 s3, s3, s36
	s_mul_i32 s2, s38, s2
	s_add_u32 s2, s58, s2
	s_addc_u32 s3, s59, s3
.LBB24_16:                              ;   in Loop: Header=BB24_14 Depth=1
	v_readlane_b32 s36, v240, 7
	s_mul_i32 s36, s34, s36
	s_sub_i32 s36, s98, s36
	s_ashr_i32 s37, s36, 31
	v_readlane_b32 s38, v239, 1
	s_xor_b32 s37, s37, s38
	s_abs_i32 s38, s36
	v_readlane_b32 s39, v239, 3
	s_mul_hi_u32 s39, s38, s39
	v_readlane_b32 s43, v239, 2
	s_mul_i32 s40, s39, s43
	s_sub_i32 s38, s38, s40
	s_add_i32 s40, s39, 1
	s_sub_i32 s41, s38, s43
	s_cmp_ge_u32 s38, s43
	s_cselect_b32 s39, s40, s39
	s_cselect_b32 s38, s41, s38
	s_add_i32 s40, s39, 1
	s_cmp_ge_u32 s38, s43
	s_cselect_b32 s38, s40, s39
	s_xor_b32 s38, s38, s37
	s_sub_i32 s43, s38, s37
	v_readlane_b32 s37, v240, 6
	s_mul_i32 s37, s43, s37
	s_sub_i32 s41, s36, s37
	s_ashr_i32 s36, s41, 31
	v_readlane_b32 s37, v239, 4
	s_xor_b32 s36, s36, s37
	s_abs_i32 s37, s41
	v_readlane_b32 s38, v239, 6
	s_mul_hi_u32 s38, s37, s38
	v_readlane_b32 s44, v239, 5
	s_mul_i32 s39, s38, s44
	s_sub_i32 s37, s37, s39
	s_add_i32 s39, s38, 1
	s_sub_i32 s40, s37, s44
	s_cmp_ge_u32 s37, s44
	s_cselect_b32 s38, s39, s38
	s_cselect_b32 s37, s40, s37
	s_add_i32 s39, s38, 1
	s_cmp_ge_u32 s37, s44
	s_cselect_b32 s37, s39, s38
	s_xor_b32 s37, s37, s36
	s_sub_i32 s44, s37, s36
	v_readlane_b32 s36, v240, 2
	s_mul_i32 s36, s43, s36
	s_add_i32 s40, s36, s44
	v_readlane_b32 s36, v240, 50
	v_readlane_b32 s37, v240, 51
	s_andn2_b64 vcc, exec, s[36:37]
	v_mov_b32_e32 v90, 1.0
	s_cbranch_vccnz .LBB24_18
; %bb.17:                               ;   in Loop: Header=BB24_14 Depth=1
	v_readlane_b32 s36, v240, 12
	s_brev_b32 s48, -2
	s_nop 0
	v_mov_b32_e32 v1, s36
	v_readlane_b32 s36, v240, 46
	v_sub_co_u32_e32 v1, vcc, s40, v1
	s_add_i32 s36, s40, 1
	v_lshlrev_b32_e32 v1, 1, v1
	v_mov_b32_e32 v3, s36
	v_or_b32_e32 v1, 1, v1
	v_cndmask_b32_e32 v1, v1, v3, vcc
	v_readlane_b32 s38, v240, 48
	v_readlane_b32 s39, v240, 49
	v_cvt_f32_i32_e32 v1, v1
	v_mov_b32_e32 v3, s38
	v_mov_b32_e32 v2, s39
	v_cndmask_b32_e32 v2, v2, v3, vcc
	v_cmp_neq_f32_e32 vcc, 1.0, v2
	s_mov_b32 s36, 0x3f2aaaab
	s_movk_i32 s38, 0x204
	v_cndmask_b32_e32 v1, 1.0, v1, vcc
	v_cmp_neq_f32_e32 vcc, 0, v1
	v_readlane_b32 s37, v240, 47
	s_nop 0
	v_cndmask_b32_e32 v18, 1.0, v2, vcc
	v_frexp_mant_f32_e64 v2, |v18|
	v_cmp_gt_f32_e32 vcc, s36, v2
	s_mov_b32 s36, 0x3f317218
	v_cmp_class_f32_e64 s[46:47], v18, s38
	v_cndmask_b32_e64 v3, 1.0, 2.0, vcc
	v_mul_f32_e32 v2, v2, v3
	v_add_f32_e32 v5, 1.0, v2
	v_rcp_f32_e32 v10, v5
	v_add_f32_e32 v3, -1.0, v5
	v_sub_f32_e32 v7, v2, v3
	v_add_f32_e32 v3, -1.0, v2
	v_mul_f32_e32 v11, v3, v10
	v_mul_f32_e32 v4, v5, v11
	v_fma_f32 v6, v11, v5, -v4
	v_fmac_f32_e32 v6, v11, v7
	v_add_f32_e32 v2, v4, v6
	v_sub_f32_e32 v5, v3, v2
	v_pk_add_f32 v[8:9], v[2:3], v[4:5] neg_lo:[0,1] neg_hi:[0,1]
	v_mov_b32_e32 v7, v2
	v_pk_add_f32 v[2:3], v[8:9], v[6:7] neg_lo:[0,1] neg_hi:[0,1]
	s_nop 0
	v_add_f32_e32 v2, v2, v3
	v_add_f32_e32 v2, v5, v2
	v_mul_f32_e32 v3, v10, v2
	v_add_f32_e32 v2, v11, v3
	v_sub_f32_e32 v4, v2, v11
	v_sub_f32_e32 v12, v3, v4
	v_mul_f32_e32 v3, v2, v2
	v_fma_f32 v5, v2, v2, -v3
	v_add_f32_e32 v4, v12, v12
	v_fmac_f32_e32 v5, v2, v4
	v_add_f32_e32 v4, v3, v5
	v_fmamk_f32 v6, v4, 0x3e76c4e1, v210
	v_fmaak_f32 v6, v4, v6, 0x3ecccdef
	v_sub_f32_e32 v3, v4, v3
	v_sub_f32_e32 v13, v5, v3
	v_mul_f32_e32 v3, v4, v6
	v_fma_f32 v5, v4, v6, -v3
	v_fmac_f32_e32 v5, v13, v6
	v_add_f32_e32 v6, v3, v5
	v_add_f32_e32 v7, 0x3f2aaaaa, v6
	v_sub_f32_e32 v3, v6, v3
	v_sub_f32_e32 v3, v5, v3
	v_add_f32_e32 v5, 0xbf2aaaaa, v7
	v_add_f32_e32 v3, 0x31739010, v3
	v_sub_f32_e32 v5, v6, v5
	v_pk_mul_f32 v[8:9], v[2:3], v[4:5]
	v_pk_add_f32 v[10:11], v[2:3], v[4:5]
	v_fma_f32 v6, v4, v2, -v8
	v_fmac_f32_e32 v6, v4, v12
	v_mov_b32_e32 v9, v11
	v_fmac_f32_e32 v6, v13, v2
	v_pk_add_f32 v[4:5], v[8:9], v[6:7]
	v_ldexp_f32 v14, v12, 1
	v_sub_f32_e32 v3, v4, v8
	v_sub_f32_e32 v3, v6, v3
	;; [unrolled: 1-line block ×3, first 2 shown]
	v_add_f32_e32 v10, v11, v6
	v_pk_mul_f32 v[6:7], v[4:5], v[4:5] op_sel:[0,1] op_sel_hi:[1,0]
	v_cvt_f64_f32_e64 v[8:9], |v18|
	v_frexp_exp_i32_f64_e32 v7, v[8:9]
	v_subbrev_co_u32_e32 v7, vcc, 0, v7, vcc
	v_cvt_f32_i32_e32 v7, v7
	v_fma_f32 v8, v4, v5, -v6
	v_fmac_f32_e32 v8, v4, v10
	v_fmac_f32_e32 v8, v3, v5
	v_mul_f32_e32 v4, 0x3f317218, v7
	v_fma_f32 v10, v7, s36, -v4
	v_fmac_f32_e32 v10, 0xb102e308, v7
	v_ldexp_f32 v11, v2, 1
	v_add_f32_e32 v5, v6, v8
	v_pk_add_f32 v[2:3], v[4:5], v[10:11]
	v_mov_b32_e32 v12, v5
	v_mov_b32_e32 v13, v3
	;; [unrolled: 1-line block ×3, first 2 shown]
	v_pk_add_f32 v[6:7], v[12:13], v[6:7] neg_lo:[0,1] neg_hi:[0,1]
	v_mov_b32_e32 v9, v5
	v_pk_add_f32 v[6:7], v[8:9], v[6:7] neg_lo:[0,1] neg_hi:[0,1]
	v_mov_b32_e32 v11, v2
	v_add_f32_e32 v5, v14, v6
	v_add_f32_e32 v5, v5, v7
	v_pk_add_f32 v[6:7], v[2:3], v[4:5] neg_lo:[0,1] neg_hi:[0,1]
	v_pk_add_f32 v[8:9], v[2:3], v[4:5]
	v_mov_b32_e32 v16, v3
	v_mov_b32_e32 v7, v9
	v_pk_add_f32 v[12:13], v[10:11], v[6:7] neg_lo:[0,1] neg_hi:[0,1]
	v_pk_add_f32 v[6:7], v[10:11], v[6:7]
	v_mov_b32_e32 v4, v5
	v_pk_add_f32 v[10:11], v[6:7], v[2:3] op_sel:[1,0] op_sel_hi:[0,1] neg_lo:[0,1] neg_hi:[0,1]
	v_pk_add_f32 v[14:15], v[8:9], v[10:11] op_sel_hi:[1,0] neg_lo:[0,1] neg_hi:[0,1]
	v_mov_b32_e32 v8, v9
	v_mov_b32_e32 v9, v7
	;; [unrolled: 1-line block ×3, first 2 shown]
	v_pk_add_f32 v[8:9], v[8:9], v[16:17] neg_lo:[0,1] neg_hi:[0,1]
	v_mov_b32_e32 v5, v2
	v_pk_add_f32 v[2:3], v[4:5], v[8:9] neg_lo:[0,1] neg_hi:[0,1]
	v_mov_b32_e32 v14, v12
	v_pk_add_f32 v[4:5], v[14:15], v[2:3]
	v_mov_b32_e32 v13, v7
	v_pk_add_f32 v[8:9], v[4:5], v[4:5] op_sel:[0,1] op_sel_hi:[1,0]
	s_mov_b32 s36, 0x7f800000
	v_pk_add_f32 v[6:7], v[6:7], v[8:9] op_sel:[1,0] op_sel_hi:[0,1]
	v_mov_b32_e32 v5, v6
	v_pk_add_f32 v[10:11], v[4:5], v[12:13] neg_lo:[0,1] neg_hi:[0,1]
	v_mov_b32_e32 v3, v8
	v_sub_f32_e32 v4, v4, v10
	v_pk_add_f32 v[2:3], v[2:3], v[10:11] neg_lo:[0,1] neg_hi:[0,1]
	v_sub_f32_e32 v4, v12, v4
	v_add_f32_e32 v2, v2, v4
	v_add_f32_e32 v2, v2, v3
	;; [unrolled: 1-line block ×3, first 2 shown]
	v_sub_f32_e32 v4, v3, v6
	v_sub_f32_e32 v2, v2, v4
	v_mul_f32_e32 v4, v1, v3
	v_fma_f32 v3, v1, v3, -v4
	v_fmac_f32_e32 v3, v1, v2
	v_add_f32_e32 v2, v4, v3
	v_cmp_class_f32_e64 vcc, v4, s38
	v_sub_f32_e32 v5, v2, v4
	v_sub_f32_e32 v3, v3, v5
	v_cndmask_b32_e32 v2, v2, v4, vcc
	v_cmp_eq_f32_e32 vcc, s73, v2
	s_nop 1
	v_cndmask_b32_e32 v4, 0, v211, vcc
	v_sub_f32_e32 v5, v2, v4
	v_mul_f32_e32 v6, 0x3fb8aa3b, v5
	v_fma_f32 v7, v5, s97, -v6
	v_rndne_f32_e32 v8, v6
	v_fmac_f32_e32 v7, 0x32a5705f, v5
	v_sub_f32_e32 v6, v6, v8
	v_add_f32_e32 v6, v6, v7
	v_exp_f32_e32 v6, v6
	v_cvt_i32_f32_e32 v7, v8
	v_cmp_neq_f32_e64 vcc, |v2|, s36
	s_nop 1
	v_cndmask_b32_e32 v2, 0, v3, vcc
	v_ldexp_f32 v3, v6, v7
	v_cmp_ngt_f32_e32 vcc, s94, v5
	v_add_f32_e32 v2, v4, v2
	s_nop 0
	v_cndmask_b32_e32 v3, 0, v3, vcc
	v_cmp_nlt_f32_e32 vcc, s73, v5
	s_nop 1
	v_cndmask_b32_e32 v3, v212, v3, vcc
	v_fma_f32 v2, v3, v2, v3
	v_cmp_class_f32_e64 vcc, v3, s38
	v_cmp_gt_f32_e64 s[38:39], 0, v1
	s_nop 0
	v_cndmask_b32_e32 v2, v2, v3, vcc
	v_trunc_f32_e32 v3, v1
	v_cmp_eq_f32_e32 vcc, v3, v1
	v_mul_f32_e32 v3, 0.5, v1
	v_trunc_f32_e32 v4, v3
	v_cmp_neq_f32_e64 s[36:37], v4, v3
	s_and_b64 s[36:37], vcc, s[36:37]
	s_nop 0
	v_cndmask_b32_e64 v3, 1.0, v18, s[36:37]
	v_bfi_b32 v2, s48, v2, v3
	v_cndmask_b32_e32 v3, v213, v2, vcc
	v_cmp_gt_f32_e32 vcc, 0, v18
	s_nop 1
	v_cndmask_b32_e32 v2, v2, v3, vcc
	v_cmp_eq_f32_e32 vcc, 0, v18
	s_xor_b64 s[38:39], s[38:39], vcc
	v_cndmask_b32_e64 v1, v212, 0, s[38:39]
	v_cndmask_b32_e64 v3, 0, v18, s[36:37]
	v_bfi_b32 v1, s48, v1, v3
	s_or_b64 vcc, vcc, s[46:47]
	v_cndmask_b32_e32 v1, v2, v1, vcc
	v_cmp_o_f32_e32 vcc, v18, v18
	s_nop 1
	v_cndmask_b32_e32 v90, v213, v1, vcc
.LBB24_18:                              ;   in Loop: Header=BB24_14 Depth=1
	v_readlane_b32 s36, v240, 3
	s_mul_i32 s44, s44, s36
	s_sub_i32 s36, s41, s44
	s_ashr_i32 s37, s36, 31
	v_readlane_b32 s38, v240, 23
	s_abs_i32 s36, s36
	s_xor_b32 s37, s37, s38
	s_mul_hi_u32 s38, s36, s45
	s_mul_i32 s39, s38, s33
	s_sub_i32 s36, s36, s39
	s_add_i32 s39, s38, 1
	s_sub_i32 s41, s36, s33
	s_cmp_ge_u32 s36, s33
	s_cselect_b32 s38, s39, s38
	s_cselect_b32 s36, s41, s36
	s_add_i32 s39, s38, 1
	s_cmp_ge_u32 s36, s33
	s_cselect_b32 s36, s39, s38
	v_readlane_b32 s38, v240, 52
	s_xor_b32 s36, s36, s37
	v_readlane_b32 s39, v240, 53
	s_andn2_b64 vcc, exec, s[38:39]
	s_sub_i32 s76, s36, s37
	s_cbranch_vccnz .LBB24_20
; %bb.19:                               ;   in Loop: Header=BB24_14 Depth=1
	v_readlane_b32 s36, v240, 0
	s_mul_i32 s36, s34, s36
	s_add_i32 s36, s76, s36
	s_ashr_i32 s37, s36, 31
	s_lshl_b64 s[36:37], s[36:37], 2
	s_add_u32 s36, s62, s36
	s_addc_u32 s37, s63, s37
	global_load_dword v1, v49, s[36:37]
	s_waitcnt vmcnt(0)
	v_readfirstlane_b32 s36, v1
	s_ashr_i32 s37, s36, 31
	s_lshr_b32 s37, s37, 26
	s_add_i32 s36, s36, s37
	s_ashr_i32 s36, s36, 6
	s_min_i32 s90, s90, s36
.LBB24_20:                              ;   in Loop: Header=BB24_14 Depth=1
	v_readlane_b32 s36, v240, 43
	s_mul_i32 s36, s36, s34
	s_add_i32 s36, s40, s36
	s_lshl_b32 s92, s36, 6
	s_lshl_b64 s[36:37], s[92:93], 3
	s_add_u32 s36, s64, s36
	s_addc_u32 s37, s65, s37
	v_writelane_b32 v239, s36, 18
	v_readlane_b32 s38, v240, 13
	v_readlane_b32 s39, v240, 14
	v_writelane_b32 v239, s37, 19
	s_mul_i32 s36, s38, s35
	s_mul_hi_u32 s37, s38, s34
	s_add_i32 s36, s37, s36
	s_mul_i32 s37, s39, s34
	v_readlane_b32 s44, v240, 19
	s_add_i32 s37, s36, s37
	s_mul_i32 s36, s38, s34
	v_readlane_b32 s47, v240, 22
	v_writelane_b32 v239, s36, 20
	s_add_u32 s36, s56, s36
	s_mul_i32 s92, s43, s47
	v_writelane_b32 v239, s37, 21
	s_addc_u32 s37, s57, s37
	s_ashr_i32 s38, s92, 31
	s_add_u32 s91, s36, s92
	s_addc_u32 s78, s37, s38
	s_ashr_i32 s41, s40, 31
	s_lshl_b64 s[36:37], s[40:41], 2
	v_writelane_b32 v239, s38, 22
	s_add_u32 s38, s60, s36
	s_addc_u32 s39, s61, s37
	v_readlane_b32 s36, v240, 44
	v_readlane_b32 s37, v240, 45
	s_and_b64 s[36:37], s[36:37], exec
	s_cselect_b32 s49, 0, s39
	s_cselect_b32 s48, 0, s38
	v_readlane_b32 s38, v240, 8
	v_readlane_b32 s39, v240, 9
	s_mul_i32 s36, s34, s39
	s_ashr_i32 s37, s36, 31
	s_add_u32 s36, s52, s36
	s_mul_i32 s38, s40, s38
	s_addc_u32 s37, s53, s37
	s_ashr_i32 s39, s38, 31
	s_mov_b64 s[70:71], s[66:67]
	v_readlane_b32 s45, v240, 20
	s_mov_b64 s[68:69], s[64:65]
	s_mov_b64 s[66:67], s[62:63]
	;; [unrolled: 1-line block ×7, first 2 shown]
	s_add_u32 s54, s36, s38
	s_mul_i32 s35, s44, s35
	s_mul_hi_u32 s36, s44, s34
	s_addc_u32 s55, s37, s39
	s_add_i32 s35, s36, s35
	s_mul_i32 s36, s45, s34
	s_add_i32 s60, s35, s36
	v_readlane_b32 s36, v240, 17
	s_mul_i32 s61, s44, s34
	v_readlane_b32 s37, v240, 18
	s_add_u32 s34, s58, s61
	s_mul_i32 s79, s43, s37
	s_addc_u32 s35, s59, s60
	s_ashr_i32 s58, s79, 31
	s_add_u32 s96, s34, s79
	s_addc_u32 s99, s35, s58
	s_cmp_lg_u32 s42, 0
	v_readlane_b32 s46, v240, 21
	s_cbranch_scc0 .LBB24_65
; %bb.21:                               ;   in Loop: Header=BB24_14 Depth=1
	s_lshl_b32 s77, s76, 5
	v_add_u32_e32 v116, s77, v130
	v_cmp_le_i32_e32 vcc, s72, v116
	s_and_saveexec_b64 s[34:35], vcc
	s_xor_b64 s[34:35], exec, s[34:35]
; %bb.22:                               ;   in Loop: Header=BB24_14 Depth=1
	v_add_u32_e32 v1, v140, v209
	ds_write_b32 v1, v49
; %bb.23:                               ;   in Loop: Header=BB24_14 Depth=1
	s_andn2_saveexec_b64 s[34:35], s[34:35]
	s_cbranch_execz .LBB24_25
; %bb.24:                               ;   in Loop: Header=BB24_14 Depth=1
	v_mad_u64_u32 v[2:3], s[36:37], v116, s81, v[46:47]
	v_ashrrev_i32_e32 v3, 31, v2
	v_lshl_add_u64 v[2:3], v[2:3], 3, s[54:55]
	global_load_dwordx2 v[2:3], v[2:3], off
	s_waitcnt vmcnt(0)
	v_cvt_pk_f16_f32 v1, v2, v3
	v_pk_mul_f16 v1, v1, v190
	v_add_u32_e32 v2, v140, v209
	ds_write_b32 v2, v1
.LBB24_25:                              ;   in Loop: Header=BB24_14 Depth=1
	s_or_b64 exec, exec, s[34:35]
	v_add_u32_e32 v118, s77, v138
	v_cmp_le_i32_e32 vcc, s72, v118
	s_and_saveexec_b64 s[34:35], vcc
	s_xor_b64 s[34:35], exec, s[34:35]
; %bb.26:                               ;   in Loop: Header=BB24_14 Depth=1
	v_add_u32_e32 v1, v140, v209
	ds_write_b32 v1, v49 offset:1088
; %bb.27:                               ;   in Loop: Header=BB24_14 Depth=1
	s_andn2_saveexec_b64 s[34:35], s[34:35]
	s_cbranch_execz .LBB24_29
; %bb.28:                               ;   in Loop: Header=BB24_14 Depth=1
	v_mad_u64_u32 v[2:3], s[36:37], v118, s81, v[46:47]
	v_ashrrev_i32_e32 v3, 31, v2
	v_lshl_add_u64 v[2:3], v[2:3], 3, s[54:55]
	global_load_dwordx2 v[2:3], v[2:3], off
	s_waitcnt vmcnt(0)
	v_cvt_pk_f16_f32 v1, v2, v3
	v_pk_mul_f16 v1, v1, v190
	v_add_u32_e32 v2, v140, v209
	ds_write_b32 v2, v1 offset:1088
.LBB24_29:                              ;   in Loop: Header=BB24_14 Depth=1
	s_or_b64 exec, exec, s[34:35]
	v_add_u32_e32 v120, s77, v137
	v_cmp_le_i32_e32 vcc, s72, v120
	s_and_saveexec_b64 s[34:35], vcc
	s_xor_b64 s[34:35], exec, s[34:35]
; %bb.30:                               ;   in Loop: Header=BB24_14 Depth=1
	v_add_u32_e32 v1, v140, v209
	ds_write_b32 v1, v49 offset:2176
; %bb.31:                               ;   in Loop: Header=BB24_14 Depth=1
	s_andn2_saveexec_b64 s[34:35], s[34:35]
	s_cbranch_execz .LBB24_33
; %bb.32:                               ;   in Loop: Header=BB24_14 Depth=1
	v_mad_u64_u32 v[2:3], s[36:37], v120, s81, v[46:47]
	v_ashrrev_i32_e32 v3, 31, v2
	v_lshl_add_u64 v[2:3], v[2:3], 3, s[54:55]
	global_load_dwordx2 v[2:3], v[2:3], off
	s_waitcnt vmcnt(0)
	v_cvt_pk_f16_f32 v1, v2, v3
	v_pk_mul_f16 v1, v1, v190
	v_add_u32_e32 v2, v140, v209
	ds_write_b32 v2, v1 offset:2176
.LBB24_33:                              ;   in Loop: Header=BB24_14 Depth=1
	;; [unrolled: 22-line block ×7, first 2 shown]
	s_or_b64 exec, exec, s[34:35]
	s_waitcnt lgkmcnt(0)
	s_barrier
	ds_read2_b64 v[14:17], v166 offset1:4
	ds_read2_b64 v[10:13], v166 offset0:8 offset1:12
	ds_read2_b64 v[6:9], v166 offset0:16 offset1:20
	ds_read2_b64 v[2:5], v166 offset0:24 offset1:28
	s_add_i32 s43, s90, -1
	s_cmp_ge_i32 s42, s43
	s_waitcnt lgkmcnt(0)
	s_barrier
	s_cbranch_scc1 .LBB24_66
; %bb.54:                               ;   in Loop: Header=BB24_14 Depth=1
	v_mul_hi_u32 v1, s88, v116
	v_add_u32_e32 v1, v116, v1
	v_lshrrev_b32_e32 v1, s89, v1
	v_mul_lo_u32 v1, v1, s72
	v_readlane_b32 s34, v239, 13
	v_sub_u32_e32 v1, v116, v1
	v_readlane_b32 s35, v239, 14
	s_mov_b32 s36, s34
	v_mad_i64_i32 v[94:95], s[34:35], v1, s36, 0
	v_mul_hi_u32 v1, s88, v118
	v_add_u32_e32 v1, v118, v1
	v_lshrrev_b32_e32 v1, s89, v1
	v_mul_lo_u32 v1, v1, s72
	v_sub_u32_e32 v1, v118, v1
	v_mad_i64_i32 v[96:97], s[34:35], v1, s36, 0
	v_mul_hi_u32 v1, s88, v120
	v_add_u32_e32 v1, v120, v1
	v_lshrrev_b32_e32 v1, s89, v1
	v_mul_lo_u32 v1, v1, s72
	v_sub_u32_e32 v1, v120, v1
	;; [unrolled: 6-line block ×7, first 2 shown]
	v_mad_i64_i32 v[108:109], s[34:35], v1, s36, 0
	v_and_b32_e32 v1, 64, v214
	v_add_u32_e32 v1, 64, v1
	v_xor_b32_e32 v18, 32, v214
	v_cmp_lt_i32_e32 vcc, v18, v1
	s_cmp_lg_u64 s[2:3], 0
	v_lshlrev_b32_e32 v48, 1, v46
	v_cndmask_b32_e32 v18, v214, v18, vcc
	v_lshlrev_b32_e32 v125, 2, v18
	v_xor_b32_e32 v18, 16, v214
	v_cmp_lt_i32_e32 vcc, v18, v1
	s_cselect_b64 s[38:39], -1, 0
	v_lshl_add_u64 v[92:93], s[2:3], 0, v[48:49]
	v_cndmask_b32_e32 v1, v214, v18, vcc
	v_lshlrev_b32_e32 v126, 2, v1
	v_mov_b32_e32 v110, v90
	v_mov_b32_e32 v111, v90
	s_lshl_b32 s40, s42, 6
	v_mov_b32_e32 v113, 0
	v_mov_b32_e32 v45, 0xfeffffff
	;; [unrolled: 1-line block ×18, first 2 shown]
.LBB24_55:                              ;   Parent Loop BB24_14 Depth=1
                                        ; =>  This Inner Loop Header: Depth=2
	v_cndmask_b32_e64 v1, 0, 1, s[38:39]
	v_cmp_ne_u32_e64 s[36:37], 1, v1
	s_andn2_b64 vcc, exec, s[38:39]
	s_ashr_i32 s41, s40, 31
	s_cbranch_vccnz .LBB24_61
; %bb.56:                               ;   in Loop: Header=BB24_55 Depth=2
	s_and_saveexec_b64 s[34:35], s[0:1]
	s_xor_b64 s[34:35], exec, s[34:35]
	s_cbranch_execz .LBB24_58
; %bb.57:                               ;   in Loop: Header=BB24_55 Depth=2
	ds_write_b16 v142, v49 offset:17408
	ds_write_b16 v191, v49 offset:17408
	;; [unrolled: 1-line block ×4, first 2 shown]
.LBB24_58:                              ;   in Loop: Header=BB24_55 Depth=2
	s_or_saveexec_b64 s[34:35], s[34:35]
	v_mov_b32_e32 v1, 0
	v_mov_b32_e32 v18, 0
	;; [unrolled: 1-line block ×4, first 2 shown]
	s_xor_b64 exec, exec, s[34:35]
	s_cbranch_execz .LBB24_60
; %bb.59:                               ;   in Loop: Header=BB24_55 Depth=2
	v_lshl_add_u64 v[20:21], s[40:41], 1, v[92:93]
	v_lshl_add_u64 v[18:19], v[94:95], 1, v[20:21]
	global_load_ushort v1, v[18:19], off
	v_lshl_add_u64 v[18:19], v[96:97], 1, v[20:21]
	global_load_ushort v22, v[18:19], off
	;; [unrolled: 2-line block ×4, first 2 shown]
	s_waitcnt vmcnt(3)
	ds_write_b16 v142, v1 offset:17408
	s_waitcnt vmcnt(2)
	ds_write_b16 v191, v22 offset:17408
	;; [unrolled: 2-line block ×4, first 2 shown]
	v_lshl_add_u64 v[18:19], v[102:103], 1, v[20:21]
	global_load_ushort v1, v[18:19], off
	v_lshl_add_u64 v[18:19], v[104:105], 1, v[20:21]
	v_lshl_add_u64 v[22:23], v[106:107], 1, v[20:21]
	;; [unrolled: 1-line block ×3, first 2 shown]
	global_load_ushort v18, v[18:19], off
	s_nop 0
	global_load_ushort v20, v[20:21], off
	s_nop 0
	global_load_ushort v19, v[22:23], off
.LBB24_60:                              ;   in Loop: Header=BB24_55 Depth=2
	s_or_b64 exec, exec, s[34:35]
	s_waitcnt vmcnt(3)
	ds_write_b16 v194, v1 offset:17408
	s_waitcnt vmcnt(2)
	ds_write_b16 v195, v18 offset:17408
	;; [unrolled: 2-line block ×3, first 2 shown]
	ds_write_b16 v197, v20 offset:17408
.LBB24_61:                              ;   in Loop: Header=BB24_55 Depth=2
	s_mul_hi_i32 s35, s40, s86
	s_mul_i32 s34, s40, s86
	s_lshl_b64 s[34:35], s[34:35], 2
	s_add_u32 s34, s96, s34
	s_addc_u32 s35, s99, s35
	v_lshlrev_b32_e32 v48, 2, v52
	v_lshl_add_u64 v[20:21], v[56:57], 2, s[34:35]
	v_mov_b32_e32 v1, s5
	v_lshl_add_u64 v[20:21], v[20:21], 0, v[48:49]
	v_cndmask_b32_e64 v23, v1, v21, s[8:9]
	v_cndmask_b32_e64 v22, v215, v20, s[8:9]
	v_lshl_add_u64 v[20:21], v[58:59], 2, s[34:35]
	v_lshl_add_u64 v[18:19], v[54:55], 2, s[34:35]
	;; [unrolled: 1-line block ×4, first 2 shown]
	v_cndmask_b32_e64 v27, v1, v21, s[10:11]
	v_cndmask_b32_e64 v26, v215, v20, s[10:11]
	v_lshl_add_u64 v[20:21], v[60:61], 2, s[34:35]
	v_cndmask_b32_e64 v19, v1, v19, s[6:7]
	v_cndmask_b32_e64 v18, v215, v18, s[6:7]
	v_lshl_add_u64 v[20:21], v[20:21], 0, v[48:49]
	scratch_store_dwordx4 off, v[228:231], off
	v_cndmask_b32_e64 v29, v1, v21, s[12:13]
	v_cndmask_b32_e64 v28, v215, v20, s[12:13]
	flat_load_dwordx4 v[18:21], v[18:19]
	v_add_u32_e32 v1, v141, v165
	s_and_b64 vcc, exec, s[36:37]
	s_waitcnt vmcnt(0) lgkmcnt(0)
	ds_write_b128 v144, v[18:21]
	flat_load_dwordx4 v[18:21], v[22:23]
	s_waitcnt vmcnt(0) lgkmcnt(0)
	ds_write_b128 v199, v[18:21]
	flat_load_dwordx4 v[18:21], v[26:27]
	;; [unrolled: 3-line block ×3, first 2 shown]
	s_waitcnt vmcnt(0) lgkmcnt(0)
	ds_write_b128 v203, v[18:21]
	s_waitcnt lgkmcnt(0)
	s_barrier
	ds_read2_b64 v[18:21], v1 offset1:4
	s_waitcnt lgkmcnt(0)
	v_mfma_f32_16x16x16_f16 v[26:29], v[18:19], v[14:15], 0
	v_mfma_f32_16x16x16_f16 v[18:21], v[20:21], v[16:17], v[26:29]
	s_nop 6
	ds_read2_b64 v[26:29], v1 offset0:8 offset1:12
	s_waitcnt lgkmcnt(0)
	v_mfma_f32_16x16x16_f16 v[18:21], v[26:27], v[10:11], v[18:21]
	v_mfma_f32_16x16x16_f16 v[18:21], v[28:29], v[12:13], v[18:21]
	ds_read2_b64 v[26:29], v1 offset0:16 offset1:20
	s_waitcnt lgkmcnt(0)
	v_mfma_f32_16x16x16_f16 v[18:21], v[26:27], v[6:7], v[18:21]
	v_mfma_f32_16x16x16_f16 v[18:21], v[28:29], v[8:9], v[18:21]
	ds_read2_b64 v[26:29], v1 offset0:24 offset1:28
	v_add_u32_e32 v1, 0x2000, v1
	s_waitcnt lgkmcnt(0)
	v_mfma_f32_16x16x16_f16 v[18:21], v[26:27], v[2:3], v[18:21]
	v_mfma_f32_16x16x16_f16 v[20:23], v[28:29], v[4:5], v[18:21]
	ds_read2_b64 v[26:29], v1 offset0:64 offset1:68
	s_waitcnt lgkmcnt(0)
	v_mfma_f32_16x16x16_f16 v[216:219], v[26:27], v[14:15], 0
	v_mfma_f32_16x16x16_f16 v[26:29], v[28:29], v[16:17], v[216:219]
	s_nop 6
	ds_read2_b64 v[216:219], v1 offset0:72 offset1:76
	s_waitcnt lgkmcnt(0)
	v_mfma_f32_16x16x16_f16 v[26:29], v[216:217], v[10:11], v[26:29]
	v_mfma_f32_16x16x16_f16 v[26:29], v[218:219], v[12:13], v[26:29]
	ds_read2_b64 v[216:219], v1 offset0:80 offset1:84
	s_waitcnt lgkmcnt(0)
	v_mfma_f32_16x16x16_f16 v[26:29], v[216:217], v[6:7], v[26:29]
	v_mfma_f32_16x16x16_f16 v[26:29], v[218:219], v[8:9], v[26:29]
	ds_read2_b64 v[216:219], v1 offset0:88 offset1:92
	s_waitcnt lgkmcnt(0)
	s_barrier
	v_mfma_f32_16x16x16_f16 v[26:29], v[216:217], v[2:3], v[26:29]
	v_mfma_f32_16x16x16_f16 v[26:29], v[218:219], v[4:5], v[26:29]
	s_cbranch_vccnz .LBB24_63
; %bb.62:                               ;   in Loop: Header=BB24_55 Depth=2
	v_add_u32_e32 v1, 0x4400, v167
	ds_read2_b32 v[18:19], v1 offset1:1
	ds_read_b32 v1, v169 offset:17408
	v_mov_b32_e32 v91, v90
	s_waitcnt lgkmcnt(1)
	v_cvt_f32_f16_e32 v114, v18
	v_cvt_f32_f16_sdwa v115, v18 dst_sel:DWORD dst_unused:UNUSED_PAD src0_sel:WORD_1
	v_cvt_f32_f16_e32 v18, v19
	v_cvt_f32_f16_sdwa v19, v19 dst_sel:DWORD dst_unused:UNUSED_PAD src0_sel:WORD_1
	v_pk_fma_f32 v[20:21], v[110:111], v[114:115], v[20:21]
	v_pk_fma_f32 v[22:23], v[90:91], v[18:19], v[22:23]
	s_waitcnt lgkmcnt(0)
	v_cvt_f32_f16_sdwa v19, v1 dst_sel:DWORD dst_unused:UNUSED_PAD src0_sel:WORD_1
	v_cvt_f32_f16_e32 v18, v1
	ds_read_b32 v1, v171 offset:17408
	v_pk_fma_f32 v[26:27], v[110:111], v[18:19], v[26:27]
	s_waitcnt lgkmcnt(0)
	v_cvt_f32_f16_sdwa v115, v1 dst_sel:DWORD dst_unused:UNUSED_PAD src0_sel:WORD_1
	v_cvt_f32_f16_e32 v114, v1
	v_pk_fma_f32 v[28:29], v[90:91], v[114:115], v[28:29]
.LBB24_63:                              ;   in Loop: Header=BB24_55 Depth=2
	v_add_f32_e32 v1, 0x40051340, v20
	v_max_f32_e32 v18, v45, v45
	v_max_f32_e32 v1, v18, v1
	v_cndmask_b32_e64 v1, v45, v1, s[14:15]
	v_add_f32_e32 v18, 0x40051340, v21
	v_max_f32_e32 v19, v1, v1
	v_max_f32_e32 v18, v19, v18
	v_cndmask_b32_e64 v1, v1, v18, s[16:17]
	;; [unrolled: 4-line block ×8, first 2 shown]
	ds_bpermute_b32 v18, v125, v1
	v_max_f32_e32 v1, v1, v1
	s_mul_hi_i32 s35, s40, s74
	s_mul_i32 s34, s40, s74
	s_lshl_b64 s[34:35], s[34:35], 2
	s_waitcnt lgkmcnt(0)
	v_max_f32_e32 v18, v18, v18
	v_max_f32_e32 v1, v1, v18
	ds_bpermute_b32 v18, v126, v1
	s_add_u32 s34, s91, s34
	s_addc_u32 s35, s78, s35
	scratch_store_dwordx4 off, v[228:231], off
	s_add_i32 s42, s42, 1
	s_waitcnt lgkmcnt(0)
	v_max_f32_e32 v18, v18, v18
	v_max_f32_e32 v124, v1, v18
	v_sub_f32_e32 v1, v20, v124
	v_mul_f32_e32 v18, 0x3fb8aa3b, v1
	v_fma_f32 v19, v1, s97, -v18
	v_rndne_f32_e32 v20, v18
	v_fmac_f32_e32 v19, 0x32a5705f, v1
	v_sub_f32_e32 v18, v18, v20
	v_add_f32_e32 v18, v18, v19
	v_exp_f32_e32 v18, v18
	v_cvt_i32_f32_e32 v19, v20
	v_cmp_ngt_f32_e32 vcc, s94, v1
	s_add_i32 s40, s40, 64
	s_cmp_lt_i32 s42, s43
	v_ldexp_f32 v18, v18, v19
	v_cndmask_b32_e32 v18, 0, v18, vcc
	v_cmp_nlt_f32_e32 vcc, s73, v1
	s_nop 1
	v_cndmask_b32_e32 v1, v212, v18, vcc
	v_cndmask_b32_e64 v20, 0, v1, s[14:15]
	v_sub_f32_e32 v1, v21, v124
	v_mul_f32_e32 v18, 0x3fb8aa3b, v1
	v_fma_f32 v19, v1, s97, -v18
	v_rndne_f32_e32 v21, v18
	v_fmac_f32_e32 v19, 0x32a5705f, v1
	v_sub_f32_e32 v18, v18, v21
	v_add_f32_e32 v18, v18, v19
	v_exp_f32_e32 v18, v18
	v_cvt_i32_f32_e32 v19, v21
	v_cmp_ngt_f32_e32 vcc, s94, v1
	v_ldexp_f32 v18, v18, v19
	s_nop 0
	v_cndmask_b32_e32 v18, 0, v18, vcc
	v_cmp_nlt_f32_e32 vcc, s73, v1
	v_mov_b32_e32 v1, s93
	s_nop 0
	v_cndmask_b32_e32 v18, v212, v18, vcc
	v_add_f32_e32 v21, v18, v20
	v_cndmask_b32_e64 v19, v1, v18, s[16:17]
	v_sub_f32_e32 v18, v22, v124
	v_cndmask_b32_e64 v1, v20, v21, s[16:17]
	v_mul_f32_e32 v21, 0x3fb8aa3b, v18
	v_fma_f32 v22, v18, s97, -v21
	v_rndne_f32_e32 v24, v21
	v_fmac_f32_e32 v22, 0x32a5705f, v18
	v_sub_f32_e32 v21, v21, v24
	v_add_f32_e32 v21, v21, v22
	v_exp_f32_e32 v21, v21
	v_cvt_i32_f32_e32 v22, v24
	v_cmp_ngt_f32_e32 vcc, s94, v18
	v_ldexp_f32 v21, v21, v22
	s_nop 0
	v_cndmask_b32_e32 v21, 0, v21, vcc
	v_cmp_nlt_f32_e32 vcc, s73, v18
	v_mov_b32_e32 v18, s93
	s_nop 0
	v_cndmask_b32_e32 v21, v212, v21, vcc
	v_cndmask_b32_e64 v24, v18, v21, s[18:19]
	v_sub_f32_e32 v18, v23, v124
	v_add_f32_e32 v22, v1, v21
	v_mul_f32_e32 v21, 0x3fb8aa3b, v18
	v_cndmask_b32_e64 v1, v1, v22, s[18:19]
	v_fma_f32 v22, v18, s97, -v21
	v_rndne_f32_e32 v23, v21
	v_fmac_f32_e32 v22, 0x32a5705f, v18
	v_sub_f32_e32 v21, v21, v23
	v_add_f32_e32 v21, v21, v22
	v_exp_f32_e32 v21, v21
	v_cvt_i32_f32_e32 v22, v23
	v_cmp_ngt_f32_e32 vcc, s94, v18
	v_ldexp_f32 v21, v21, v22
	s_nop 0
	v_cndmask_b32_e32 v21, 0, v21, vcc
	v_cmp_nlt_f32_e32 vcc, s73, v18
	s_nop 1
	v_cndmask_b32_e32 v18, v212, v21, vcc
	v_mov_b32_e32 v21, s93
	v_add_f32_e32 v22, v1, v18
	v_cndmask_b32_e64 v41, v21, v18, s[20:21]
	v_sub_f32_e32 v18, v26, v124
	v_mul_f32_e32 v21, 0x3fb8aa3b, v18
	v_cndmask_b32_e64 v1, v1, v22, s[20:21]
	v_fma_f32 v22, v18, s97, -v21
	v_rndne_f32_e32 v23, v21
	v_fmac_f32_e32 v22, 0x32a5705f, v18
	v_sub_f32_e32 v21, v21, v23
	v_add_f32_e32 v21, v21, v22
	v_exp_f32_e32 v21, v21
	v_cvt_i32_f32_e32 v22, v23
	v_cmp_ngt_f32_e32 vcc, s94, v18
	v_ldexp_f32 v21, v21, v22
	s_nop 0
	v_cndmask_b32_e32 v21, 0, v21, vcc
	v_cmp_nlt_f32_e32 vcc, s73, v18
	v_mov_b32_e32 v18, s93
	s_nop 0
	v_cndmask_b32_e32 v21, v212, v21, vcc
	v_add_f32_e32 v22, v21, v1
	v_cndmask_b32_e64 v18, v18, v21, s[22:23]
	v_cndmask_b32_e64 v21, v1, v22, s[22:23]
	v_sub_f32_e32 v1, v27, v124
	v_mul_f32_e32 v22, 0x3fb8aa3b, v1
	v_fma_f32 v23, v1, s97, -v22
	v_rndne_f32_e32 v26, v22
	v_fmac_f32_e32 v23, 0x32a5705f, v1
	v_sub_f32_e32 v22, v22, v26
	v_add_f32_e32 v22, v22, v23
	v_exp_f32_e32 v22, v22
	v_cvt_i32_f32_e32 v23, v26
	v_cmp_ngt_f32_e32 vcc, s94, v1
	v_ldexp_f32 v22, v22, v23
	s_nop 0
	v_cndmask_b32_e32 v22, 0, v22, vcc
	v_cmp_nlt_f32_e32 vcc, s73, v1
	v_mov_b32_e32 v1, s93
	s_nop 0
	v_cndmask_b32_e32 v22, v212, v22, vcc
	v_add_f32_e32 v23, v22, v21
	v_cndmask_b32_e64 v1, v1, v22, s[24:25]
	v_sub_f32_e32 v22, v28, v124
	v_cndmask_b32_e64 v21, v21, v23, s[24:25]
	v_mul_f32_e32 v23, 0x3fb8aa3b, v22
	v_fma_f32 v26, v22, s97, -v23
	v_rndne_f32_e32 v27, v23
	v_fmac_f32_e32 v26, 0x32a5705f, v22
	v_sub_f32_e32 v23, v23, v27
	v_add_f32_e32 v23, v23, v26
	v_exp_f32_e32 v23, v23
	v_cvt_i32_f32_e32 v26, v27
	v_cmp_ngt_f32_e32 vcc, s94, v22
	v_ldexp_f32 v23, v23, v26
	s_nop 0
	v_cndmask_b32_e32 v23, 0, v23, vcc
	v_cmp_nlt_f32_e32 vcc, s73, v22
	v_mov_b32_e32 v22, s93
	s_nop 0
	v_cndmask_b32_e32 v23, v212, v23, vcc
	v_add_f32_e32 v26, v23, v21
	v_cndmask_b32_e64 v22, v22, v23, s[26:27]
	v_cndmask_b32_e64 v23, v21, v26, s[26:27]
	v_sub_f32_e32 v21, v29, v124
	v_mul_f32_e32 v26, 0x3fb8aa3b, v21
	v_fma_f32 v27, v21, s97, -v26
	v_rndne_f32_e32 v28, v26
	v_fmac_f32_e32 v27, 0x32a5705f, v21
	v_sub_f32_e32 v26, v26, v28
	v_add_f32_e32 v26, v26, v27
	v_exp_f32_e32 v26, v26
	v_cvt_i32_f32_e32 v27, v28
	v_cmp_ngt_f32_e32 vcc, s94, v21
	v_ldexp_f32 v26, v26, v27
	s_nop 0
	v_cndmask_b32_e32 v26, 0, v26, vcc
	v_cmp_nlt_f32_e32 vcc, s73, v21
	v_mov_b32_e32 v21, s93
	s_nop 0
	v_cndmask_b32_e32 v26, v212, v26, vcc
	v_add_f32_e32 v27, v26, v23
	v_cndmask_b32_e64 v91, v23, v27, s[28:29]
	v_sub_f32_e32 v23, v45, v124
	v_cndmask_b32_e64 v21, v21, v26, s[28:29]
	v_mul_f32_e32 v26, 0x3fb8aa3b, v23
	v_fma_f32 v27, v23, s97, -v26
	v_rndne_f32_e32 v28, v26
	v_fmac_f32_e32 v27, 0x32a5705f, v23
	v_sub_f32_e32 v26, v26, v28
	v_add_f32_e32 v26, v26, v27
	v_exp_f32_e32 v26, v26
	v_cvt_i32_f32_e32 v27, v28
	v_cmp_ngt_f32_e32 vcc, s94, v23
	v_ldexp_f32 v26, v26, v27
	s_nop 0
	v_cndmask_b32_e32 v26, 0, v26, vcc
	v_cmp_nlt_f32_e32 vcc, s73, v23
	s_nop 1
	v_cndmask_b32_e32 v26, v212, v26, vcc
	v_cmp_le_f32_e32 vcc, s95, v23
	s_nop 1
	v_cndmask_b32_e32 v23, 0, v26, vcc
	v_fmac_f32_e32 v91, v44, v23
	v_cvt_f16_f32_e32 v23, v23
	v_mul_u32_u24_e32 v26, 0x10001, v23
	v_pk_mul_f16 v45, v40, v26
	v_pk_mul_f16 v44, v37, v26
	v_pk_mul_f16 v40, v36, v26
	v_pk_mul_f16 v23, v25, v26
	v_pk_mul_f16 v37, v33, v26
	v_pk_mul_f16 v36, v32, v26
	v_pk_mul_f16 v33, v31, v26
	v_pk_mul_f16 v32, v30, v26
	v_pk_mul_f16 v35, v35, v26
	v_pk_mul_f16 v34, v34, v26
	v_pk_mul_f16 v39, v39, v26
	v_pk_mul_f16 v38, v38, v26
	v_pk_mul_f16 v43, v43, v26
	v_pk_mul_f16 v42, v42, v26
	v_pk_mul_f16 v128, v113, v26
	v_pk_mul_f16 v127, v112, v26
	v_lshl_add_u64 v[26:27], v[62:63], 2, s[34:35]
	v_lshl_add_u64 v[26:27], v[26:27], 0, v[48:49]
	v_mov_b32_e32 v25, s5
	v_cndmask_b32_e64 v29, v25, v27, s[6:7]
	v_cndmask_b32_e64 v28, v215, v26, s[6:7]
	flat_load_dwordx4 v[112:115], v[28:29]
	v_lshl_add_u64 v[26:27], v[64:65], 2, s[34:35]
	v_lshl_add_u64 v[26:27], v[26:27], 0, v[48:49]
	v_cndmask_b32_e64 v217, v25, v27, s[8:9]
	v_cndmask_b32_e64 v216, v215, v26, s[8:9]
	v_lshl_add_u64 v[26:27], v[66:67], 2, s[34:35]
	v_lshl_add_u64 v[26:27], v[26:27], 0, v[48:49]
	v_cndmask_b32_e64 v27, v25, v27, s[10:11]
	v_cndmask_b32_e64 v26, v215, v26, s[10:11]
	v_lshl_add_u64 v[30:31], v[68:69], 2, s[34:35]
	v_lshl_add_u64 v[30:31], v[30:31], 0, v[48:49]
	v_cndmask_b32_e64 v31, v25, v31, s[12:13]
	v_cndmask_b32_e64 v30, v215, v30, s[12:13]
	v_cvt_f32_f16_e32 v218, v32
	v_cvt_f32_f16_sdwa v219, v32 dst_sel:DWORD dst_unused:UNUSED_PAD src0_sel:WORD_1
	s_waitcnt vmcnt(0) lgkmcnt(0)
	ds_write_b128 v144, v[112:115]
	flat_load_dwordx4 v[112:115], v[216:217]
	v_cvt_f32_f16_e32 v216, v33
	v_cvt_f32_f16_sdwa v217, v33 dst_sel:DWORD dst_unused:UNUSED_PAD src0_sel:WORD_1
	s_waitcnt vmcnt(0) lgkmcnt(0)
	ds_write_b128 v199, v[112:115]
	flat_load_dwordx4 v[26:29], v[26:27]
	v_cvt_pk_f16_f32 v115, v24, v41
	v_cvt_pk_f16_f32 v114, v20, v19
	;; [unrolled: 1-line block ×4, first 2 shown]
	s_waitcnt vmcnt(0) lgkmcnt(0)
	ds_write_b128 v201, v[26:29]
	flat_load_dwordx4 v[26:29], v[30:31]
	s_waitcnt vmcnt(0) lgkmcnt(0)
	ds_write_b128 v203, v[26:29]
	s_waitcnt lgkmcnt(0)
	s_barrier
	ds_read_u16 v25, v145 offset:272
	ds_read_u16 v30, v145 offset:544
	v_cvt_f32_f16_e32 v28, v44
	v_cvt_f32_f16_sdwa v29, v44 dst_sel:DWORD dst_unused:UNUSED_PAD src0_sel:WORD_1
	ds_read_u16 v31, v146
	ds_read_u16 v44, v146 offset:32
	v_cvt_f32_f16_e32 v26, v45
	v_cvt_f32_f16_sdwa v27, v45 dst_sel:DWORD dst_unused:UNUSED_PAD src0_sel:WORD_1
	s_waitcnt lgkmcnt(1)
	v_perm_b32 v31, v31, v30, s4
	ds_read_u16 v30, v145
	ds_read_u16 v45, v145 offset:32
	s_waitcnt lgkmcnt(1)
	v_perm_b32 v30, v25, v30, s4
	s_nop 1
	v_mfma_f32_16x16x16_f16 v[24:27], v[30:31], v[114:115], v[26:29]
	s_nop 2
	ds_read_u16 v28, v145 offset:8704
	ds_read_u16 v30, v145 offset:8976
	;; [unrolled: 1-line block ×6, first 2 shown]
	v_cvt_f16_f32_e32 v19, v24
	v_cvt_f16_f32_e32 v20, v25
	;; [unrolled: 1-line block ×4, first 2 shown]
	s_waitcnt lgkmcnt(2)
	v_perm_b32 v29, v31, v29, s4
	v_perm_b32 v28, v30, v28, s4
	v_cvt_f32_f16_e32 v24, v19
	v_cvt_f32_f16_e32 v25, v20
	v_cvt_f32_f16_e32 v26, v26
	v_cvt_f32_f16_e32 v27, v27
	s_nop 1
	v_mfma_f32_16x16x16_f16 v[18:21], v[28:29], v[112:113], v[24:27]
	s_nop 2
	v_cvt_f32_f16_e32 v26, v23
	v_cvt_f32_f16_sdwa v27, v23 dst_sel:DWORD dst_unused:UNUSED_PAD src0_sel:WORD_1
	s_waitcnt lgkmcnt(0)
	v_perm_b32 v23, v44, v22, s4
	v_perm_b32 v22, v1, v45, s4
	v_cvt_f32_f16_e32 v24, v40
	v_cvt_f32_f16_sdwa v25, v40 dst_sel:DWORD dst_unused:UNUSED_PAD src0_sel:WORD_1
	s_nop 1
	v_mfma_f32_16x16x16_f16 v[22:25], v[22:23], v[114:115], v[24:27]
	s_nop 2
	ds_read_u16 v26, v145 offset:8736
	ds_read_u16 v28, v145 offset:9008
	;; [unrolled: 1-line block ×4, first 2 shown]
	s_nop 0
	v_cvt_f16_f32_e32 v1, v22
	v_cvt_f16_f32_e32 v23, v23
	v_cvt_f16_f32_e32 v24, v24
	v_cvt_f16_f32_e32 v25, v25
	v_cvt_f32_f16_e32 v22, v1
	ds_read_u16 v1, v145 offset:64
	ds_read_u16 v30, v145 offset:336
	;; [unrolled: 1-line block ×4, first 2 shown]
	s_waitcnt lgkmcnt(4)
	v_perm_b32 v27, v29, v27, s4
	v_perm_b32 v26, v28, v26, s4
	v_cvt_f32_f16_e32 v23, v23
	v_cvt_f32_f16_e32 v24, v24
	;; [unrolled: 1-line block ×3, first 2 shown]
	s_waitcnt lgkmcnt(0)
	v_perm_b32 v31, v40, v31, s4
	v_perm_b32 v30, v30, v1, s4
	v_mfma_f32_16x16x16_f16 v[22:25], v[26:27], v[112:113], v[22:25]
	v_cvt_f32_f16_e32 v26, v37
	v_cvt_f32_f16_sdwa v27, v37 dst_sel:DWORD dst_unused:UNUSED_PAD src0_sel:WORD_1
	v_cvt_f32_f16_e32 v28, v36
	v_cvt_f32_f16_sdwa v29, v36 dst_sel:DWORD dst_unused:UNUSED_PAD src0_sel:WORD_1
	s_nop 3
	v_cvt_pk_f16_f32 v25, v24, v25
	v_mfma_f32_16x16x16_f16 v[26:29], v[30:31], v[114:115], v[26:29]
	ds_read_u16 v30, v145 offset:8768
	ds_read_u16 v36, v145 offset:9040
	;; [unrolled: 1-line block ×4, first 2 shown]
	s_nop 3
	v_cvt_f16_f32_e32 v1, v26
	v_cvt_f16_f32_e32 v27, v27
	;; [unrolled: 1-line block ×4, first 2 shown]
	s_waitcnt lgkmcnt(0)
	v_perm_b32 v31, v37, v31, s4
	v_perm_b32 v30, v36, v30, s4
	v_cvt_f32_f16_e32 v26, v1
	v_cvt_f32_f16_e32 v27, v27
	;; [unrolled: 1-line block ×4, first 2 shown]
	s_nop 1
	v_mfma_f32_16x16x16_f16 v[26:29], v[30:31], v[112:113], v[26:29]
	ds_read_u16 v1, v145 offset:96
	ds_read_u16 v30, v145 offset:368
	;; [unrolled: 1-line block ×4, first 2 shown]
	s_waitcnt lgkmcnt(2)
	v_perm_b32 v30, v30, v1, s4
	s_waitcnt lgkmcnt(0)
	v_perm_b32 v31, v36, v31, s4
	ds_read_u16 v36, v145 offset:8800
	ds_read_u16 v40, v145 offset:9072
	;; [unrolled: 1-line block ×4, first 2 shown]
	v_mfma_f32_16x16x16_f16 v[30:33], v[30:31], v[114:115], v[216:219]
	s_waitcnt lgkmcnt(0)
	v_perm_b32 v37, v41, v37, s4
	v_perm_b32 v36, v40, v36, s4
	v_cvt_f32_f16_e32 v216, v35
	s_nop 3
	v_cvt_f16_f32_e32 v1, v30
	v_cvt_f16_f32_e32 v31, v31
	;; [unrolled: 1-line block ×4, first 2 shown]
	v_cvt_f32_f16_e32 v30, v1
	v_cvt_f32_f16_e32 v31, v31
	;; [unrolled: 1-line block ×4, first 2 shown]
	v_cvt_f32_f16_sdwa v217, v35 dst_sel:DWORD dst_unused:UNUSED_PAD src0_sel:WORD_1
	v_cvt_f32_f16_e32 v218, v34
	v_mfma_f32_16x16x16_f16 v[30:33], v[36:37], v[112:113], v[30:33]
	ds_read_u16 v1, v145 offset:128
	ds_read_u16 v36, v145 offset:400
	;; [unrolled: 1-line block ×4, first 2 shown]
	v_cvt_f32_f16_sdwa v219, v34 dst_sel:DWORD dst_unused:UNUSED_PAD src0_sel:WORD_1
	s_waitcnt lgkmcnt(2)
	v_perm_b32 v34, v36, v1, s4
	s_nop 0
	v_cvt_pk_f16_f32 v31, v30, v31
	s_waitcnt lgkmcnt(0)
	v_perm_b32 v35, v40, v37, s4
	ds_read_u16 v40, v145 offset:8832
	ds_read_u16 v44, v145 offset:9104
	;; [unrolled: 1-line block ×4, first 2 shown]
	v_mfma_f32_16x16x16_f16 v[34:37], v[34:35], v[114:115], v[216:219]
	s_waitcnt lgkmcnt(0)
	v_perm_b32 v41, v45, v41, s4
	v_perm_b32 v40, v44, v40, s4
	v_cvt_f32_f16_e32 v216, v39
	s_nop 3
	v_cvt_f16_f32_e32 v1, v34
	v_cvt_f16_f32_e32 v35, v35
	;; [unrolled: 1-line block ×4, first 2 shown]
	v_cvt_f32_f16_e32 v34, v1
	v_cvt_f32_f16_e32 v35, v35
	;; [unrolled: 1-line block ×4, first 2 shown]
	v_cvt_f32_f16_sdwa v217, v39 dst_sel:DWORD dst_unused:UNUSED_PAD src0_sel:WORD_1
	v_cvt_f32_f16_e32 v218, v38
	v_mfma_f32_16x16x16_f16 v[34:37], v[40:41], v[112:113], v[34:37]
	ds_read_u16 v1, v145 offset:160
	ds_read_u16 v40, v145 offset:432
	;; [unrolled: 1-line block ×4, first 2 shown]
	v_cvt_f32_f16_sdwa v219, v38 dst_sel:DWORD dst_unused:UNUSED_PAD src0_sel:WORD_1
	v_cvt_pk_f16_f32 v30, v32, v33
	s_waitcnt lgkmcnt(2)
	v_perm_b32 v38, v40, v1, s4
	v_cvt_pk_f16_f32 v35, v34, v35
	s_waitcnt lgkmcnt(0)
	v_perm_b32 v39, v44, v41, s4
	ds_read_u16 v44, v145 offset:8864
	ds_read_u16 v48, v145 offset:9136
	;; [unrolled: 1-line block ×4, first 2 shown]
	v_mfma_f32_16x16x16_f16 v[38:41], v[38:39], v[114:115], v[216:219]
	s_waitcnt lgkmcnt(0)
	v_perm_b32 v45, v129, v45, s4
	v_perm_b32 v44, v48, v44, s4
	v_cvt_f32_f16_e32 v216, v43
	s_nop 3
	v_cvt_f16_f32_e32 v1, v38
	v_cvt_f16_f32_e32 v39, v39
	;; [unrolled: 1-line block ×4, first 2 shown]
	v_cvt_f32_f16_e32 v38, v1
	v_cvt_f32_f16_e32 v39, v39
	;; [unrolled: 1-line block ×4, first 2 shown]
	v_cvt_f32_f16_sdwa v217, v43 dst_sel:DWORD dst_unused:UNUSED_PAD src0_sel:WORD_1
	v_cvt_f32_f16_e32 v218, v42
	v_mfma_f32_16x16x16_f16 v[38:41], v[44:45], v[112:113], v[38:41]
	ds_read_u16 v1, v145 offset:192
	ds_read_u16 v44, v145 offset:464
	;; [unrolled: 1-line block ×4, first 2 shown]
	v_cvt_f32_f16_sdwa v219, v42 dst_sel:DWORD dst_unused:UNUSED_PAD src0_sel:WORD_1
	v_cvt_pk_f16_f32 v34, v36, v37
	s_waitcnt lgkmcnt(2)
	v_perm_b32 v42, v44, v1, s4
	v_cvt_pk_f16_f32 v39, v38, v39
	s_waitcnt lgkmcnt(0)
	v_perm_b32 v43, v48, v45, s4
	v_cvt_pk_f16_f32 v38, v40, v41
	v_cvt_pk_f16_f32 v33, v26, v27
	v_mfma_f32_16x16x16_f16 v[42:45], v[42:43], v[114:115], v[216:219]
	ds_read_u16 v48, v145 offset:8896
	ds_read_u16 v129, v145 offset:9168
	s_nop 0
	ds_read_u16 v216, v145 offset:9440
	ds_read_u16 v217, v146 offset:8896
	v_cvt_f32_f16_e32 v218, v127
	v_cvt_f32_f16_sdwa v219, v127 dst_sel:DWORD dst_unused:UNUSED_PAD src0_sel:WORD_1
	s_nop 0
	v_cvt_f16_f32_e32 v1, v42
	v_cvt_f16_f32_e32 v43, v43
	;; [unrolled: 1-line block ×4, first 2 shown]
	v_cvt_f32_f16_e32 v42, v1
	s_waitcnt lgkmcnt(0)
	v_perm_b32 v217, v217, v216, s4
	v_perm_b32 v216, v129, v48, s4
	ds_read_u16 v1, v145 offset:224
	ds_read_u16 v48, v145 offset:496
	;; [unrolled: 1-line block ×4, first 2 shown]
	v_cvt_f32_f16_e32 v43, v43
	v_cvt_f32_f16_e32 v44, v44
	;; [unrolled: 1-line block ×3, first 2 shown]
	v_cvt_pk_f16_f32 v32, v28, v29
	s_waitcnt lgkmcnt(0)
	v_perm_b32 v129, v220, v129, s4
	v_mfma_f32_16x16x16_f16 v[42:45], v[216:217], v[112:113], v[42:45]
	v_cvt_f32_f16_e32 v216, v128
	v_cvt_f32_f16_sdwa v217, v128 dst_sel:DWORD dst_unused:UNUSED_PAD src0_sel:WORD_1
	v_perm_b32 v128, v48, v1, s4
	v_cvt_pk_f16_f32 v36, v22, v23
	s_nop 3
	v_cvt_pk_f16_f32 v43, v42, v43
	v_mfma_f32_16x16x16_f16 v[216:219], v[128:129], v[114:115], v[216:219]
	ds_read_u16 v127, v145 offset:8928
	ds_read_u16 v128, v145 offset:9200
	;; [unrolled: 1-line block ×4, first 2 shown]
	v_cvt_pk_f16_f32 v42, v44, v45
	v_cvt_pk_f16_f32 v40, v18, v19
	s_nop 1
	v_cvt_f16_f32_e32 v114, v218
	v_cvt_f16_f32_e32 v115, v219
	;; [unrolled: 1-line block ×4, first 2 shown]
	v_cvt_f32_f16_e32 v218, v114
	v_cvt_f32_f16_e32 v219, v115
	s_waitcnt lgkmcnt(0)
	v_perm_b32 v115, v220, v129, s4
	v_perm_b32 v114, v128, v127, s4
	v_cvt_f32_f16_e32 v216, v1
	v_cvt_f32_f16_e32 v217, v48
	v_cvt_pk_f16_f32 v37, v20, v21
	s_nop 0
	v_mfma_f32_16x16x16_f16 v[112:115], v[114:115], v[112:113], v[216:219]
	s_barrier
	s_nop 6
	v_cvt_pk_f16_f32 v113, v112, v113
	v_cvt_pk_f16_f32 v112, v114, v115
	s_cbranch_scc0 .LBB24_67
; %bb.64:                               ;   in Loop: Header=BB24_55 Depth=2
	v_mov_b32_e32 v44, v91
	v_mov_b32_e32 v45, v124
	s_branch .LBB24_55
.LBB24_65:                              ;   in Loop: Header=BB24_14 Depth=1
	s_cbranch_execz .LBB24_13
	s_branch .LBB24_170
.LBB24_66:                              ;   in Loop: Header=BB24_14 Depth=1
	v_mov_b32_e32 v124, 0xfeffffff
	v_mov_b32_e32 v91, 0
	;; [unrolled: 1-line block ×18, first 2 shown]
.LBB24_67:                              ;   in Loop: Header=BB24_14 Depth=1
	s_lshl_b32 s44, s42, 6
	v_readlane_b32 s34, v240, 4
	s_sub_i32 s80, s34, s44
	s_cmp_lg_u64 s[2:3], 0
	s_cselect_b64 s[46:47], -1, 0
	s_ashr_i32 s45, s44, 31
	s_cmp_eq_u64 s[2:3], 0
	v_readlane_b32 s35, v240, 5
	s_cbranch_scc1 .LBB24_77
; %bb.68:                               ;   in Loop: Header=BB24_14 Depth=1
	s_lshl_b64 s[34:35], s[44:45], 1
	s_add_u32 s36, s2, s34
	s_addc_u32 s37, s3, s35
	v_cmp_le_i32_e32 vcc, s80, v46
	s_and_saveexec_b64 s[34:35], vcc
	s_xor_b64 s[34:35], exec, s[34:35]
	s_cbranch_execz .LBB24_70
; %bb.69:                               ;   in Loop: Header=BB24_14 Depth=1
	ds_write_b16 v142, v49 offset:17408
	ds_write_b16 v191, v49 offset:17408
                                        ; implicit-def: $vgpr116
                                        ; implicit-def: $vgpr118
                                        ; implicit-def: $vgpr120
                                        ; implicit-def: $vgpr122
.LBB24_70:                              ;   in Loop: Header=BB24_14 Depth=1
	s_or_saveexec_b64 s[34:35], s[34:35]
	v_lshlrev_b32_e32 v48, 1, v46
	v_lshl_add_u64 v[18:19], s[36:37], 0, v[48:49]
	v_mov_b32_e32 v1, 0
	v_mov_b32_e32 v20, 0
	s_xor_b64 exec, exec, s[34:35]
	s_cbranch_execz .LBB24_72
; %bb.71:                               ;   in Loop: Header=BB24_14 Depth=1
	v_mul_hi_u32 v1, s88, v116
	v_add_u32_e32 v1, v116, v1
	v_lshrrev_b32_e32 v1, s89, v1
	v_mul_lo_u32 v1, v1, s72
	v_readlane_b32 s36, v239, 13
	v_sub_u32_e32 v1, v116, v1
	v_readlane_b32 s37, v239, 14
	s_mov_b32 s38, s36
	v_mad_i64_i32 v[20:21], s[36:37], v1, s38, 0
	v_lshl_add_u64 v[20:21], v[20:21], 1, v[18:19]
	global_load_ushort v1, v[20:21], off
	v_mul_hi_u32 v20, s88, v118
	v_add_u32_e32 v20, v118, v20
	v_lshrrev_b32_e32 v20, s89, v20
	v_mul_lo_u32 v20, v20, s72
	v_sub_u32_e32 v20, v118, v20
	v_mad_i64_i32 v[20:21], s[36:37], v20, s38, 0
	v_lshl_add_u64 v[20:21], v[20:21], 1, v[18:19]
	global_load_ushort v20, v[20:21], off
	s_waitcnt vmcnt(1)
	ds_write_b16 v142, v1 offset:17408
	s_waitcnt vmcnt(0)
	ds_write_b16 v191, v20 offset:17408
	v_mul_hi_u32 v1, s88, v120
	v_add_u32_e32 v1, v120, v1
	v_lshrrev_b32_e32 v1, s89, v1
	v_mul_lo_u32 v1, v1, s72
	v_sub_u32_e32 v1, v120, v1
	v_mad_i64_i32 v[20:21], s[36:37], v1, s38, 0
	v_lshl_add_u64 v[20:21], v[20:21], 1, v[18:19]
	global_load_ushort v1, v[20:21], off
	v_mul_hi_u32 v20, s88, v122
	v_add_u32_e32 v20, v122, v20
	v_lshrrev_b32_e32 v20, s89, v20
	v_mul_lo_u32 v20, v20, s72
	v_sub_u32_e32 v20, v122, v20
	v_mad_i64_i32 v[20:21], s[36:37], v20, s38, 0
	v_lshl_add_u64 v[20:21], v[20:21], 1, v[18:19]
	global_load_ushort v20, v[20:21], off
.LBB24_72:                              ;   in Loop: Header=BB24_14 Depth=1
	s_or_b64 exec, exec, s[34:35]
	s_waitcnt vmcnt(1)
	ds_write_b16 v192, v1 offset:17408
	s_waitcnt vmcnt(0)
	ds_write_b16 v193, v20 offset:17408
	s_and_saveexec_b64 s[34:35], vcc
	s_xor_b64 s[34:35], exec, s[34:35]
	s_cbranch_execz .LBB24_74
; %bb.73:                               ;   in Loop: Header=BB24_14 Depth=1
	ds_write_b16 v194, v49 offset:17408
	ds_write_b16 v195, v49 offset:17408
                                        ; implicit-def: $vgpr117
                                        ; implicit-def: $vgpr18_vgpr19
                                        ; implicit-def: $vgpr119
                                        ; implicit-def: $vgpr121
                                        ; implicit-def: $vgpr123
.LBB24_74:                              ;   in Loop: Header=BB24_14 Depth=1
	s_or_saveexec_b64 s[34:35], s[34:35]
	v_mov_b32_e32 v1, 0
	v_mov_b32_e32 v20, 0
	s_xor_b64 exec, exec, s[34:35]
	s_cbranch_execz .LBB24_76
; %bb.75:                               ;   in Loop: Header=BB24_14 Depth=1
	v_mul_hi_u32 v1, s88, v117
	v_add_u32_e32 v1, v117, v1
	v_lshrrev_b32_e32 v1, s89, v1
	v_mul_lo_u32 v1, v1, s72
	v_readlane_b32 s36, v239, 13
	v_sub_u32_e32 v1, v117, v1
	v_readlane_b32 s37, v239, 14
	s_mov_b32 s38, s36
	v_mad_i64_i32 v[20:21], s[36:37], v1, s38, 0
	v_lshl_add_u64 v[20:21], v[20:21], 1, v[18:19]
	global_load_ushort v1, v[20:21], off
	v_mul_hi_u32 v20, s88, v119
	v_add_u32_e32 v20, v119, v20
	v_lshrrev_b32_e32 v20, s89, v20
	v_mul_lo_u32 v20, v20, s72
	v_sub_u32_e32 v20, v119, v20
	v_mad_i64_i32 v[20:21], s[36:37], v20, s38, 0
	v_lshl_add_u64 v[20:21], v[20:21], 1, v[18:19]
	global_load_ushort v20, v[20:21], off
	s_waitcnt vmcnt(1)
	ds_write_b16 v194, v1 offset:17408
	s_waitcnt vmcnt(0)
	ds_write_b16 v195, v20 offset:17408
	v_mul_hi_u32 v1, s88, v121
	v_add_u32_e32 v1, v121, v1
	v_lshrrev_b32_e32 v1, s89, v1
	v_mul_lo_u32 v1, v1, s72
	v_sub_u32_e32 v1, v121, v1
	v_mad_i64_i32 v[20:21], s[36:37], v1, s38, 0
	v_lshl_add_u64 v[20:21], v[20:21], 1, v[18:19]
	global_load_ushort v1, v[20:21], off
	v_mul_hi_u32 v20, s88, v123
	v_add_u32_e32 v20, v123, v20
	v_lshrrev_b32_e32 v20, s89, v20
	v_mul_lo_u32 v20, v20, s72
	v_sub_u32_e32 v20, v123, v20
	v_mad_i64_i32 v[20:21], s[36:37], v20, s38, 0
	v_lshl_add_u64 v[18:19], v[20:21], 1, v[18:19]
	global_load_ushort v20, v[18:19], off
.LBB24_76:                              ;   in Loop: Header=BB24_14 Depth=1
	s_or_b64 exec, exec, s[34:35]
	s_waitcnt vmcnt(1)
	ds_write_b16 v196, v1 offset:17408
	s_waitcnt vmcnt(0)
	ds_write_b16 v197, v20 offset:17408
.LBB24_77:                              ;   in Loop: Header=BB24_14 Depth=1
	s_mul_hi_i32 s35, s44, s86
	s_mul_i32 s34, s44, s86
	s_lshl_b64 s[34:35], s[34:35], 2
	s_add_u32 s34, s96, s34
	s_addc_u32 s35, s99, s35
	v_lshl_add_u64 v[18:19], v[54:55], 2, s[34:35]
	v_lshlrev_b32_e32 v48, 2, v52
	v_lshl_add_u64 v[18:19], v[18:19], 0, v[48:49]
	v_mov_b32_e32 v1, s5
	v_cmp_gt_i32_e64 s[42:43], s80, v143
	scratch_store_dwordx4 off, v[228:231], off
	v_lshl_add_u64 v[22:23], v[56:57], 2, s[34:35]
	v_cndmask_b32_e64 v19, v1, v19, s[42:43]
	v_cndmask_b32_e64 v18, v215, v18, s[42:43]
	flat_load_dwordx4 v[18:21], v[18:19]
	v_lshl_add_u64 v[22:23], v[22:23], 0, v[48:49]
	v_cmp_gt_i32_e64 s[40:41], s80, v198
	v_cmp_gt_i32_e64 s[36:37], s80, v200
	;; [unrolled: 1-line block ×3, first 2 shown]
	v_cndmask_b32_e64 v23, v1, v23, s[40:41]
	v_cndmask_b32_e64 v22, v215, v22, s[40:41]
	s_andn2_b64 vcc, exec, s[46:47]
	s_mov_b64 s[56:57], s[2:3]
	s_mov_b64 s[2:3], s[48:49]
	s_waitcnt vmcnt(0) lgkmcnt(0)
	ds_write_b128 v144, v[18:21]
	flat_load_dwordx4 v[18:21], v[22:23]
	v_lshl_add_u64 v[22:23], v[58:59], 2, s[34:35]
	v_lshl_add_u64 v[22:23], v[22:23], 0, v[48:49]
	v_cndmask_b32_e64 v23, v1, v23, s[36:37]
	v_cndmask_b32_e64 v22, v215, v22, s[36:37]
	s_waitcnt vmcnt(0) lgkmcnt(0)
	ds_write_b128 v199, v[18:21]
	flat_load_dwordx4 v[18:21], v[22:23]
	v_lshl_add_u64 v[22:23], v[60:61], 2, s[34:35]
	v_lshl_add_u64 v[22:23], v[22:23], 0, v[48:49]
	v_cndmask_b32_e64 v23, v1, v23, s[38:39]
	v_cndmask_b32_e64 v22, v215, v22, s[38:39]
	v_add_u32_e32 v1, v141, v165
	s_waitcnt vmcnt(0) lgkmcnt(0)
	ds_write_b128 v201, v[18:21]
	flat_load_dwordx4 v[18:21], v[22:23]
	v_add_u32_e32 v22, 0x2000, v1
	s_waitcnt vmcnt(0) lgkmcnt(0)
	ds_write_b128 v203, v[18:21]
	s_waitcnt lgkmcnt(0)
	s_barrier
	ds_read2_b64 v[18:21], v1 offset1:4
	ds_read2_b64 v[92:95], v22 offset0:64 offset1:68
	s_waitcnt lgkmcnt(1)
	v_mfma_f32_16x16x16_f16 v[26:29], v[18:19], v[14:15], 0
	s_waitcnt lgkmcnt(0)
	v_mfma_f32_16x16x16_f16 v[96:99], v[92:93], v[14:15], 0
	v_mfma_f32_16x16x16_f16 v[18:21], v[20:21], v[16:17], v[26:29]
	;; [unrolled: 1-line block ×3, first 2 shown]
	s_nop 3
	ds_read2_b64 v[26:29], v1 offset0:8 offset1:12
	ds_read2_b64 v[92:95], v22 offset0:72 offset1:76
	s_waitcnt lgkmcnt(1)
	v_mfma_f32_16x16x16_f16 v[18:21], v[26:27], v[10:11], v[18:21]
	s_waitcnt lgkmcnt(0)
	v_mfma_f32_16x16x16_f16 v[14:17], v[92:93], v[10:11], v[14:17]
	v_mfma_f32_16x16x16_f16 v[18:21], v[28:29], v[12:13], v[18:21]
	ds_read2_b64 v[26:29], v22 offset0:80 offset1:84
	v_mfma_f32_16x16x16_f16 v[10:13], v[94:95], v[12:13], v[14:17]
	s_nop 4
	ds_read2_b64 v[14:17], v1 offset0:16 offset1:20
	s_waitcnt lgkmcnt(0)
	v_mfma_f32_16x16x16_f16 v[18:21], v[14:15], v[6:7], v[18:21]
	v_mfma_f32_16x16x16_f16 v[10:13], v[26:27], v[6:7], v[10:13]
	;; [unrolled: 1-line block ×4, first 2 shown]
	s_nop 4
	ds_read2_b64 v[18:21], v22 offset0:88 offset1:92
	ds_read2_b64 v[10:13], v1 offset0:24 offset1:28
	s_waitcnt lgkmcnt(0)
	v_mfma_f32_16x16x16_f16 v[14:17], v[10:11], v[2:3], v[14:17]
	s_barrier
	v_mfma_f32_16x16x16_f16 v[26:29], v[18:19], v[2:3], v[6:9]
	v_mfma_f32_16x16x16_f16 v[6:9], v[12:13], v[4:5], v[14:17]
	;; [unrolled: 1-line block ×3, first 2 shown]
	s_cbranch_vccnz .LBB24_79
; %bb.78:                               ;   in Loop: Header=BB24_14 Depth=1
	v_add_u32_e32 v1, 0x4400, v167
	ds_read2_b32 v[10:11], v1 offset1:1
	ds_read_b32 v1, v169 offset:17408
	s_waitcnt lgkmcnt(1)
	v_cvt_f32_f16_e32 v12, v10
	v_cvt_f32_f16_sdwa v13, v10 dst_sel:DWORD dst_unused:UNUSED_PAD src0_sel:WORD_1
	v_cvt_f32_f16_e32 v10, v11
	v_cvt_f32_f16_sdwa v11, v11 dst_sel:DWORD dst_unused:UNUSED_PAD src0_sel:WORD_1
	v_pk_fma_f32 v[6:7], v[90:91], v[12:13], v[6:7] op_sel_hi:[0,1,1]
	v_pk_fma_f32 v[8:9], v[90:91], v[10:11], v[8:9] op_sel_hi:[0,1,1]
	s_waitcnt lgkmcnt(0)
	v_cvt_f32_f16_sdwa v11, v1 dst_sel:DWORD dst_unused:UNUSED_PAD src0_sel:WORD_1
	v_cvt_f32_f16_e32 v10, v1
	ds_read_b32 v1, v171 offset:17408
	v_pk_fma_f32 v[2:3], v[90:91], v[10:11], v[2:3] op_sel_hi:[0,1,1]
	s_waitcnt lgkmcnt(0)
	v_cvt_f32_f16_sdwa v13, v1 dst_sel:DWORD dst_unused:UNUSED_PAD src0_sel:WORD_1
	v_cvt_f32_f16_e32 v12, v1
	v_pk_fma_f32 v[4:5], v[90:91], v[12:13], v[4:5] op_sel_hi:[0,1,1]
.LBB24_79:                              ;   in Loop: Header=BB24_14 Depth=1
	s_mul_hi_i32 s35, s44, s74
	s_mul_i32 s34, s44, s74
	s_lshl_b64 s[34:35], s[34:35], 2
	s_add_u32 s34, s91, s34
	s_addc_u32 s35, s78, s35
	v_lshl_add_u64 v[10:11], v[62:63], 2, s[34:35]
	v_lshl_add_u64 v[10:11], v[10:11], 0, v[48:49]
	v_mov_b32_e32 v24, s5
	v_cndmask_b32_e64 v11, v24, v11, s[42:43]
	v_cndmask_b32_e64 v10, v215, v10, s[42:43]
	scratch_store_dwordx4 off, v[228:231], off
	flat_load_dwordx4 v[10:13], v[10:11]
	v_lshl_add_u64 v[14:15], v[64:65], 2, s[34:35]
	v_lshl_add_u64 v[14:15], v[14:15], 0, v[48:49]
	v_cndmask_b32_e64 v15, v24, v15, s[40:41]
	v_cndmask_b32_e64 v14, v215, v14, s[40:41]
	v_add_f32_e32 v20, 0x40051340, v6
	v_max_f32_e32 v21, v124, v124
	v_and_b32_e32 v28, 64, v214
	v_xor_b32_e32 v29, 32, v214
	v_max_f32_e32 v20, v21, v20
	v_add_u32_e32 v21, 64, v28
	v_xor_b32_e32 v92, 16, v214
	v_cmp_gt_u32_e64 s[52:53], s80, v164
	v_cmp_lt_i32_e32 vcc, v29, v21
	v_add_f32_e32 v22, 0x40051340, v7
	v_cndmask_b32_e64 v93, v124, v20, s[52:53]
	v_cndmask_b32_e32 v20, v214, v29, vcc
	v_cmp_lt_i32_e32 vcc, v92, v21
	v_cmp_gt_u32_e64 s[46:47], s80, v204
	v_add_f32_e32 v23, 0x40051340, v8
	v_cndmask_b32_e32 v21, v214, v92, vcc
	v_max_f32_e32 v92, v93, v93
	v_max_f32_e32 v22, v92, v22
	v_cndmask_b32_e64 v22, v93, v22, s[46:47]
	v_max_f32_e32 v92, v22, v22
	v_max_f32_e32 v23, v92, v23
	v_cmp_gt_u32_e64 s[48:49], s80, v205
	v_add_f32_e32 v26, 0x40051340, v9
	v_cmp_gt_u32_e64 s[50:51], s80, v206
	v_cndmask_b32_e64 v22, v22, v23, s[48:49]
	v_max_f32_e32 v23, v22, v22
	v_max_f32_e32 v23, v23, v26
	v_cndmask_b32_e64 v22, v22, v23, s[50:51]
	v_add_f32_e32 v27, 0x40051340, v2
	v_max_f32_e32 v23, v22, v22
	v_max_f32_e32 v23, v23, v27
	v_cmp_gt_u32_e64 s[40:41], s80, v168
	v_add_f32_e32 v41, 0x40051340, v3
	v_cmp_gt_u32_e64 s[42:43], s80, v207
	v_cndmask_b32_e64 v22, v22, v23, s[40:41]
	v_max_f32_e32 v23, v22, v22
	v_max_f32_e32 v23, v23, v41
	v_cndmask_b32_e64 v22, v22, v23, s[42:43]
	v_add_f32_e32 v44, 0x40051340, v4
	v_max_f32_e32 v23, v22, v22
	v_max_f32_e32 v23, v23, v44
	v_cmp_gt_u32_e64 s[44:45], s80, v170
	v_add_f32_e32 v45, 0x40051340, v5
	v_cmp_gt_u32_e32 vcc, s80, v208
	v_cndmask_b32_e64 v22, v22, v23, s[44:45]
	v_max_f32_e32 v23, v22, v22
	v_max_f32_e32 v23, v23, v45
	v_lshlrev_b32_e32 v29, 2, v20
	v_cndmask_b32_e32 v26, v22, v23, vcc
	ds_bpermute_b32 v27, v29, v26
	v_max_f32_e32 v26, v26, v26
	v_lshlrev_b32_e32 v28, 2, v21
	v_lshl_add_u64 v[20:21], v[66:67], 2, s[34:35]
	v_lshl_add_u64 v[22:23], v[68:69], 2, s[34:35]
	s_waitcnt lgkmcnt(0)
	v_max_f32_e32 v27, v27, v27
	v_max_f32_e32 v26, v26, v27
	ds_bpermute_b32 v27, v28, v26
	v_lshl_add_u64 v[20:21], v[20:21], 0, v[48:49]
	v_lshl_add_u64 v[22:23], v[22:23], 0, v[48:49]
	v_cndmask_b32_e64 v21, v24, v21, s[36:37]
	v_cndmask_b32_e64 v23, v24, v23, s[38:39]
	s_waitcnt lgkmcnt(0)
	v_max_f32_e32 v24, v27, v27
	v_cndmask_b32_e64 v20, v215, v20, s[36:37]
	v_max_f32_e32 v24, v26, v24
	v_sub_f32_e32 v45, v2, v24
	v_sub_f32_e32 v48, v3, v24
	;; [unrolled: 1-line block ×6, first 2 shown]
	v_mul_f32_e32 v6, 0x3fb8aa3b, v26
	v_sub_f32_e32 v41, v8, v24
	v_sub_f32_e32 v44, v9, v24
	v_mul_f32_e32 v7, 0x3fb8aa3b, v27
	v_mul_f32_e32 v8, 0x3fb8aa3b, v41
	s_waitcnt vmcnt(0)
	ds_write_b128 v144, v[10:13]
	flat_load_dwordx4 v[16:19], v[14:15]
	v_mul_f32_e32 v9, 0x3fb8aa3b, v44
	v_rndne_f32_e32 v97, v7
	v_fma_f32 v98, v41, s97, -v8
	v_rndne_f32_e32 v99, v8
	v_fma_f32 v100, v44, s97, -v9
	v_rndne_f32_e32 v101, v9
	v_fmac_f32_e32 v98, 0x32a5705f, v41
	v_sub_f32_e32 v8, v8, v99
	v_fmac_f32_e32 v100, 0x32a5705f, v44
	v_sub_f32_e32 v9, v9, v101
	v_add_f32_e32 v8, v8, v98
	v_add_f32_e32 v9, v9, v100
	v_mul_f32_e32 v96, 0x3fb8aa3b, v48
	v_cvt_i32_f32_e32 v99, v99
	v_cvt_i32_f32_e32 v101, v101
	v_exp_f32_e32 v8, v8
	v_exp_f32_e32 v9, v9
	v_mul_f32_e32 v95, 0x3fb8aa3b, v45
	v_fma_f32 v104, v48, s97, -v96
	v_rndne_f32_e32 v105, v96
	v_fma_f32 v102, v45, s97, -v95
	v_rndne_f32_e32 v103, v95
	v_fmac_f32_e32 v104, 0x32a5705f, v48
	v_sub_f32_e32 v96, v96, v105
	v_cmp_ngt_f32_e64 s[36:37], s94, v26
	v_cndmask_b32_e64 v22, v215, v22, s[38:39]
	v_fmac_f32_e32 v102, 0x32a5705f, v45
	v_sub_f32_e32 v95, v95, v103
	v_sub_f32_e32 v94, v124, v24
	v_cvt_i32_f32_e32 v103, v103
	v_cvt_i32_f32_e32 v105, v105
	v_mov_b32_e32 v1, s93
	v_mov_b32_e32 v10, s93
	;; [unrolled: 1-line block ×7, first 2 shown]
	s_cmp_lg_u64 s[2:3], 0
	s_cselect_b64 s[34:35], -1, 0
	s_waitcnt vmcnt(0) lgkmcnt(0)
	ds_write_b128 v199, v[16:19]
	flat_load_dwordx4 v[2:5], v[20:21]
	v_fma_f32 v19, v26, s97, -v6
	v_rndne_f32_e32 v20, v6
	v_fma_f32 v21, v27, s97, -v7
	v_fmac_f32_e32 v19, 0x32a5705f, v26
	v_sub_f32_e32 v6, v6, v20
	v_fmac_f32_e32 v21, 0x32a5705f, v27
	v_sub_f32_e32 v7, v7, v97
	v_add_f32_e32 v6, v6, v19
	v_cvt_i32_f32_e32 v20, v20
	v_add_f32_e32 v7, v7, v21
	v_exp_f32_e32 v6, v6
	v_cvt_i32_f32_e32 v97, v97
	v_exp_f32_e32 v7, v7
	v_add_f32_e32 v21, v96, v104
	v_ldexp_f32 v6, v6, v20
	v_cndmask_b32_e64 v96, 0, v6, s[36:37]
	v_ldexp_f32 v7, v7, v97
	v_cmp_ngt_f32_e64 s[36:37], s94, v27
	v_add_f32_e32 v19, v95, v102
	v_ldexp_f32 v20, v8, v99
	v_ldexp_f32 v95, v9, v101
	v_cndmask_b32_e64 v97, 0, v7, s[36:37]
	v_mul_f32_e32 v16, 0x3fb8aa3b, v92
	v_mul_f32_e32 v17, 0x3fb8aa3b, v93
	v_fma_f32 v106, v92, s97, -v16
	v_rndne_f32_e32 v107, v16
	v_mul_f32_e32 v18, 0x3fb8aa3b, v94
	v_fma_f32 v108, v93, s97, -v17
	v_rndne_f32_e32 v109, v17
	v_fmac_f32_e32 v106, 0x32a5705f, v92
	v_sub_f32_e32 v16, v16, v107
	v_exp_f32_e32 v19, v19
	v_fma_f32 v110, v94, s97, -v18
	v_rndne_f32_e32 v111, v18
	v_fmac_f32_e32 v108, 0x32a5705f, v93
	v_sub_f32_e32 v17, v17, v109
	v_add_f32_e32 v16, v16, v106
	v_exp_f32_e32 v21, v21
	v_cvt_i32_f32_e32 v107, v107
	v_fmac_f32_e32 v110, 0x32a5705f, v94
	v_sub_f32_e32 v18, v18, v111
	v_add_f32_e32 v17, v17, v108
	v_exp_f32_e32 v16, v16
	v_cmp_ngt_f32_e64 s[36:37], s94, v41
	v_cvt_i32_f32_e32 v109, v109
	v_add_f32_e32 v18, v18, v110
	v_exp_f32_e32 v17, v17
	v_cvt_i32_f32_e32 v111, v111
	v_exp_f32_e32 v18, v18
	v_ldexp_f32 v19, v19, v103
	v_ldexp_f32 v21, v21, v105
	;; [unrolled: 1-line block ×5, first 2 shown]
	s_waitcnt vmcnt(0) lgkmcnt(0)
	ds_write_b128 v201, v[2:5]
	flat_load_dwordx4 v[6:9], v[22:23]
	v_cndmask_b32_e64 v2, 0, v20, s[36:37]
	v_cmp_ngt_f32_e64 s[36:37], s94, v44
	s_waitcnt vmcnt(0) lgkmcnt(0)
	ds_write_b128 v203, v[6:9]
	v_cndmask_b32_e64 v3, 0, v95, s[36:37]
	v_cmp_ngt_f32_e64 s[36:37], s94, v45
	s_waitcnt lgkmcnt(0)
	s_barrier
	v_cndmask_b32_e64 v4, 0, v19, s[36:37]
	v_cmp_ngt_f32_e64 s[36:37], s94, v48
	s_nop 1
	v_cndmask_b32_e64 v5, 0, v21, s[36:37]
	v_cmp_ngt_f32_e64 s[36:37], s94, v92
	s_nop 1
	;; [unrolled: 3-line block ×4, first 2 shown]
	v_cndmask_b32_e64 v18, 0, v18, s[36:37]
	v_cmp_nlt_f32_e64 s[36:37], s73, v26
	s_nop 1
	v_cndmask_b32_e64 v19, v212, v96, s[36:37]
	v_cmp_nlt_f32_e64 s[36:37], s73, v27
	s_nop 1
	v_cndmask_b32_e64 v20, v212, v97, s[36:37]
	v_cmp_nlt_f32_e64 s[36:37], s73, v41
	v_cndmask_b32_e64 v1, v1, v20, s[46:47]
	s_nop 0
	v_cndmask_b32_e64 v21, v212, v2, s[36:37]
	v_cmp_nlt_f32_e64 s[36:37], s73, v44
	v_cndmask_b32_e64 v2, 0, v19, s[52:53]
	v_cvt_pk_f16_f32 v22, v2, v1
	v_cndmask_b32_e64 v41, v212, v3, s[36:37]
	v_cmp_nlt_f32_e64 s[36:37], s73, v45
	v_cndmask_b32_e64 v11, v11, v41, s[50:51]
	s_nop 0
	v_cndmask_b32_e64 v44, v212, v4, s[36:37]
	v_cmp_nlt_f32_e64 s[36:37], s73, v48
	v_cndmask_b32_e64 v4, v10, v21, s[48:49]
	v_cndmask_b32_e64 v10, v12, v44, s[40:41]
	;; [unrolled: 1-line block ×3, first 2 shown]
	v_cmp_nlt_f32_e64 s[36:37], s73, v92
	v_cndmask_b32_e64 v3, v13, v45, s[42:43]
	v_cvt_pk_f16_f32 v26, v10, v3
	v_cndmask_b32_e64 v48, v212, v16, s[36:37]
	v_cmp_nlt_f32_e64 s[36:37], s73, v93
	v_cvt_pk_f16_f32 v23, v4, v11
	v_cndmask_b32_e64 v12, v14, v48, s[44:45]
	v_cndmask_b32_e64 v92, v212, v17, s[36:37]
	v_cmp_nlt_f32_e64 s[36:37], s73, v94
	v_cndmask_b32_e32 v13, v15, v92, vcc
	v_cvt_pk_f16_f32 v27, v12, v13
	v_cndmask_b32_e64 v5, v212, v18, s[36:37]
	v_cmp_le_f32_e64 s[36:37], s95, v94
	s_nop 1
	v_cndmask_b32_e64 v115, 0, v5, s[36:37]
	v_add_f32_e32 v5, v20, v2
	v_cndmask_b32_e64 v1, v2, v5, s[46:47]
	v_add_f32_e32 v2, v1, v21
	;; [unrolled: 2-line block ×4, first 2 shown]
	v_cvt_f16_f32_e32 v14, v115
	v_cndmask_b32_e64 v10, v10, v11, s[40:41]
	v_add_f32_e32 v11, v45, v10
	v_cndmask_b32_e64 v10, v10, v11, s[42:43]
	v_add_f32_e32 v11, v48, v10
	v_mul_u32_u24_e32 v1, 0x10001, v14
	v_cndmask_b32_e64 v121, v10, v11, s[44:45]
	v_pk_mul_f16 v3, v37, v1
	v_pk_mul_f16 v4, v36, v1
	v_pk_mul_f16 v5, v25, v1
	v_pk_mul_f16 v15, v33, v1
	v_pk_mul_f16 v14, v32, v1
	v_pk_mul_f16 v13, v31, v1
	v_pk_mul_f16 v12, v30, v1
	v_pk_mul_f16 v17, v35, v1
	v_pk_mul_f16 v16, v34, v1
	v_add_f32_e32 v126, v92, v121
	ds_read_u16 v6, v145
	ds_read_u16 v127, v145 offset:32
	ds_read_u16 v110, v145 offset:64
	;; [unrolled: 1-line block ×23, first 2 shown]
	ds_read_u16 v9, v146
	ds_read_u16 v216, v146 offset:32
	ds_read_u16 v217, v146 offset:64
	;; [unrolled: 1-line block ×31, first 2 shown]
	v_pk_mul_f16 v2, v40, v1
	s_waitcnt lgkmcnt(14)
	v_perm_b32 v7, v9, v7, s4
	v_perm_b32 v6, v8, v6, s4
	v_cvt_f32_f16_e32 v122, v2
	v_cvt_f32_f16_sdwa v123, v2 dst_sel:DWORD dst_unused:UNUSED_PAD src0_sel:WORD_1
	v_cvt_f32_f16_e32 v124, v3
	v_cvt_f32_f16_sdwa v125, v3 dst_sel:DWORD dst_unused:UNUSED_PAD src0_sel:WORD_1
	ds_read_u16 v8, v146 offset:8704
	ds_read_u16 v224, v146 offset:8736
	;; [unrolled: 1-line block ×8, first 2 shown]
	s_waitcnt lgkmcnt(7)
	v_perm_b32 v11, v8, v11, s4
	v_mfma_f32_16x16x16_f16 v[6:9], v[6:7], v[22:23], v[122:125]
	v_cvt_f32_f16_e32 v2, v4
	v_cvt_f32_f16_sdwa v3, v4 dst_sel:DWORD dst_unused:UNUSED_PAD src0_sel:WORD_1
	s_nop 0
	v_perm_b32 v123, v216, v129, s4
	v_perm_b32 v122, v128, v127, s4
	v_cvt_f32_f16_e32 v4, v5
	v_cvt_f32_f16_sdwa v5, v5 dst_sel:DWORD dst_unused:UNUSED_PAD src0_sel:WORD_1
	s_nop 0
	v_cvt_f16_f32_e32 v6, v6
	v_cvt_f16_f32_e32 v7, v7
	v_cvt_f16_f32_e32 v8, v8
	v_cvt_f16_f32_e32 v9, v9
	v_mfma_f32_16x16x16_f16 v[2:5], v[122:123], v[22:23], v[2:5]
	v_perm_b32 v10, v219, v10, s4
	v_cvt_f32_f16_e32 v6, v6
	v_cvt_f32_f16_e32 v7, v7
	;; [unrolled: 1-line block ×4, first 2 shown]
	s_nop 2
	v_cvt_f16_f32_e32 v2, v2
	v_cvt_f16_f32_e32 v3, v3
	;; [unrolled: 1-line block ×4, first 2 shown]
	v_mfma_f32_16x16x16_f16 v[6:9], v[10:11], v[26:27], v[6:9]
	s_waitcnt lgkmcnt(6)
	v_perm_b32 v11, v224, v222, s4
	v_perm_b32 v10, v220, v218, s4
	v_cvt_f32_f16_e32 v2, v2
	v_cvt_f32_f16_e32 v3, v3
	;; [unrolled: 1-line block ×5, first 2 shown]
	v_cvt_f32_f16_sdwa v123, v15 dst_sel:DWORD dst_unused:UNUSED_PAD src0_sel:WORD_1
	v_mfma_f32_16x16x16_f16 v[2:5], v[10:11], v[26:27], v[2:5]
	v_perm_b32 v11, v217, v118, s4
	v_perm_b32 v10, v116, v110, s4
	v_cvt_f32_f16_e32 v124, v14
	v_cvt_f32_f16_sdwa v125, v14 dst_sel:DWORD dst_unused:UNUSED_PAD src0_sel:WORD_1
	v_cndmask_b32_e32 v121, v121, v126, vcc
	v_fmac_f32_e32 v121, v91, v115
	v_pk_mul_f16 v39, v39, v1
	v_pk_mul_f16 v38, v38, v1
	;; [unrolled: 1-line block ×6, first 2 shown]
	v_cvt_f16_f32_e32 v1, v8
	v_cvt_f16_f32_e32 v110, v9
	v_mfma_f32_16x16x16_f16 v[8:11], v[10:11], v[22:23], v[122:125]
	s_waitcnt lgkmcnt(5)
	v_perm_b32 v15, v225, v223, s4
	v_perm_b32 v14, v221, v119, s4
	;; [unrolled: 1-line block ×3, first 2 shown]
	v_cvt_f32_f16_e32 v122, v13
	v_cvt_f32_f16_sdwa v123, v13 dst_sel:DWORD dst_unused:UNUSED_PAD src0_sel:WORD_1
	s_nop 1
	v_cvt_f16_f32_e32 v8, v8
	v_cvt_f16_f32_e32 v9, v9
	;; [unrolled: 1-line block ×4, first 2 shown]
	v_cvt_f32_f16_e32 v8, v8
	v_cvt_f32_f16_e32 v9, v9
	;; [unrolled: 1-line block ×5, first 2 shown]
	v_cvt_f32_f16_sdwa v125, v12 dst_sel:DWORD dst_unused:UNUSED_PAD src0_sel:WORD_1
	v_mfma_f32_16x16x16_f16 v[8:11], v[14:15], v[26:27], v[8:11]
	v_perm_b32 v15, v111, v107, s4
	v_perm_b32 v14, v105, v30, s4
	v_cvt_f16_f32_e32 v30, v4
	v_cvt_f16_f32_e32 v105, v5
	v_mfma_f32_16x16x16_f16 v[12:15], v[14:15], v[22:23], v[122:125]
	v_cvt_f32_f16_e32 v110, v17
	v_cvt_f32_f16_sdwa v111, v17 dst_sel:DWORD dst_unused:UNUSED_PAD src0_sel:WORD_1
	v_cvt_f32_f16_e32 v112, v16
	s_nop 4
	v_cvt_f16_f32_e32 v4, v12
	v_cvt_f16_f32_e32 v5, v13
	;; [unrolled: 1-line block ×4, first 2 shown]
	v_cvt_f32_f16_e32 v12, v4
	v_cvt_f32_f16_e32 v13, v5
	s_waitcnt lgkmcnt(4)
	v_perm_b32 v5, v120, v117, s4
	v_perm_b32 v4, v114, v108, s4
	v_cvt_f32_f16_e32 v14, v14
	v_cvt_f32_f16_e32 v15, v15
	v_cvt_f32_f16_sdwa v113, v16 dst_sel:DWORD dst_unused:UNUSED_PAD src0_sel:WORD_1
	v_cvt_f16_f32_e32 v10, v10
	v_mfma_f32_16x16x16_f16 v[12:15], v[4:5], v[26:27], v[12:15]
	v_perm_b32 v5, v103, v100, s4
	v_perm_b32 v4, v98, v95, s4
	v_cvt_f16_f32_e32 v11, v11
	v_perm_b32 v30, v105, v30, s4
	v_mfma_f32_16x16x16_f16 v[110:113], v[4:5], v[22:23], v[110:113]
	v_perm_b32 v10, v11, v10, s4
	s_nop 1
	v_cvt_f16_f32_e32 v11, v14
	v_cvt_f16_f32_e32 v98, v15
	s_nop 2
	v_cvt_f16_f32_e32 v4, v110
	v_cvt_f16_f32_e32 v5, v111
	;; [unrolled: 1-line block ×4, first 2 shown]
	v_cvt_f32_f16_e32 v110, v4
	v_cvt_f32_f16_e32 v111, v5
	s_waitcnt lgkmcnt(3)
	v_perm_b32 v5, v109, v106, s4
	v_perm_b32 v4, v104, v101, s4
	v_cvt_f32_f16_e32 v112, v16
	v_cvt_f32_f16_e32 v113, v17
	;; [unrolled: 1-line block ×3, first 2 shown]
	v_cvt_f32_f16_sdwa v105, v39 dst_sel:DWORD dst_unused:UNUSED_PAD src0_sel:WORD_1
	v_mfma_f32_16x16x16_f16 v[14:17], v[4:5], v[26:27], v[110:113]
	v_perm_b32 v5, v96, v92, s4
	v_perm_b32 v4, v19, v18, s4
	v_cvt_f32_f16_e32 v106, v38
	v_cvt_f32_f16_sdwa v107, v38 dst_sel:DWORD dst_unused:UNUSED_PAD src0_sel:WORD_1
	s_nop 3
	v_cvt_f16_f32_e32 v100, v17
	v_perm_b32 v11, v98, v11, s4
	v_mfma_f32_16x16x16_f16 v[104:107], v[4:5], v[22:23], v[104:107]
	v_cvt_f32_f16_e32 v96, v43
	v_cvt_f32_f16_e32 v98, v42
	v_cvt_f16_f32_e32 v116, v6
	v_cvt_f16_f32_e32 v118, v7
	s_nop 3
	v_cvt_f16_f32_e32 v4, v104
	v_cvt_f16_f32_e32 v5, v105
	;; [unrolled: 1-line block ×4, first 2 shown]
	v_cvt_f32_f16_e32 v104, v4
	v_cvt_f32_f16_e32 v105, v5
	s_waitcnt lgkmcnt(2)
	v_perm_b32 v5, v102, v99, s4
	v_perm_b32 v4, v97, v93, s4
	v_cvt_f32_f16_e32 v106, v18
	v_cvt_f32_f16_e32 v107, v19
	v_cvt_f16_f32_e32 v93, v16
	v_cvt_f32_f16_sdwa v97, v43 dst_sel:DWORD dst_unused:UNUSED_PAD src0_sel:WORD_1
	v_mfma_f32_16x16x16_f16 v[16:19], v[4:5], v[26:27], v[104:107]
	v_perm_b32 v5, v44, v31, s4
	v_perm_b32 v4, v21, v20, s4
	v_cvt_f32_f16_sdwa v99, v42 dst_sel:DWORD dst_unused:UNUSED_PAD src0_sel:WORD_1
	v_cvt_f16_f32_e32 v119, v2
	v_cvt_f16_f32_e32 v108, v3
	v_mfma_f32_16x16x16_f16 v[96:99], v[4:5], v[22:23], v[96:99]
	v_cvt_f16_f32_e32 v114, v8
	v_cvt_f16_f32_e32 v95, v9
	;; [unrolled: 1-line block ×4, first 2 shown]
	s_nop 3
	v_cvt_f16_f32_e32 v4, v96
	v_cvt_f16_f32_e32 v5, v97
	;; [unrolled: 1-line block ×4, first 2 shown]
	v_cvt_f32_f16_e32 v42, v4
	v_cvt_f32_f16_e32 v43, v5
	s_waitcnt lgkmcnt(1)
	v_perm_b32 v5, v94, v48, s4
	v_perm_b32 v4, v45, v41, s4
	v_cvt_f32_f16_e32 v44, v20
	v_cvt_f32_f16_e32 v45, v21
	v_cvt_f16_f32_e32 v48, v18
	v_cvt_f16_f32_e32 v94, v19
	v_mfma_f32_16x16x16_f16 v[18:21], v[4:5], v[26:27], v[42:45]
	v_perm_b32 v5, v36, v34, s4
	v_perm_b32 v4, v32, v25, s4
	s_nop 0
	v_cvt_f32_f16_e32 v42, v91
	v_cvt_f32_f16_sdwa v43, v91 dst_sel:DWORD dst_unused:UNUSED_PAD src0_sel:WORD_1
	v_cvt_f32_f16_e32 v44, v115
	v_cvt_f32_f16_sdwa v45, v115 dst_sel:DWORD dst_unused:UNUSED_PAD src0_sel:WORD_1
	s_nop 0
	v_cvt_f16_f32_e32 v25, v20
	v_cvt_f16_f32_e32 v34, v21
	v_mfma_f32_16x16x16_f16 v[20:23], v[4:5], v[22:23], v[42:45]
	v_cvt_f16_f32_e32 v92, v14
	v_cvt_f16_f32_e32 v101, v15
	v_perm_b32 v31, v100, v93, s4
	v_cvt_f16_f32_e32 v93, v16
	s_nop 3
	v_cvt_f16_f32_e32 v4, v20
	v_cvt_f16_f32_e32 v5, v21
	;; [unrolled: 1-line block ×4, first 2 shown]
	v_cvt_f32_f16_e32 v20, v4
	v_cvt_f32_f16_e32 v21, v5
	s_waitcnt lgkmcnt(0)
	v_perm_b32 v5, v40, v37, s4
	v_perm_b32 v4, v35, v33, s4
	v_cvt_f32_f16_e32 v22, v22
	v_cvt_f32_f16_e32 v23, v23
	v_perm_b32 v33, v34, v25, s4
	v_cvt_f16_f32_e32 v41, v17
	v_mfma_f32_16x16x16_f16 v[20:23], v[4:5], v[26:27], v[20:23]
	ds_bpermute_b32 v4, v29, v121
	v_cvt_f16_f32_e32 v35, v18
	v_cvt_f16_f32_e32 v36, v19
	v_readlane_b32 s40, v240, 54
	s_nop 3
	v_cvt_f16_f32_e32 v5, v20
	s_waitcnt lgkmcnt(0)
	v_add_f32_e32 v4, v121, v4
	ds_bpermute_b32 v25, v28, v4
	v_cvt_f16_f32_e32 v22, v22
	v_cvt_f16_f32_e32 v23, v23
	;; [unrolled: 1-line block ×3, first 2 shown]
	v_readlane_b32 s41, v240, 55
	v_perm_b32 v32, v94, v48, s4
	v_perm_b32 v22, v23, v22, s4
	s_waitcnt lgkmcnt(0)
	v_add_f32_e32 v25, v4, v25
	s_mov_b64 s[48:49], s[2:3]
	s_and_b64 s[34:35], s[40:41], s[34:35]
	v_perm_b32 v23, v26, v5, s4
	v_perm_b32 v26, v36, v35, s4
	;; [unrolled: 1-line block ×8, first 2 shown]
	s_barrier
	s_and_saveexec_b64 s[36:37], s[34:35]
	s_cbranch_execz .LBB24_81
; %bb.80:                               ;   in Loop: Header=BB24_14 Depth=1
	v_cvt_pk_f16_f32 v4, v6, v7
	v_cvt_pk_f16_f32 v6, v12, v13
	global_load_dword v13, v49, s[48:49]
	v_cvt_pk_f16_f32 v3, v2, v3
	v_cvt_pk_f16_f32 v7, v14, v15
	v_max_f32_e32 v14, v24, v24
	v_cvt_pk_f16_f32 v5, v8, v9
	v_cvt_pk_f16_f32 v8, v16, v17
	;; [unrolled: 1-line block ×4, first 2 shown]
	s_waitcnt vmcnt(0)
	v_max_f32_e32 v2, v13, v13
	v_max_f32_e32 v2, v14, v2
	v_sub_f32_e32 v14, v24, v2
	v_mul_f32_e32 v15, 0x3fb8aa3b, v14
	v_fma_f32 v16, v14, s97, -v15
	v_rndne_f32_e32 v17, v15
	v_fmac_f32_e32 v16, 0x32a5705f, v14
	v_sub_f32_e32 v15, v15, v17
	v_add_f32_e32 v15, v15, v16
	v_exp_f32_e32 v15, v15
	v_cvt_i32_f32_e32 v16, v17
	v_cmp_ngt_f32_e32 vcc, s94, v14
	v_sub_f32_e32 v13, v13, v2
	v_ldexp_f32 v15, v15, v16
	v_cndmask_b32_e32 v15, 0, v15, vcc
	v_cmp_nlt_f32_e32 vcc, s73, v14
	s_nop 1
	v_cndmask_b32_e32 v15, v212, v15, vcc
	v_cmp_le_f32_e32 vcc, s95, v14
	s_nop 1
	v_cndmask_b32_e32 v14, 0, v15, vcc
	v_cvt_f16_f32_e32 v15, v14
	v_cmp_ngt_f32_e32 vcc, s94, v13
	v_mul_u32_u24_e32 v15, 0x10001, v15
	v_pk_mul_f16 v36, v3, v15
	v_mul_f32_e32 v3, 0x3fb8aa3b, v13
	v_pk_mul_f16 v37, v4, v15
	v_pk_mul_f16 v35, v5, v15
	v_fma_f32 v4, v13, s97, -v3
	v_rndne_f32_e32 v5, v3
	v_fmac_f32_e32 v4, 0x32a5705f, v13
	v_sub_f32_e32 v3, v3, v5
	v_add_f32_e32 v3, v3, v4
	v_exp_f32_e32 v3, v3
	v_cvt_i32_f32_e32 v4, v5
	v_pk_mul_f16 v1, v1, v15
	v_pk_mul_f16 v30, v30, v15
	;; [unrolled: 1-line block ×3, first 2 shown]
	v_ldexp_f32 v3, v3, v4
	v_cndmask_b32_e32 v3, 0, v3, vcc
	v_cmp_nlt_f32_e32 vcc, s73, v13
	v_pk_mul_f16 v34, v6, v15
	v_pk_mul_f16 v11, v11, v15
	v_cndmask_b32_e32 v3, v212, v3, vcc
	v_fmac_f32_e32 v3, v25, v14
	v_pk_mul_f16 v29, v7, v15
	v_pk_mul_f16 v31, v31, v15
	;; [unrolled: 1-line block ×8, first 2 shown]
	v_mov_b64_e32 v[24:25], v[2:3]
.LBB24_81:                              ;   in Loop: Header=BB24_14 Depth=1
	s_or_b64 exec, exec, s[36:37]
	s_mov_b64 s[34:35], exec
	v_readlane_b32 s36, v239, 9
	v_readlane_b32 s37, v239, 10
	s_and_b64 s[36:37], s[34:35], s[36:37]
	s_mov_b64 exec, s[36:37]
; %bb.82:                               ;   in Loop: Header=BB24_14 Depth=1
	v_add_u32_e32 v2, 0, v172
	ds_write2_b32 v2, v24, v25 offset0:64 offset1:65
; %bb.83:                               ;   in Loop: Header=BB24_14 Depth=1
	s_or_b64 exec, exec, s[34:35]
	s_waitcnt lgkmcnt(0)
	s_barrier
	s_mov_b64 s[34:35], exec
	v_readlane_b32 s36, v240, 56
	v_readlane_b32 s37, v240, 57
	s_and_b64 s[36:37], s[34:35], s[36:37]
	s_xor_b64 s[34:35], s[36:37], s[34:35]
	s_mov_b64 s[2:3], s[56:57]
	s_mov_b64 exec, s[36:37]
	s_cbranch_execz .LBB24_85
; %bb.84:                               ;   in Loop: Header=BB24_14 Depth=1
	s_barrier
                                        ; implicit-def: $vgpr28
.LBB24_85:                              ;   in Loop: Header=BB24_14 Depth=1
	s_andn2_saveexec_b64 s[34:35], s[34:35]
	s_cbranch_execz .LBB24_91
; %bb.86:                               ;   in Loop: Header=BB24_14 Depth=1
	v_add_u32_e32 v3, 0, v173
	ds_read_b64 v[6:7], v3 offset:256
	s_waitcnt lgkmcnt(0)
	s_barrier
	ds_bpermute_b32 v2, v28, v6
	v_max_f32_e32 v4, v6, v6
	s_waitcnt lgkmcnt(0)
	v_max_f32_e32 v2, v2, v2
	v_max_f32_e32 v2, v4, v2
	v_sub_f32_e32 v4, v6, v2
	v_mul_f32_e32 v5, 0x3fb8aa3b, v4
	v_fma_f32 v6, v4, s97, -v5
	v_rndne_f32_e32 v8, v5
	v_fmac_f32_e32 v6, 0x32a5705f, v4
	v_sub_f32_e32 v5, v5, v8
	v_add_f32_e32 v5, v5, v6
	v_cvt_i32_f32_e32 v8, v8
	v_exp_f32_e32 v5, v5
	v_cmp_ngt_f32_e32 vcc, s94, v4
	v_ldexp_f32 v5, v5, v8
	s_nop 0
	v_cndmask_b32_e32 v5, 0, v5, vcc
	v_cmp_nlt_f32_e32 vcc, s73, v4
	s_nop 1
	v_cndmask_b32_e32 v4, v212, v5, vcc
	v_mul_f32_e32 v5, v7, v4
	ds_bpermute_b32 v5, v28, v5
	s_waitcnt lgkmcnt(0)
	v_fmac_f32_e32 v5, v7, v4
	s_mov_b64 s[36:37], exec
	v_readlane_b32 s38, v239, 11
	v_readlane_b32 s39, v239, 12
	s_and_b64 s[38:39], s[36:37], s[38:39]
	s_mov_b64 exec, s[38:39]
; %bb.87:                               ;   in Loop: Header=BB24_14 Depth=1
	ds_write_b64 v3, v[4:5] offset:256
; %bb.88:                               ;   in Loop: Header=BB24_14 Depth=1
	s_or_b64 exec, exec, s[36:37]
	s_mov_b64 s[36:37], exec
	v_readlane_b32 s38, v239, 9
	v_readlane_b32 s39, v239, 10
	s_and_b64 s[38:39], s[36:37], s[38:39]
	s_mov_b64 exec, s[38:39]
	s_cbranch_execz .LBB24_90
; %bb.89:                               ;   in Loop: Header=BB24_14 Depth=1
	v_mov_b32_e32 v3, v5
	global_store_dwordx2 v[72:73], v[2:3], off
.LBB24_90:                              ;   in Loop: Header=BB24_14 Depth=1
	s_or_b64 exec, exec, s[36:37]
.LBB24_91:                              ;   in Loop: Header=BB24_14 Depth=1
	s_or_b64 exec, exec, s[34:35]
	ds_write2_b32 v147, v37, v1 offset1:1
	ds_write2_b32 v147, v36, v30 offset0:8 offset1:9
	ds_write2_b32 v147, v35, v10 offset0:16 offset1:17
	;; [unrolled: 1-line block ×7, first 2 shown]
	s_waitcnt lgkmcnt(0)
	s_barrier
	s_and_saveexec_b64 s[36:37], s[40:41]
	s_cbranch_execz .LBB24_169
; %bb.92:                               ;   in Loop: Header=BB24_14 Depth=1
	v_add_u32_e32 v1, s77, v148
	v_cmp_gt_i32_e32 vcc, s72, v1
	v_mov_b32_e32 v2, 0x47
	s_and_saveexec_b64 s[34:35], vcc
	s_cbranch_execz .LBB24_94
; %bb.93:                               ;   in Loop: Header=BB24_14 Depth=1
	v_add_u32_e32 v4, v140, v174
	ds_read2st64_b32 v[4:5], v4 offset1:17
	v_add_u32_e32 v2, 0, v174
	ds_read2st64_b32 v[2:3], v2 offset0:1 offset1:18
	v_readlane_b32 s38, v240, 61
	s_waitcnt lgkmcnt(1)
	v_cvt_f32_f16_e32 v8, v4
	v_cvt_f32_f16_sdwa v9, v4 dst_sel:DWORD dst_unused:UNUSED_PAD src0_sel:WORD_1
	v_cvt_f32_f16_e32 v4, v5
	v_cvt_f32_f16_sdwa v5, v5 dst_sel:DWORD dst_unused:UNUSED_PAD src0_sel:WORD_1
	v_mad_u64_u32 v[6:7], s[38:39], s38, v1, v[46:47]
	v_readlane_b32 s38, v239, 18
	v_ashrrev_i32_e32 v7, 31, v6
	v_readlane_b32 s39, v239, 19
	s_waitcnt lgkmcnt(0)
	v_pk_fma_f32 v[8:9], v[2:3], v[8:9], 0 op_sel_hi:[0,1,0]
	v_mov_b32_e32 v2, v3
	v_lshl_add_u64 v[6:7], v[6:7], 3, s[38:39]
	v_pk_fma_f32 v[2:3], v[2:3], v[4:5], v[8:9] op_sel_hi:[0,1,1]
	global_store_dwordx2 v[6:7], v[2:3], off
	v_mov_b32_e32 v2, 0
.LBB24_94:                              ;   in Loop: Header=BB24_14 Depth=1
	s_or_b64 exec, exec, s[34:35]
	s_movk_i32 s34, 0x47
	v_cmp_gt_i32_e32 vcc, s34, v2
	s_mov_b64 s[34:35], -1
	s_and_saveexec_b64 s[38:39], vcc
; %bb.95:                               ;   in Loop: Header=BB24_14 Depth=1
	v_cmp_eq_u32_e32 vcc, 0, v2
	s_orn2_b64 s[34:35], vcc, exec
; %bb.96:                               ;   in Loop: Header=BB24_14 Depth=1
	s_or_b64 exec, exec, s[38:39]
	s_and_b64 exec, exec, s[34:35]
	s_cbranch_execz .LBB24_169
; %bb.97:                               ;   in Loop: Header=BB24_14 Depth=1
	v_add_u32_e32 v1, s77, v149
	v_cmp_gt_i32_e32 vcc, s72, v1
	v_mov_b32_e32 v2, 0x47
	s_and_saveexec_b64 s[34:35], vcc
	s_cbranch_execz .LBB24_99
; %bb.98:                               ;   in Loop: Header=BB24_14 Depth=1
	v_add_u32_e32 v4, v140, v175
	ds_read2st64_b32 v[4:5], v4 offset1:17
	v_add_u32_e32 v2, 0, v175
	ds_read2st64_b32 v[2:3], v2 offset0:1 offset1:18
	v_readlane_b32 s38, v240, 61
	s_waitcnt lgkmcnt(1)
	v_cvt_f32_f16_e32 v8, v4
	v_cvt_f32_f16_sdwa v9, v4 dst_sel:DWORD dst_unused:UNUSED_PAD src0_sel:WORD_1
	v_cvt_f32_f16_e32 v4, v5
	v_cvt_f32_f16_sdwa v5, v5 dst_sel:DWORD dst_unused:UNUSED_PAD src0_sel:WORD_1
	v_mad_u64_u32 v[6:7], s[38:39], s38, v1, v[46:47]
	v_readlane_b32 s38, v239, 18
	v_ashrrev_i32_e32 v7, 31, v6
	v_readlane_b32 s39, v239, 19
	s_waitcnt lgkmcnt(0)
	v_pk_fma_f32 v[8:9], v[2:3], v[8:9], 0 op_sel_hi:[0,1,0]
	v_mov_b32_e32 v2, v3
	v_lshl_add_u64 v[6:7], v[6:7], 3, s[38:39]
	v_pk_fma_f32 v[2:3], v[2:3], v[4:5], v[8:9] op_sel_hi:[0,1,1]
	global_store_dwordx2 v[6:7], v[2:3], off
	v_mov_b32_e32 v2, 0
.LBB24_99:                              ;   in Loop: Header=BB24_14 Depth=1
	s_or_b64 exec, exec, s[34:35]
	s_movk_i32 s34, 0x47
	v_cmp_gt_i32_e32 vcc, s34, v2
	s_mov_b64 s[34:35], -1
	s_and_saveexec_b64 s[38:39], vcc
; %bb.100:                              ;   in Loop: Header=BB24_14 Depth=1
	v_cmp_eq_u32_e32 vcc, 0, v2
	s_orn2_b64 s[34:35], vcc, exec
; %bb.101:                              ;   in Loop: Header=BB24_14 Depth=1
	s_or_b64 exec, exec, s[38:39]
	s_and_b64 exec, exec, s[34:35]
	s_cbranch_execz .LBB24_169
; %bb.102:                              ;   in Loop: Header=BB24_14 Depth=1
	v_add_u32_e32 v1, s77, v150
	v_cmp_gt_i32_e32 vcc, s72, v1
	v_mov_b32_e32 v2, 0x47
	s_and_saveexec_b64 s[34:35], vcc
	s_cbranch_execz .LBB24_104
; %bb.103:                              ;   in Loop: Header=BB24_14 Depth=1
	v_add_u32_e32 v4, v140, v176
	ds_read2st64_b32 v[4:5], v4 offset1:17
	v_add_u32_e32 v2, 0, v176
	ds_read2st64_b32 v[2:3], v2 offset0:1 offset1:18
	v_readlane_b32 s38, v240, 61
	s_waitcnt lgkmcnt(1)
	v_cvt_f32_f16_e32 v8, v4
	v_cvt_f32_f16_sdwa v9, v4 dst_sel:DWORD dst_unused:UNUSED_PAD src0_sel:WORD_1
	v_cvt_f32_f16_e32 v4, v5
	v_cvt_f32_f16_sdwa v5, v5 dst_sel:DWORD dst_unused:UNUSED_PAD src0_sel:WORD_1
	v_mad_u64_u32 v[6:7], s[38:39], s38, v1, v[46:47]
	v_readlane_b32 s38, v239, 18
	v_ashrrev_i32_e32 v7, 31, v6
	v_readlane_b32 s39, v239, 19
	s_waitcnt lgkmcnt(0)
	v_pk_fma_f32 v[8:9], v[2:3], v[8:9], 0 op_sel_hi:[0,1,0]
	v_mov_b32_e32 v2, v3
	v_lshl_add_u64 v[6:7], v[6:7], 3, s[38:39]
	v_pk_fma_f32 v[2:3], v[2:3], v[4:5], v[8:9] op_sel_hi:[0,1,1]
	global_store_dwordx2 v[6:7], v[2:3], off
	v_mov_b32_e32 v2, 0
.LBB24_104:                             ;   in Loop: Header=BB24_14 Depth=1
	s_or_b64 exec, exec, s[34:35]
	s_movk_i32 s34, 0x47
	v_cmp_gt_i32_e32 vcc, s34, v2
	s_mov_b64 s[34:35], -1
	s_and_saveexec_b64 s[38:39], vcc
; %bb.105:                              ;   in Loop: Header=BB24_14 Depth=1
	v_cmp_eq_u32_e32 vcc, 0, v2
	s_orn2_b64 s[34:35], vcc, exec
; %bb.106:                              ;   in Loop: Header=BB24_14 Depth=1
	s_or_b64 exec, exec, s[38:39]
	s_and_b64 exec, exec, s[34:35]
	s_cbranch_execz .LBB24_169
; %bb.107:                              ;   in Loop: Header=BB24_14 Depth=1
	v_add_u32_e32 v1, s77, v151
	v_cmp_gt_i32_e32 vcc, s72, v1
	v_mov_b32_e32 v2, 0x47
	s_and_saveexec_b64 s[34:35], vcc
	s_cbranch_execz .LBB24_109
; %bb.108:                              ;   in Loop: Header=BB24_14 Depth=1
	v_add_u32_e32 v4, v140, v177
	ds_read2st64_b32 v[4:5], v4 offset1:17
	v_add_u32_e32 v2, 0, v177
	ds_read2st64_b32 v[2:3], v2 offset0:1 offset1:18
	v_readlane_b32 s38, v240, 61
	s_waitcnt lgkmcnt(1)
	v_cvt_f32_f16_e32 v8, v4
	v_cvt_f32_f16_sdwa v9, v4 dst_sel:DWORD dst_unused:UNUSED_PAD src0_sel:WORD_1
	v_cvt_f32_f16_e32 v4, v5
	v_cvt_f32_f16_sdwa v5, v5 dst_sel:DWORD dst_unused:UNUSED_PAD src0_sel:WORD_1
	v_mad_u64_u32 v[6:7], s[38:39], s38, v1, v[46:47]
	v_readlane_b32 s38, v239, 18
	v_ashrrev_i32_e32 v7, 31, v6
	v_readlane_b32 s39, v239, 19
	s_waitcnt lgkmcnt(0)
	v_pk_fma_f32 v[8:9], v[2:3], v[8:9], 0 op_sel_hi:[0,1,0]
	v_mov_b32_e32 v2, v3
	v_lshl_add_u64 v[6:7], v[6:7], 3, s[38:39]
	v_pk_fma_f32 v[2:3], v[2:3], v[4:5], v[8:9] op_sel_hi:[0,1,1]
	global_store_dwordx2 v[6:7], v[2:3], off
	v_mov_b32_e32 v2, 0
.LBB24_109:                             ;   in Loop: Header=BB24_14 Depth=1
	s_or_b64 exec, exec, s[34:35]
	s_movk_i32 s34, 0x47
	v_cmp_gt_i32_e32 vcc, s34, v2
	s_mov_b64 s[34:35], -1
	s_and_saveexec_b64 s[38:39], vcc
; %bb.110:                              ;   in Loop: Header=BB24_14 Depth=1
	v_cmp_eq_u32_e32 vcc, 0, v2
	s_orn2_b64 s[34:35], vcc, exec
; %bb.111:                              ;   in Loop: Header=BB24_14 Depth=1
	s_or_b64 exec, exec, s[38:39]
	s_and_b64 exec, exec, s[34:35]
	s_cbranch_execz .LBB24_169
; %bb.112:                              ;   in Loop: Header=BB24_14 Depth=1
	v_add_u32_e32 v1, s77, v152
	v_cmp_gt_i32_e32 vcc, s72, v1
	v_mov_b32_e32 v2, 0x47
	s_and_saveexec_b64 s[34:35], vcc
	s_cbranch_execz .LBB24_114
; %bb.113:                              ;   in Loop: Header=BB24_14 Depth=1
	v_add_u32_e32 v4, v140, v178
	ds_read2st64_b32 v[4:5], v4 offset1:17
	v_add_u32_e32 v2, 0, v178
	ds_read2st64_b32 v[2:3], v2 offset0:1 offset1:18
	v_readlane_b32 s38, v240, 61
	s_waitcnt lgkmcnt(1)
	v_cvt_f32_f16_e32 v8, v4
	v_cvt_f32_f16_sdwa v9, v4 dst_sel:DWORD dst_unused:UNUSED_PAD src0_sel:WORD_1
	v_cvt_f32_f16_e32 v4, v5
	v_cvt_f32_f16_sdwa v5, v5 dst_sel:DWORD dst_unused:UNUSED_PAD src0_sel:WORD_1
	v_mad_u64_u32 v[6:7], s[38:39], s38, v1, v[46:47]
	v_readlane_b32 s38, v239, 18
	v_ashrrev_i32_e32 v7, 31, v6
	v_readlane_b32 s39, v239, 19
	s_waitcnt lgkmcnt(0)
	v_pk_fma_f32 v[8:9], v[2:3], v[8:9], 0 op_sel_hi:[0,1,0]
	v_mov_b32_e32 v2, v3
	v_lshl_add_u64 v[6:7], v[6:7], 3, s[38:39]
	v_pk_fma_f32 v[2:3], v[2:3], v[4:5], v[8:9] op_sel_hi:[0,1,1]
	global_store_dwordx2 v[6:7], v[2:3], off
	v_mov_b32_e32 v2, 0
.LBB24_114:                             ;   in Loop: Header=BB24_14 Depth=1
	s_or_b64 exec, exec, s[34:35]
	s_movk_i32 s34, 0x47
	v_cmp_gt_i32_e32 vcc, s34, v2
	s_mov_b64 s[34:35], -1
	s_and_saveexec_b64 s[38:39], vcc
; %bb.115:                              ;   in Loop: Header=BB24_14 Depth=1
	v_cmp_eq_u32_e32 vcc, 0, v2
	s_orn2_b64 s[34:35], vcc, exec
; %bb.116:                              ;   in Loop: Header=BB24_14 Depth=1
	s_or_b64 exec, exec, s[38:39]
	s_and_b64 exec, exec, s[34:35]
	s_cbranch_execz .LBB24_169
; %bb.117:                              ;   in Loop: Header=BB24_14 Depth=1
	v_add_u32_e32 v1, s77, v153
	v_cmp_gt_i32_e32 vcc, s72, v1
	v_mov_b32_e32 v2, 0x47
	s_and_saveexec_b64 s[34:35], vcc
	s_cbranch_execz .LBB24_119
; %bb.118:                              ;   in Loop: Header=BB24_14 Depth=1
	v_add_u32_e32 v4, v140, v179
	ds_read2st64_b32 v[4:5], v4 offset1:17
	v_add_u32_e32 v2, 0, v179
	ds_read2st64_b32 v[2:3], v2 offset0:1 offset1:18
	v_readlane_b32 s38, v240, 61
	s_waitcnt lgkmcnt(1)
	v_cvt_f32_f16_e32 v8, v4
	v_cvt_f32_f16_sdwa v9, v4 dst_sel:DWORD dst_unused:UNUSED_PAD src0_sel:WORD_1
	v_cvt_f32_f16_e32 v4, v5
	v_cvt_f32_f16_sdwa v5, v5 dst_sel:DWORD dst_unused:UNUSED_PAD src0_sel:WORD_1
	v_mad_u64_u32 v[6:7], s[38:39], s38, v1, v[46:47]
	v_readlane_b32 s38, v239, 18
	v_ashrrev_i32_e32 v7, 31, v6
	v_readlane_b32 s39, v239, 19
	s_waitcnt lgkmcnt(0)
	v_pk_fma_f32 v[8:9], v[2:3], v[8:9], 0 op_sel_hi:[0,1,0]
	v_mov_b32_e32 v2, v3
	v_lshl_add_u64 v[6:7], v[6:7], 3, s[38:39]
	v_pk_fma_f32 v[2:3], v[2:3], v[4:5], v[8:9] op_sel_hi:[0,1,1]
	global_store_dwordx2 v[6:7], v[2:3], off
	v_mov_b32_e32 v2, 0
.LBB24_119:                             ;   in Loop: Header=BB24_14 Depth=1
	s_or_b64 exec, exec, s[34:35]
	s_movk_i32 s34, 0x47
	v_cmp_gt_i32_e32 vcc, s34, v2
	s_mov_b64 s[34:35], -1
	s_and_saveexec_b64 s[38:39], vcc
; %bb.120:                              ;   in Loop: Header=BB24_14 Depth=1
	v_cmp_eq_u32_e32 vcc, 0, v2
	s_orn2_b64 s[34:35], vcc, exec
; %bb.121:                              ;   in Loop: Header=BB24_14 Depth=1
	s_or_b64 exec, exec, s[38:39]
	s_and_b64 exec, exec, s[34:35]
	s_cbranch_execz .LBB24_169
; %bb.122:                              ;   in Loop: Header=BB24_14 Depth=1
	v_add_u32_e32 v1, s77, v154
	v_cmp_gt_i32_e32 vcc, s72, v1
	v_mov_b32_e32 v2, 0x47
	s_and_saveexec_b64 s[34:35], vcc
	s_cbranch_execz .LBB24_124
; %bb.123:                              ;   in Loop: Header=BB24_14 Depth=1
	v_add_u32_e32 v4, v140, v180
	ds_read2st64_b32 v[4:5], v4 offset1:17
	v_add_u32_e32 v2, 0, v180
	ds_read2st64_b32 v[2:3], v2 offset0:1 offset1:18
	v_readlane_b32 s38, v240, 61
	s_waitcnt lgkmcnt(1)
	v_cvt_f32_f16_e32 v8, v4
	v_cvt_f32_f16_sdwa v9, v4 dst_sel:DWORD dst_unused:UNUSED_PAD src0_sel:WORD_1
	v_cvt_f32_f16_e32 v4, v5
	v_cvt_f32_f16_sdwa v5, v5 dst_sel:DWORD dst_unused:UNUSED_PAD src0_sel:WORD_1
	v_mad_u64_u32 v[6:7], s[38:39], s38, v1, v[46:47]
	v_readlane_b32 s38, v239, 18
	v_ashrrev_i32_e32 v7, 31, v6
	v_readlane_b32 s39, v239, 19
	s_waitcnt lgkmcnt(0)
	v_pk_fma_f32 v[8:9], v[2:3], v[8:9], 0 op_sel_hi:[0,1,0]
	v_mov_b32_e32 v2, v3
	v_lshl_add_u64 v[6:7], v[6:7], 3, s[38:39]
	v_pk_fma_f32 v[2:3], v[2:3], v[4:5], v[8:9] op_sel_hi:[0,1,1]
	global_store_dwordx2 v[6:7], v[2:3], off
	v_mov_b32_e32 v2, 0
.LBB24_124:                             ;   in Loop: Header=BB24_14 Depth=1
	s_or_b64 exec, exec, s[34:35]
	s_movk_i32 s34, 0x47
	v_cmp_gt_i32_e32 vcc, s34, v2
	s_mov_b64 s[34:35], -1
	s_and_saveexec_b64 s[38:39], vcc
; %bb.125:                              ;   in Loop: Header=BB24_14 Depth=1
	v_cmp_eq_u32_e32 vcc, 0, v2
	s_orn2_b64 s[34:35], vcc, exec
; %bb.126:                              ;   in Loop: Header=BB24_14 Depth=1
	s_or_b64 exec, exec, s[38:39]
	s_and_b64 exec, exec, s[34:35]
	s_cbranch_execz .LBB24_169
; %bb.127:                              ;   in Loop: Header=BB24_14 Depth=1
	v_add_u32_e32 v1, s77, v155
	v_cmp_gt_i32_e32 vcc, s72, v1
	v_mov_b32_e32 v2, 0x47
	s_and_saveexec_b64 s[34:35], vcc
	s_cbranch_execz .LBB24_129
; %bb.128:                              ;   in Loop: Header=BB24_14 Depth=1
	v_add_u32_e32 v4, v140, v181
	ds_read2st64_b32 v[4:5], v4 offset1:17
	v_add_u32_e32 v2, 0, v181
	ds_read2st64_b32 v[2:3], v2 offset0:1 offset1:18
	v_readlane_b32 s38, v240, 61
	s_waitcnt lgkmcnt(1)
	v_cvt_f32_f16_e32 v8, v4
	v_cvt_f32_f16_sdwa v9, v4 dst_sel:DWORD dst_unused:UNUSED_PAD src0_sel:WORD_1
	v_cvt_f32_f16_e32 v4, v5
	v_cvt_f32_f16_sdwa v5, v5 dst_sel:DWORD dst_unused:UNUSED_PAD src0_sel:WORD_1
	v_mad_u64_u32 v[6:7], s[38:39], s38, v1, v[46:47]
	v_readlane_b32 s38, v239, 18
	v_ashrrev_i32_e32 v7, 31, v6
	v_readlane_b32 s39, v239, 19
	s_waitcnt lgkmcnt(0)
	v_pk_fma_f32 v[8:9], v[2:3], v[8:9], 0 op_sel_hi:[0,1,0]
	v_mov_b32_e32 v2, v3
	v_lshl_add_u64 v[6:7], v[6:7], 3, s[38:39]
	v_pk_fma_f32 v[2:3], v[2:3], v[4:5], v[8:9] op_sel_hi:[0,1,1]
	global_store_dwordx2 v[6:7], v[2:3], off
	v_mov_b32_e32 v2, 0
.LBB24_129:                             ;   in Loop: Header=BB24_14 Depth=1
	s_or_b64 exec, exec, s[34:35]
	s_movk_i32 s34, 0x47
	v_cmp_gt_i32_e32 vcc, s34, v2
	s_mov_b64 s[34:35], -1
	s_and_saveexec_b64 s[38:39], vcc
; %bb.130:                              ;   in Loop: Header=BB24_14 Depth=1
	v_cmp_eq_u32_e32 vcc, 0, v2
	s_orn2_b64 s[34:35], vcc, exec
; %bb.131:                              ;   in Loop: Header=BB24_14 Depth=1
	s_or_b64 exec, exec, s[38:39]
	s_and_b64 exec, exec, s[34:35]
	s_cbranch_execz .LBB24_169
; %bb.132:                              ;   in Loop: Header=BB24_14 Depth=1
	v_add_u32_e32 v1, s77, v156
	v_cmp_gt_i32_e32 vcc, s72, v1
	v_mov_b32_e32 v2, 0x47
	s_and_saveexec_b64 s[34:35], vcc
	s_cbranch_execz .LBB24_134
; %bb.133:                              ;   in Loop: Header=BB24_14 Depth=1
	v_add_u32_e32 v4, v140, v182
	ds_read2st64_b32 v[4:5], v4 offset1:17
	v_add_u32_e32 v2, 0, v182
	ds_read2st64_b32 v[2:3], v2 offset0:1 offset1:18
	v_readlane_b32 s38, v240, 61
	s_waitcnt lgkmcnt(1)
	v_cvt_f32_f16_e32 v8, v4
	v_cvt_f32_f16_sdwa v9, v4 dst_sel:DWORD dst_unused:UNUSED_PAD src0_sel:WORD_1
	v_cvt_f32_f16_e32 v4, v5
	v_cvt_f32_f16_sdwa v5, v5 dst_sel:DWORD dst_unused:UNUSED_PAD src0_sel:WORD_1
	v_mad_u64_u32 v[6:7], s[38:39], s38, v1, v[46:47]
	v_readlane_b32 s38, v239, 18
	v_ashrrev_i32_e32 v7, 31, v6
	v_readlane_b32 s39, v239, 19
	s_waitcnt lgkmcnt(0)
	v_pk_fma_f32 v[8:9], v[2:3], v[8:9], 0 op_sel_hi:[0,1,0]
	v_mov_b32_e32 v2, v3
	v_lshl_add_u64 v[6:7], v[6:7], 3, s[38:39]
	v_pk_fma_f32 v[2:3], v[2:3], v[4:5], v[8:9] op_sel_hi:[0,1,1]
	global_store_dwordx2 v[6:7], v[2:3], off
	v_mov_b32_e32 v2, 0
.LBB24_134:                             ;   in Loop: Header=BB24_14 Depth=1
	s_or_b64 exec, exec, s[34:35]
	s_movk_i32 s34, 0x47
	v_cmp_gt_i32_e32 vcc, s34, v2
	s_mov_b64 s[34:35], -1
	s_and_saveexec_b64 s[38:39], vcc
; %bb.135:                              ;   in Loop: Header=BB24_14 Depth=1
	v_cmp_eq_u32_e32 vcc, 0, v2
	s_orn2_b64 s[34:35], vcc, exec
; %bb.136:                              ;   in Loop: Header=BB24_14 Depth=1
	s_or_b64 exec, exec, s[38:39]
	s_and_b64 exec, exec, s[34:35]
	s_cbranch_execz .LBB24_169
; %bb.137:                              ;   in Loop: Header=BB24_14 Depth=1
	v_add_u32_e32 v1, s77, v157
	v_cmp_gt_i32_e32 vcc, s72, v1
	v_mov_b32_e32 v2, 0x47
	s_and_saveexec_b64 s[34:35], vcc
	s_cbranch_execz .LBB24_139
; %bb.138:                              ;   in Loop: Header=BB24_14 Depth=1
	v_add_u32_e32 v4, v140, v183
	ds_read2st64_b32 v[4:5], v4 offset1:17
	v_add_u32_e32 v2, 0, v183
	ds_read2st64_b32 v[2:3], v2 offset0:1 offset1:18
	v_readlane_b32 s38, v240, 61
	s_waitcnt lgkmcnt(1)
	v_cvt_f32_f16_e32 v8, v4
	v_cvt_f32_f16_sdwa v9, v4 dst_sel:DWORD dst_unused:UNUSED_PAD src0_sel:WORD_1
	v_cvt_f32_f16_e32 v4, v5
	v_cvt_f32_f16_sdwa v5, v5 dst_sel:DWORD dst_unused:UNUSED_PAD src0_sel:WORD_1
	v_mad_u64_u32 v[6:7], s[38:39], s38, v1, v[46:47]
	v_readlane_b32 s38, v239, 18
	v_ashrrev_i32_e32 v7, 31, v6
	v_readlane_b32 s39, v239, 19
	s_waitcnt lgkmcnt(0)
	v_pk_fma_f32 v[8:9], v[2:3], v[8:9], 0 op_sel_hi:[0,1,0]
	v_mov_b32_e32 v2, v3
	v_lshl_add_u64 v[6:7], v[6:7], 3, s[38:39]
	v_pk_fma_f32 v[2:3], v[2:3], v[4:5], v[8:9] op_sel_hi:[0,1,1]
	global_store_dwordx2 v[6:7], v[2:3], off
	v_mov_b32_e32 v2, 0
.LBB24_139:                             ;   in Loop: Header=BB24_14 Depth=1
	s_or_b64 exec, exec, s[34:35]
	s_movk_i32 s34, 0x47
	v_cmp_gt_i32_e32 vcc, s34, v2
	s_mov_b64 s[34:35], -1
	s_and_saveexec_b64 s[38:39], vcc
; %bb.140:                              ;   in Loop: Header=BB24_14 Depth=1
	v_cmp_eq_u32_e32 vcc, 0, v2
	s_orn2_b64 s[34:35], vcc, exec
; %bb.141:                              ;   in Loop: Header=BB24_14 Depth=1
	s_or_b64 exec, exec, s[38:39]
	s_and_b64 exec, exec, s[34:35]
	s_cbranch_execz .LBB24_169
; %bb.142:                              ;   in Loop: Header=BB24_14 Depth=1
	v_add_u32_e32 v1, s77, v158
	v_cmp_gt_i32_e32 vcc, s72, v1
	v_mov_b32_e32 v2, 0x47
	s_and_saveexec_b64 s[34:35], vcc
	s_cbranch_execz .LBB24_144
; %bb.143:                              ;   in Loop: Header=BB24_14 Depth=1
	v_add_u32_e32 v4, v140, v184
	ds_read2st64_b32 v[4:5], v4 offset1:17
	v_add_u32_e32 v2, 0, v184
	ds_read2st64_b32 v[2:3], v2 offset0:1 offset1:18
	v_readlane_b32 s38, v240, 61
	s_waitcnt lgkmcnt(1)
	v_cvt_f32_f16_e32 v8, v4
	v_cvt_f32_f16_sdwa v9, v4 dst_sel:DWORD dst_unused:UNUSED_PAD src0_sel:WORD_1
	v_cvt_f32_f16_e32 v4, v5
	v_cvt_f32_f16_sdwa v5, v5 dst_sel:DWORD dst_unused:UNUSED_PAD src0_sel:WORD_1
	v_mad_u64_u32 v[6:7], s[38:39], s38, v1, v[46:47]
	v_readlane_b32 s38, v239, 18
	v_ashrrev_i32_e32 v7, 31, v6
	v_readlane_b32 s39, v239, 19
	s_waitcnt lgkmcnt(0)
	v_pk_fma_f32 v[8:9], v[2:3], v[8:9], 0 op_sel_hi:[0,1,0]
	v_mov_b32_e32 v2, v3
	v_lshl_add_u64 v[6:7], v[6:7], 3, s[38:39]
	v_pk_fma_f32 v[2:3], v[2:3], v[4:5], v[8:9] op_sel_hi:[0,1,1]
	global_store_dwordx2 v[6:7], v[2:3], off
	v_mov_b32_e32 v2, 0
.LBB24_144:                             ;   in Loop: Header=BB24_14 Depth=1
	s_or_b64 exec, exec, s[34:35]
	s_movk_i32 s34, 0x47
	v_cmp_gt_i32_e32 vcc, s34, v2
	s_mov_b64 s[34:35], -1
	s_and_saveexec_b64 s[38:39], vcc
; %bb.145:                              ;   in Loop: Header=BB24_14 Depth=1
	v_cmp_eq_u32_e32 vcc, 0, v2
	s_orn2_b64 s[34:35], vcc, exec
; %bb.146:                              ;   in Loop: Header=BB24_14 Depth=1
	s_or_b64 exec, exec, s[38:39]
	s_and_b64 exec, exec, s[34:35]
	s_cbranch_execz .LBB24_169
; %bb.147:                              ;   in Loop: Header=BB24_14 Depth=1
	v_add_u32_e32 v1, s77, v159
	v_cmp_gt_i32_e32 vcc, s72, v1
	v_mov_b32_e32 v2, 0x47
	s_and_saveexec_b64 s[34:35], vcc
	s_cbranch_execz .LBB24_149
; %bb.148:                              ;   in Loop: Header=BB24_14 Depth=1
	v_add_u32_e32 v4, v140, v185
	ds_read2st64_b32 v[4:5], v4 offset1:17
	v_add_u32_e32 v2, 0, v185
	ds_read2st64_b32 v[2:3], v2 offset0:1 offset1:18
	v_readlane_b32 s38, v240, 61
	s_waitcnt lgkmcnt(1)
	v_cvt_f32_f16_e32 v8, v4
	v_cvt_f32_f16_sdwa v9, v4 dst_sel:DWORD dst_unused:UNUSED_PAD src0_sel:WORD_1
	v_cvt_f32_f16_e32 v4, v5
	v_cvt_f32_f16_sdwa v5, v5 dst_sel:DWORD dst_unused:UNUSED_PAD src0_sel:WORD_1
	v_mad_u64_u32 v[6:7], s[38:39], s38, v1, v[46:47]
	v_readlane_b32 s38, v239, 18
	v_ashrrev_i32_e32 v7, 31, v6
	v_readlane_b32 s39, v239, 19
	s_waitcnt lgkmcnt(0)
	v_pk_fma_f32 v[8:9], v[2:3], v[8:9], 0 op_sel_hi:[0,1,0]
	v_mov_b32_e32 v2, v3
	v_lshl_add_u64 v[6:7], v[6:7], 3, s[38:39]
	v_pk_fma_f32 v[2:3], v[2:3], v[4:5], v[8:9] op_sel_hi:[0,1,1]
	global_store_dwordx2 v[6:7], v[2:3], off
	v_mov_b32_e32 v2, 0
.LBB24_149:                             ;   in Loop: Header=BB24_14 Depth=1
	s_or_b64 exec, exec, s[34:35]
	s_movk_i32 s34, 0x47
	v_cmp_gt_i32_e32 vcc, s34, v2
	s_mov_b64 s[34:35], -1
	s_and_saveexec_b64 s[38:39], vcc
; %bb.150:                              ;   in Loop: Header=BB24_14 Depth=1
	v_cmp_eq_u32_e32 vcc, 0, v2
	s_orn2_b64 s[34:35], vcc, exec
; %bb.151:                              ;   in Loop: Header=BB24_14 Depth=1
	s_or_b64 exec, exec, s[38:39]
	s_and_b64 exec, exec, s[34:35]
	s_cbranch_execz .LBB24_169
; %bb.152:                              ;   in Loop: Header=BB24_14 Depth=1
	v_add_u32_e32 v1, s77, v160
	v_cmp_gt_i32_e32 vcc, s72, v1
	v_mov_b32_e32 v2, 0x47
	s_and_saveexec_b64 s[34:35], vcc
	s_cbranch_execz .LBB24_154
; %bb.153:                              ;   in Loop: Header=BB24_14 Depth=1
	v_add_u32_e32 v4, v140, v186
	ds_read2st64_b32 v[4:5], v4 offset1:17
	v_add_u32_e32 v2, 0, v186
	ds_read2st64_b32 v[2:3], v2 offset0:1 offset1:18
	v_readlane_b32 s38, v240, 61
	s_waitcnt lgkmcnt(1)
	v_cvt_f32_f16_e32 v8, v4
	v_cvt_f32_f16_sdwa v9, v4 dst_sel:DWORD dst_unused:UNUSED_PAD src0_sel:WORD_1
	v_cvt_f32_f16_e32 v4, v5
	v_cvt_f32_f16_sdwa v5, v5 dst_sel:DWORD dst_unused:UNUSED_PAD src0_sel:WORD_1
	v_mad_u64_u32 v[6:7], s[38:39], s38, v1, v[46:47]
	v_readlane_b32 s38, v239, 18
	v_ashrrev_i32_e32 v7, 31, v6
	v_readlane_b32 s39, v239, 19
	s_waitcnt lgkmcnt(0)
	v_pk_fma_f32 v[8:9], v[2:3], v[8:9], 0 op_sel_hi:[0,1,0]
	v_mov_b32_e32 v2, v3
	v_lshl_add_u64 v[6:7], v[6:7], 3, s[38:39]
	v_pk_fma_f32 v[2:3], v[2:3], v[4:5], v[8:9] op_sel_hi:[0,1,1]
	global_store_dwordx2 v[6:7], v[2:3], off
	v_mov_b32_e32 v2, 0
.LBB24_154:                             ;   in Loop: Header=BB24_14 Depth=1
	s_or_b64 exec, exec, s[34:35]
	s_movk_i32 s34, 0x47
	v_cmp_gt_i32_e32 vcc, s34, v2
	s_mov_b64 s[34:35], -1
	s_and_saveexec_b64 s[38:39], vcc
; %bb.155:                              ;   in Loop: Header=BB24_14 Depth=1
	v_cmp_eq_u32_e32 vcc, 0, v2
	s_orn2_b64 s[34:35], vcc, exec
; %bb.156:                              ;   in Loop: Header=BB24_14 Depth=1
	s_or_b64 exec, exec, s[38:39]
	s_and_b64 exec, exec, s[34:35]
	s_cbranch_execz .LBB24_169
; %bb.157:                              ;   in Loop: Header=BB24_14 Depth=1
	v_add_u32_e32 v1, s77, v161
	v_cmp_gt_i32_e32 vcc, s72, v1
	v_mov_b32_e32 v2, 0x47
	s_and_saveexec_b64 s[34:35], vcc
	s_cbranch_execz .LBB24_159
; %bb.158:                              ;   in Loop: Header=BB24_14 Depth=1
	v_add_u32_e32 v4, v140, v187
	ds_read2st64_b32 v[4:5], v4 offset1:17
	v_add_u32_e32 v2, 0, v187
	ds_read2st64_b32 v[2:3], v2 offset0:1 offset1:18
	v_readlane_b32 s38, v240, 61
	s_waitcnt lgkmcnt(1)
	v_cvt_f32_f16_e32 v8, v4
	v_cvt_f32_f16_sdwa v9, v4 dst_sel:DWORD dst_unused:UNUSED_PAD src0_sel:WORD_1
	v_cvt_f32_f16_e32 v4, v5
	v_cvt_f32_f16_sdwa v5, v5 dst_sel:DWORD dst_unused:UNUSED_PAD src0_sel:WORD_1
	v_mad_u64_u32 v[6:7], s[38:39], s38, v1, v[46:47]
	v_readlane_b32 s38, v239, 18
	v_ashrrev_i32_e32 v7, 31, v6
	v_readlane_b32 s39, v239, 19
	s_waitcnt lgkmcnt(0)
	v_pk_fma_f32 v[8:9], v[2:3], v[8:9], 0 op_sel_hi:[0,1,0]
	v_mov_b32_e32 v2, v3
	v_lshl_add_u64 v[6:7], v[6:7], 3, s[38:39]
	v_pk_fma_f32 v[2:3], v[2:3], v[4:5], v[8:9] op_sel_hi:[0,1,1]
	global_store_dwordx2 v[6:7], v[2:3], off
	v_mov_b32_e32 v2, 0
.LBB24_159:                             ;   in Loop: Header=BB24_14 Depth=1
	s_or_b64 exec, exec, s[34:35]
	s_movk_i32 s34, 0x47
	v_cmp_gt_i32_e32 vcc, s34, v2
	s_mov_b64 s[34:35], -1
	s_and_saveexec_b64 s[38:39], vcc
; %bb.160:                              ;   in Loop: Header=BB24_14 Depth=1
	v_cmp_eq_u32_e32 vcc, 0, v2
	s_orn2_b64 s[34:35], vcc, exec
; %bb.161:                              ;   in Loop: Header=BB24_14 Depth=1
	s_or_b64 exec, exec, s[38:39]
	s_and_b64 exec, exec, s[34:35]
	s_cbranch_execz .LBB24_169
; %bb.162:                              ;   in Loop: Header=BB24_14 Depth=1
	v_add_u32_e32 v1, s77, v162
	v_cmp_gt_i32_e32 vcc, s72, v1
	v_mov_b32_e32 v2, 0x47
	s_and_saveexec_b64 s[34:35], vcc
	s_cbranch_execz .LBB24_164
; %bb.163:                              ;   in Loop: Header=BB24_14 Depth=1
	v_add_u32_e32 v4, v140, v188
	ds_read2st64_b32 v[4:5], v4 offset1:17
	v_add_u32_e32 v2, 0, v188
	ds_read2st64_b32 v[2:3], v2 offset0:1 offset1:18
	v_readlane_b32 s38, v240, 61
	s_waitcnt lgkmcnt(1)
	v_cvt_f32_f16_e32 v8, v4
	v_cvt_f32_f16_sdwa v9, v4 dst_sel:DWORD dst_unused:UNUSED_PAD src0_sel:WORD_1
	v_cvt_f32_f16_e32 v4, v5
	v_cvt_f32_f16_sdwa v5, v5 dst_sel:DWORD dst_unused:UNUSED_PAD src0_sel:WORD_1
	v_mad_u64_u32 v[6:7], s[38:39], s38, v1, v[46:47]
	v_readlane_b32 s38, v239, 18
	v_ashrrev_i32_e32 v7, 31, v6
	v_readlane_b32 s39, v239, 19
	s_waitcnt lgkmcnt(0)
	v_pk_fma_f32 v[8:9], v[2:3], v[8:9], 0 op_sel_hi:[0,1,0]
	v_mov_b32_e32 v2, v3
	v_lshl_add_u64 v[6:7], v[6:7], 3, s[38:39]
	v_pk_fma_f32 v[2:3], v[2:3], v[4:5], v[8:9] op_sel_hi:[0,1,1]
	global_store_dwordx2 v[6:7], v[2:3], off
	v_mov_b32_e32 v2, 0
.LBB24_164:                             ;   in Loop: Header=BB24_14 Depth=1
	s_or_b64 exec, exec, s[34:35]
	s_movk_i32 s34, 0x47
	v_cmp_gt_i32_e32 vcc, s34, v2
	s_mov_b64 s[34:35], -1
	s_and_saveexec_b64 s[38:39], vcc
; %bb.165:                              ;   in Loop: Header=BB24_14 Depth=1
	v_cmp_eq_u32_e32 vcc, 0, v2
	s_orn2_b64 s[34:35], vcc, exec
; %bb.166:                              ;   in Loop: Header=BB24_14 Depth=1
	s_or_b64 exec, exec, s[38:39]
	s_and_b64 exec, exec, s[34:35]
	s_cbranch_execz .LBB24_169
; %bb.167:                              ;   in Loop: Header=BB24_14 Depth=1
	v_add_u32_e32 v1, s77, v163
	v_cmp_gt_i32_e32 vcc, s72, v1
	s_and_b64 exec, exec, vcc
	s_cbranch_execz .LBB24_169
; %bb.168:                              ;   in Loop: Header=BB24_14 Depth=1
	v_add_u32_e32 v4, v140, v189
	ds_read2st64_b32 v[4:5], v4 offset1:17
	v_add_u32_e32 v2, 0, v189
	ds_read2st64_b32 v[2:3], v2 offset0:1 offset1:18
	v_readlane_b32 s34, v240, 61
	s_waitcnt lgkmcnt(1)
	v_cvt_f32_f16_e32 v8, v4
	v_cvt_f32_f16_sdwa v9, v4 dst_sel:DWORD dst_unused:UNUSED_PAD src0_sel:WORD_1
	v_cvt_f32_f16_e32 v4, v5
	v_cvt_f32_f16_sdwa v5, v5 dst_sel:DWORD dst_unused:UNUSED_PAD src0_sel:WORD_1
	v_mad_u64_u32 v[6:7], s[34:35], s34, v1, v[46:47]
	v_readlane_b32 s34, v239, 18
	v_ashrrev_i32_e32 v7, 31, v6
	v_readlane_b32 s35, v239, 19
	s_waitcnt lgkmcnt(0)
	v_pk_fma_f32 v[8:9], v[2:3], v[8:9], 0 op_sel_hi:[0,1,0]
	v_mov_b32_e32 v2, v3
	v_lshl_add_u64 v[6:7], v[6:7], 3, s[34:35]
	v_pk_fma_f32 v[2:3], v[2:3], v[4:5], v[8:9] op_sel_hi:[0,1,1]
	global_store_dwordx2 v[6:7], v[2:3], off
.LBB24_169:                             ;   in Loop: Header=BB24_14 Depth=1
	s_or_b64 exec, exec, s[36:37]
	s_barrier
	s_branch .LBB24_13
.LBB24_170:                             ;   in Loop: Header=BB24_14 Depth=1
	s_lshl_b32 s76, s76, 5
	v_add_u32_e32 v216, s76, v130
	v_cmp_le_i32_e32 vcc, s72, v216
	s_and_saveexec_b64 s[34:35], vcc
	s_xor_b64 s[34:35], exec, s[34:35]
; %bb.171:                              ;   in Loop: Header=BB24_14 Depth=1
	v_add_u32_e32 v1, v140, v209
	ds_write_b32 v1, v49
; %bb.172:                              ;   in Loop: Header=BB24_14 Depth=1
	s_andn2_saveexec_b64 s[34:35], s[34:35]
	s_cbranch_execz .LBB24_174
; %bb.173:                              ;   in Loop: Header=BB24_14 Depth=1
	v_mad_u64_u32 v[2:3], s[36:37], v216, s81, v[46:47]
	v_ashrrev_i32_e32 v3, 31, v2
	v_lshl_add_u64 v[2:3], v[2:3], 3, s[54:55]
	global_load_dwordx2 v[2:3], v[2:3], off
	s_waitcnt vmcnt(0)
	v_cvt_pk_f16_f32 v1, v2, v3
	v_pk_mul_f16 v1, v1, v190
	v_add_u32_e32 v2, v140, v209
	ds_write_b32 v2, v1
.LBB24_174:                             ;   in Loop: Header=BB24_14 Depth=1
	s_or_b64 exec, exec, s[34:35]
	v_add_u32_e32 v218, s76, v138
	v_cmp_le_i32_e32 vcc, s72, v218
	s_and_saveexec_b64 s[34:35], vcc
	s_xor_b64 s[34:35], exec, s[34:35]
; %bb.175:                              ;   in Loop: Header=BB24_14 Depth=1
	v_add_u32_e32 v1, v140, v209
	ds_write_b32 v1, v49 offset:1088
; %bb.176:                              ;   in Loop: Header=BB24_14 Depth=1
	s_andn2_saveexec_b64 s[34:35], s[34:35]
	s_cbranch_execz .LBB24_178
; %bb.177:                              ;   in Loop: Header=BB24_14 Depth=1
	v_mad_u64_u32 v[2:3], s[36:37], v218, s81, v[46:47]
	v_ashrrev_i32_e32 v3, 31, v2
	v_lshl_add_u64 v[2:3], v[2:3], 3, s[54:55]
	global_load_dwordx2 v[2:3], v[2:3], off
	s_waitcnt vmcnt(0)
	v_cvt_pk_f16_f32 v1, v2, v3
	v_pk_mul_f16 v1, v1, v190
	v_add_u32_e32 v2, v140, v209
	ds_write_b32 v2, v1 offset:1088
.LBB24_178:                             ;   in Loop: Header=BB24_14 Depth=1
	s_or_b64 exec, exec, s[34:35]
	v_add_u32_e32 v220, s76, v137
	v_cmp_le_i32_e32 vcc, s72, v220
	s_and_saveexec_b64 s[34:35], vcc
	s_xor_b64 s[34:35], exec, s[34:35]
; %bb.179:                              ;   in Loop: Header=BB24_14 Depth=1
	v_add_u32_e32 v1, v140, v209
	ds_write_b32 v1, v49 offset:2176
; %bb.180:                              ;   in Loop: Header=BB24_14 Depth=1
	s_andn2_saveexec_b64 s[34:35], s[34:35]
	s_cbranch_execz .LBB24_182
; %bb.181:                              ;   in Loop: Header=BB24_14 Depth=1
	v_mad_u64_u32 v[2:3], s[36:37], v220, s81, v[46:47]
	v_ashrrev_i32_e32 v3, 31, v2
	v_lshl_add_u64 v[2:3], v[2:3], 3, s[54:55]
	global_load_dwordx2 v[2:3], v[2:3], off
	s_waitcnt vmcnt(0)
	v_cvt_pk_f16_f32 v1, v2, v3
	v_pk_mul_f16 v1, v1, v190
	v_add_u32_e32 v2, v140, v209
	ds_write_b32 v2, v1 offset:2176
.LBB24_182:                             ;   in Loop: Header=BB24_14 Depth=1
	s_or_b64 exec, exec, s[34:35]
	v_add_u32_e32 v223, s76, v136
	v_cmp_le_i32_e32 vcc, s72, v223
	s_and_saveexec_b64 s[34:35], vcc
	s_xor_b64 s[34:35], exec, s[34:35]
; %bb.183:                              ;   in Loop: Header=BB24_14 Depth=1
	v_add_u32_e32 v1, v140, v209
	ds_write_b32 v1, v49 offset:3264
; %bb.184:                              ;   in Loop: Header=BB24_14 Depth=1
	s_andn2_saveexec_b64 s[34:35], s[34:35]
	s_cbranch_execz .LBB24_186
; %bb.185:                              ;   in Loop: Header=BB24_14 Depth=1
	v_mad_u64_u32 v[2:3], s[36:37], v223, s81, v[46:47]
	v_ashrrev_i32_e32 v3, 31, v2
	v_lshl_add_u64 v[2:3], v[2:3], 3, s[54:55]
	global_load_dwordx2 v[2:3], v[2:3], off
	s_waitcnt vmcnt(0)
	v_cvt_pk_f16_f32 v1, v2, v3
	v_pk_mul_f16 v1, v1, v190
	v_add_u32_e32 v2, v140, v209
	ds_write_b32 v2, v1 offset:3264
.LBB24_186:                             ;   in Loop: Header=BB24_14 Depth=1
	s_or_b64 exec, exec, s[34:35]
	v_add_u32_e32 v217, s76, v135
	v_cmp_le_i32_e32 vcc, s72, v217
	s_and_saveexec_b64 s[34:35], vcc
	s_xor_b64 s[34:35], exec, s[34:35]
; %bb.187:                              ;   in Loop: Header=BB24_14 Depth=1
	v_add_u32_e32 v1, v140, v209
	ds_write_b32 v1, v49 offset:4352
; %bb.188:                              ;   in Loop: Header=BB24_14 Depth=1
	s_andn2_saveexec_b64 s[34:35], s[34:35]
	s_cbranch_execz .LBB24_190
; %bb.189:                              ;   in Loop: Header=BB24_14 Depth=1
	v_mad_u64_u32 v[2:3], s[36:37], v217, s81, v[46:47]
	v_ashrrev_i32_e32 v3, 31, v2
	v_lshl_add_u64 v[2:3], v[2:3], 3, s[54:55]
	global_load_dwordx2 v[2:3], v[2:3], off
	s_waitcnt vmcnt(0)
	v_cvt_pk_f16_f32 v1, v2, v3
	v_pk_mul_f16 v1, v1, v190
	v_add_u32_e32 v2, v140, v209
	ds_write_b32 v2, v1 offset:4352
.LBB24_190:                             ;   in Loop: Header=BB24_14 Depth=1
	s_or_b64 exec, exec, s[34:35]
	v_add_u32_e32 v219, s76, v134
	v_cmp_le_i32_e32 vcc, s72, v219
	s_and_saveexec_b64 s[34:35], vcc
	s_xor_b64 s[34:35], exec, s[34:35]
; %bb.191:                              ;   in Loop: Header=BB24_14 Depth=1
	v_add_u32_e32 v1, v140, v209
	ds_write_b32 v1, v49 offset:5440
; %bb.192:                              ;   in Loop: Header=BB24_14 Depth=1
	s_andn2_saveexec_b64 s[34:35], s[34:35]
	s_cbranch_execz .LBB24_194
; %bb.193:                              ;   in Loop: Header=BB24_14 Depth=1
	v_mad_u64_u32 v[2:3], s[36:37], v219, s81, v[46:47]
	v_ashrrev_i32_e32 v3, 31, v2
	v_lshl_add_u64 v[2:3], v[2:3], 3, s[54:55]
	global_load_dwordx2 v[2:3], v[2:3], off
	s_waitcnt vmcnt(0)
	v_cvt_pk_f16_f32 v1, v2, v3
	v_pk_mul_f16 v1, v1, v190
	v_add_u32_e32 v2, v140, v209
	ds_write_b32 v2, v1 offset:5440
.LBB24_194:                             ;   in Loop: Header=BB24_14 Depth=1
	s_or_b64 exec, exec, s[34:35]
	v_add_u32_e32 v221, s76, v53
	v_cmp_le_i32_e32 vcc, s72, v221
	s_and_saveexec_b64 s[34:35], vcc
	s_xor_b64 s[34:35], exec, s[34:35]
; %bb.195:                              ;   in Loop: Header=BB24_14 Depth=1
	v_add_u32_e32 v1, v140, v209
	ds_write_b32 v1, v49 offset:6528
; %bb.196:                              ;   in Loop: Header=BB24_14 Depth=1
	s_andn2_saveexec_b64 s[34:35], s[34:35]
	s_cbranch_execz .LBB24_198
; %bb.197:                              ;   in Loop: Header=BB24_14 Depth=1
	v_mad_u64_u32 v[2:3], s[36:37], v221, s81, v[46:47]
	v_ashrrev_i32_e32 v3, 31, v2
	v_lshl_add_u64 v[2:3], v[2:3], 3, s[54:55]
	global_load_dwordx2 v[2:3], v[2:3], off
	s_waitcnt vmcnt(0)
	v_cvt_pk_f16_f32 v1, v2, v3
	v_pk_mul_f16 v1, v1, v190
	v_add_u32_e32 v2, v140, v209
	ds_write_b32 v2, v1 offset:6528
.LBB24_198:                             ;   in Loop: Header=BB24_14 Depth=1
	s_or_b64 exec, exec, s[34:35]
	v_add_u32_e32 v224, s76, v47
	v_cmp_le_i32_e32 vcc, s72, v224
	s_and_saveexec_b64 s[34:35], vcc
	s_xor_b64 s[34:35], exec, s[34:35]
; %bb.199:                              ;   in Loop: Header=BB24_14 Depth=1
	v_add_u32_e32 v1, v140, v209
	ds_write_b32 v1, v49 offset:7616
; %bb.200:                              ;   in Loop: Header=BB24_14 Depth=1
	s_andn2_saveexec_b64 s[34:35], s[34:35]
	s_cbranch_execz .LBB24_202
; %bb.201:                              ;   in Loop: Header=BB24_14 Depth=1
	v_mad_u64_u32 v[2:3], s[36:37], v224, s81, v[46:47]
	v_ashrrev_i32_e32 v3, 31, v2
	v_lshl_add_u64 v[2:3], v[2:3], 3, s[54:55]
	global_load_dwordx2 v[2:3], v[2:3], off
	s_waitcnt vmcnt(0)
	v_cvt_pk_f16_f32 v1, v2, v3
	v_pk_mul_f16 v1, v1, v190
	v_add_u32_e32 v2, v140, v209
	ds_write_b32 v2, v1 offset:7616
.LBB24_202:                             ;   in Loop: Header=BB24_14 Depth=1
	s_or_b64 exec, exec, s[34:35]
	s_waitcnt lgkmcnt(0)
	s_barrier
	ds_read2_b64 v[14:17], v166 offset1:4
	ds_read2_b64 v[10:13], v166 offset0:8 offset1:12
	ds_read2_b64 v[6:9], v166 offset0:16 offset1:20
	;; [unrolled: 1-line block ×3, first 2 shown]
	s_cmp_lt_i32 s90, 2
	s_waitcnt lgkmcnt(0)
	s_barrier
	s_cbranch_scc1 .LBB24_213
; %bb.203:                              ;   in Loop: Header=BB24_14 Depth=1
	v_mul_hi_u32 v18, s88, v218
	v_add_u32_e32 v18, v218, v18
	v_lshrrev_b32_e32 v18, s89, v18
	v_mul_lo_u32 v18, v18, s72
	v_sub_u32_e32 v20, v218, v18
	v_mul_hi_u32 v18, s88, v220
	v_add_u32_e32 v18, v220, v18
	v_lshrrev_b32_e32 v18, s89, v18
	v_mul_lo_u32 v18, v18, s72
	v_sub_u32_e32 v21, v220, v18
	;; [unrolled: 5-line block ×7, first 2 shown]
	v_and_b32_e32 v18, 64, v214
	v_add_u32_e32 v18, 64, v18
	v_xor_b32_e32 v19, 32, v214
	v_cmp_lt_i32_e32 vcc, v19, v18
	v_mul_hi_u32 v1, s88, v216
	v_add_u32_e32 v1, v216, v1
	v_cndmask_b32_e32 v19, v214, v19, vcc
	v_lshlrev_b32_e32 v48, 2, v19
	v_xor_b32_e32 v19, 16, v214
	v_lshrrev_b32_e32 v1, s89, v1
	v_cmp_lt_i32_e32 vcc, v19, v18
	v_mul_lo_u32 v1, v1, s72
	v_readlane_b32 s34, v239, 15
	v_cndmask_b32_e32 v18, v214, v19, vcc
	v_sub_u32_e32 v1, v216, v1
	v_lshlrev_b32_e32 v225, 2, v18
	v_mov_b64_e32 v[18:19], s[2:3]
	v_readlane_b32 s35, v239, 16
	s_mov_b32 s36, s34
	s_add_i32 s40, s90, -1
	v_mad_i64_i32 v[94:95], s[34:35], s36, v1, v[18:19]
	v_mad_i64_i32 v[96:97], s[34:35], s36, v20, v[18:19]
	;; [unrolled: 1-line block ×8, first 2 shown]
	s_cmp_lg_u64 s[2:3], 0
	v_readlane_b32 s34, v239, 20
	s_cselect_b64 s[38:39], -1, 0
	s_add_u32 s34, s34, s92
	v_readlane_b32 s35, v239, 21
	v_readlane_b32 s36, v239, 22
	s_addc_u32 s35, s35, s36
	v_lshl_add_u64 v[110:111], v[74:75], 0, s[34:35]
	v_lshl_add_u64 v[112:113], v[76:77], 0, s[34:35]
	;; [unrolled: 1-line block ×4, first 2 shown]
	s_add_u32 s34, s61, s79
	s_addc_u32 s35, s60, s58
	v_mov_b32_e32 v92, v90
	v_mov_b32_e32 v93, v90
	v_lshl_add_u64 v[118:119], v[82:83], 0, s[34:35]
	v_lshl_add_u64 v[120:121], v[84:85], 0, s[34:35]
	;; [unrolled: 1-line block ×4, first 2 shown]
	v_mov_b32_e32 v126, 0
	v_mov_b32_e32 v45, 0xfeffffff
	;; [unrolled: 1-line block ×3, first 2 shown]
	s_mov_b32 s41, s40
	v_mov_b32_e32 v127, 0
	v_mov_b32_e32 v43, 0
	;; [unrolled: 1-line block ×15, first 2 shown]
	v_cndmask_b32_e64 v1, 0, 1, s[38:39]
	v_cmp_ne_u32_e64 s[36:37], 1, v1
	s_andn2_b64 vcc, exec, s[38:39]
	s_cbranch_vccnz .LBB24_209
.LBB24_204:                             ;   in Loop: Header=BB24_14 Depth=1
	s_and_saveexec_b64 s[34:35], s[0:1]
	s_xor_b64 s[34:35], exec, s[34:35]
	s_cbranch_execz .LBB24_206
; %bb.205:                              ;   in Loop: Header=BB24_14 Depth=1
	ds_write_b16 v142, v49 offset:17408
	ds_write_b16 v191, v49 offset:17408
	;; [unrolled: 1-line block ×4, first 2 shown]
.LBB24_206:                             ;   in Loop: Header=BB24_14 Depth=1
	s_or_saveexec_b64 s[34:35], s[34:35]
	v_mov_b32_e32 v1, 0
	v_mov_b32_e32 v18, 0
	;; [unrolled: 1-line block ×4, first 2 shown]
	s_xor_b64 exec, exec, s[34:35]
	s_cbranch_execz .LBB24_208
; %bb.207:                              ;   in Loop: Header=BB24_14 Depth=1
	v_lshl_add_u64 v[18:19], v[94:95], 0, v[50:51]
	global_load_ushort v1, v[18:19], off
	v_lshl_add_u64 v[18:19], v[96:97], 0, v[50:51]
	global_load_ushort v20, v[18:19], off
	;; [unrolled: 2-line block ×4, first 2 shown]
	s_waitcnt vmcnt(3)
	ds_write_b16 v142, v1 offset:17408
	s_waitcnt vmcnt(2)
	ds_write_b16 v191, v20 offset:17408
	;; [unrolled: 2-line block ×4, first 2 shown]
	v_lshl_add_u64 v[18:19], v[102:103], 0, v[50:51]
	global_load_ushort v1, v[18:19], off
	v_lshl_add_u64 v[18:19], v[104:105], 0, v[50:51]
	v_lshl_add_u64 v[20:21], v[106:107], 0, v[50:51]
	global_load_ushort v18, v[18:19], off
	s_nop 0
	global_load_ushort v19, v[20:21], off
	v_lshl_add_u64 v[20:21], v[108:109], 0, v[50:51]
	global_load_ushort v20, v[20:21], off
.LBB24_208:                             ;   in Loop: Header=BB24_14 Depth=1
	s_or_b64 exec, exec, s[34:35]
	s_waitcnt vmcnt(3)
	ds_write_b16 v194, v1 offset:17408
	s_waitcnt vmcnt(2)
	ds_write_b16 v195, v18 offset:17408
	;; [unrolled: 2-line block ×4, first 2 shown]
.LBB24_209:                             ;   Parent Loop BB24_14 Depth=1
                                        ; =>  This Inner Loop Header: Depth=2
	v_mov_b32_e32 v1, s5
	v_lshl_add_u64 v[20:21], v[120:121], 0, v[70:71]
	v_lshl_add_u64 v[18:19], v[118:119], 0, v[70:71]
	v_cndmask_b32_e64 v23, v1, v21, s[8:9]
	v_cndmask_b32_e64 v22, v215, v20, s[8:9]
	v_lshl_add_u64 v[20:21], v[122:123], 0, v[70:71]
	v_cndmask_b32_e64 v19, v1, v19, s[6:7]
	v_cndmask_b32_e64 v18, v215, v18, s[6:7]
	;; [unrolled: 1-line block ×4, first 2 shown]
	v_lshl_add_u64 v[20:21], v[124:125], 0, v[70:71]
	scratch_store_dwordx4 off, v[228:231], off
	v_cndmask_b32_e64 v29, v1, v21, s[12:13]
	v_cndmask_b32_e64 v28, v215, v20, s[12:13]
	flat_load_dwordx4 v[18:21], v[18:19]
	v_add_u32_e32 v1, v141, v165
	s_and_b64 vcc, exec, s[36:37]
	s_waitcnt vmcnt(0) lgkmcnt(0)
	ds_write_b128 v144, v[18:21]
	flat_load_dwordx4 v[18:21], v[22:23]
	s_waitcnt vmcnt(0) lgkmcnt(0)
	ds_write_b128 v199, v[18:21]
	flat_load_dwordx4 v[18:21], v[26:27]
	;; [unrolled: 3-line block ×3, first 2 shown]
	s_waitcnt vmcnt(0) lgkmcnt(0)
	ds_write_b128 v203, v[18:21]
	s_waitcnt lgkmcnt(0)
	s_barrier
	ds_read2_b64 v[18:21], v1 offset1:4
	s_waitcnt lgkmcnt(0)
	v_mfma_f32_16x16x16_f16 v[26:29], v[18:19], v[14:15], 0
	v_mfma_f32_16x16x16_f16 v[18:21], v[20:21], v[16:17], v[26:29]
	s_nop 6
	ds_read2_b64 v[26:29], v1 offset0:8 offset1:12
	s_waitcnt lgkmcnt(0)
	v_mfma_f32_16x16x16_f16 v[18:21], v[26:27], v[10:11], v[18:21]
	v_mfma_f32_16x16x16_f16 v[18:21], v[28:29], v[12:13], v[18:21]
	ds_read2_b64 v[26:29], v1 offset0:16 offset1:20
	s_waitcnt lgkmcnt(0)
	v_mfma_f32_16x16x16_f16 v[18:21], v[26:27], v[6:7], v[18:21]
	v_mfma_f32_16x16x16_f16 v[18:21], v[28:29], v[8:9], v[18:21]
	ds_read2_b64 v[26:29], v1 offset0:24 offset1:28
	v_add_u32_e32 v1, 0x2000, v1
	s_waitcnt lgkmcnt(0)
	v_mfma_f32_16x16x16_f16 v[18:21], v[26:27], v[2:3], v[18:21]
	v_mfma_f32_16x16x16_f16 v[20:23], v[28:29], v[4:5], v[18:21]
	ds_read2_b64 v[26:29], v1 offset0:64 offset1:68
	s_waitcnt lgkmcnt(0)
	v_mfma_f32_16x16x16_f16 v[232:235], v[26:27], v[14:15], 0
	v_mfma_f32_16x16x16_f16 v[26:29], v[28:29], v[16:17], v[232:235]
	s_nop 6
	ds_read2_b64 v[232:235], v1 offset0:72 offset1:76
	s_waitcnt lgkmcnt(0)
	v_mfma_f32_16x16x16_f16 v[26:29], v[232:233], v[10:11], v[26:29]
	v_mfma_f32_16x16x16_f16 v[26:29], v[234:235], v[12:13], v[26:29]
	ds_read2_b64 v[232:235], v1 offset0:80 offset1:84
	s_waitcnt lgkmcnt(0)
	v_mfma_f32_16x16x16_f16 v[26:29], v[232:233], v[6:7], v[26:29]
	v_mfma_f32_16x16x16_f16 v[26:29], v[234:235], v[8:9], v[26:29]
	ds_read2_b64 v[232:235], v1 offset0:88 offset1:92
	s_waitcnt lgkmcnt(0)
	s_barrier
	v_mfma_f32_16x16x16_f16 v[26:29], v[232:233], v[2:3], v[26:29]
	v_mfma_f32_16x16x16_f16 v[26:29], v[234:235], v[4:5], v[26:29]
	s_cbranch_vccnz .LBB24_211
; %bb.210:                              ;   in Loop: Header=BB24_209 Depth=2
	v_add_u32_e32 v1, 0x4400, v167
	ds_read2_b32 v[18:19], v1 offset1:1
	ds_read_b32 v1, v169 offset:17408
	v_mov_b32_e32 v91, v90
	s_waitcnt lgkmcnt(1)
	v_cvt_f32_f16_e32 v128, v18
	v_cvt_f32_f16_sdwa v129, v18 dst_sel:DWORD dst_unused:UNUSED_PAD src0_sel:WORD_1
	v_cvt_f32_f16_e32 v18, v19
	v_cvt_f32_f16_sdwa v19, v19 dst_sel:DWORD dst_unused:UNUSED_PAD src0_sel:WORD_1
	v_pk_fma_f32 v[20:21], v[92:93], v[128:129], v[20:21]
	v_pk_fma_f32 v[22:23], v[90:91], v[18:19], v[22:23]
	s_waitcnt lgkmcnt(0)
	v_cvt_f32_f16_sdwa v19, v1 dst_sel:DWORD dst_unused:UNUSED_PAD src0_sel:WORD_1
	v_cvt_f32_f16_e32 v18, v1
	ds_read_b32 v1, v171 offset:17408
	v_pk_fma_f32 v[26:27], v[92:93], v[18:19], v[26:27]
	s_waitcnt lgkmcnt(0)
	v_cvt_f32_f16_sdwa v129, v1 dst_sel:DWORD dst_unused:UNUSED_PAD src0_sel:WORD_1
	v_cvt_f32_f16_e32 v128, v1
	v_pk_fma_f32 v[28:29], v[90:91], v[128:129], v[28:29]
.LBB24_211:                             ;   in Loop: Header=BB24_209 Depth=2
	v_add_f32_e32 v1, 0x40051340, v20
	v_max_f32_e32 v18, v45, v45
	v_max_f32_e32 v1, v18, v1
	v_cndmask_b32_e64 v1, v45, v1, s[14:15]
	v_add_f32_e32 v18, 0x40051340, v21
	v_max_f32_e32 v19, v1, v1
	v_max_f32_e32 v18, v19, v18
	v_cndmask_b32_e64 v1, v1, v18, s[16:17]
	;; [unrolled: 4-line block ×8, first 2 shown]
	ds_bpermute_b32 v18, v48, v1
	v_max_f32_e32 v1, v1, v1
	scratch_store_dwordx4 off, v[228:231], off
	s_add_i32 s41, s41, -1
	v_lshl_add_u64 v[94:95], v[94:95], 0, s[30:31]
	s_waitcnt lgkmcnt(0)
	v_max_f32_e32 v18, v18, v18
	v_max_f32_e32 v1, v1, v18
	ds_bpermute_b32 v18, v225, v1
	v_lshl_add_u64 v[96:97], v[96:97], 0, s[30:31]
	v_lshl_add_u64 v[98:99], v[98:99], 0, s[30:31]
	v_lshl_add_u64 v[100:101], v[100:101], 0, s[30:31]
	v_lshl_add_u64 v[102:103], v[102:103], 0, s[30:31]
	s_waitcnt lgkmcnt(0)
	v_max_f32_e32 v18, v18, v18
	v_max_f32_e32 v222, v1, v18
	v_sub_f32_e32 v1, v20, v222
	v_mul_f32_e32 v18, 0x3fb8aa3b, v1
	v_fma_f32 v19, v1, s97, -v18
	v_rndne_f32_e32 v20, v18
	v_fmac_f32_e32 v19, 0x32a5705f, v1
	v_sub_f32_e32 v18, v18, v20
	v_add_f32_e32 v18, v18, v19
	v_exp_f32_e32 v18, v18
	v_cvt_i32_f32_e32 v19, v20
	v_cmp_ngt_f32_e32 vcc, s94, v1
	v_lshl_add_u64 v[104:105], v[104:105], 0, s[30:31]
	v_lshl_add_u64 v[106:107], v[106:107], 0, s[30:31]
	v_ldexp_f32 v18, v18, v19
	v_cndmask_b32_e32 v18, 0, v18, vcc
	v_cmp_nlt_f32_e32 vcc, s73, v1
	v_lshl_add_u64 v[108:109], v[108:109], 0, s[30:31]
	v_lshl_add_u64 v[118:119], v[118:119], 0, s[84:85]
	v_cndmask_b32_e32 v1, v212, v18, vcc
	v_cndmask_b32_e64 v20, 0, v1, s[14:15]
	v_sub_f32_e32 v1, v21, v222
	v_mul_f32_e32 v18, 0x3fb8aa3b, v1
	v_fma_f32 v19, v1, s97, -v18
	v_rndne_f32_e32 v21, v18
	v_fmac_f32_e32 v19, 0x32a5705f, v1
	v_sub_f32_e32 v18, v18, v21
	v_add_f32_e32 v18, v18, v19
	v_exp_f32_e32 v18, v18
	v_cvt_i32_f32_e32 v19, v21
	v_cmp_ngt_f32_e32 vcc, s94, v1
	v_lshl_add_u64 v[120:121], v[120:121], 0, s[84:85]
	v_lshl_add_u64 v[122:123], v[122:123], 0, s[84:85]
	v_ldexp_f32 v18, v18, v19
	v_cndmask_b32_e32 v18, 0, v18, vcc
	v_cmp_nlt_f32_e32 vcc, s73, v1
	v_mov_b32_e32 v1, s93
	v_lshl_add_u64 v[124:125], v[124:125], 0, s[84:85]
	v_cndmask_b32_e32 v18, v212, v18, vcc
	v_add_f32_e32 v21, v18, v20
	v_cndmask_b32_e64 v19, v1, v18, s[16:17]
	v_sub_f32_e32 v18, v22, v222
	v_cndmask_b32_e64 v1, v20, v21, s[16:17]
	v_mul_f32_e32 v21, 0x3fb8aa3b, v18
	v_fma_f32 v22, v18, s97, -v21
	v_rndne_f32_e32 v24, v21
	v_fmac_f32_e32 v22, 0x32a5705f, v18
	v_sub_f32_e32 v21, v21, v24
	v_add_f32_e32 v21, v21, v22
	v_exp_f32_e32 v21, v21
	v_cvt_i32_f32_e32 v22, v24
	v_cmp_ngt_f32_e32 vcc, s94, v18
	s_cmp_lg_u32 s41, 0
	v_ldexp_f32 v21, v21, v22
	v_cndmask_b32_e32 v21, 0, v21, vcc
	v_cmp_nlt_f32_e32 vcc, s73, v18
	v_mov_b32_e32 v18, s93
	s_nop 0
	v_cndmask_b32_e32 v21, v212, v21, vcc
	v_cndmask_b32_e64 v24, v18, v21, s[18:19]
	v_sub_f32_e32 v18, v23, v222
	v_add_f32_e32 v22, v1, v21
	v_mul_f32_e32 v21, 0x3fb8aa3b, v18
	v_cndmask_b32_e64 v1, v1, v22, s[18:19]
	v_fma_f32 v22, v18, s97, -v21
	v_rndne_f32_e32 v23, v21
	v_fmac_f32_e32 v22, 0x32a5705f, v18
	v_sub_f32_e32 v21, v21, v23
	v_add_f32_e32 v21, v21, v22
	v_exp_f32_e32 v21, v21
	v_cvt_i32_f32_e32 v22, v23
	v_cmp_ngt_f32_e32 vcc, s94, v18
	v_ldexp_f32 v21, v21, v22
	s_nop 0
	v_cndmask_b32_e32 v21, 0, v21, vcc
	v_cmp_nlt_f32_e32 vcc, s73, v18
	s_nop 1
	v_cndmask_b32_e32 v18, v212, v21, vcc
	v_mov_b32_e32 v21, s93
	v_add_f32_e32 v22, v1, v18
	v_cndmask_b32_e64 v41, v21, v18, s[20:21]
	v_sub_f32_e32 v18, v26, v222
	v_mul_f32_e32 v21, 0x3fb8aa3b, v18
	v_cndmask_b32_e64 v1, v1, v22, s[20:21]
	v_fma_f32 v22, v18, s97, -v21
	v_rndne_f32_e32 v23, v21
	v_fmac_f32_e32 v22, 0x32a5705f, v18
	v_sub_f32_e32 v21, v21, v23
	v_add_f32_e32 v21, v21, v22
	v_exp_f32_e32 v21, v21
	v_cvt_i32_f32_e32 v22, v23
	v_cmp_ngt_f32_e32 vcc, s94, v18
	v_ldexp_f32 v21, v21, v22
	s_nop 0
	v_cndmask_b32_e32 v21, 0, v21, vcc
	v_cmp_nlt_f32_e32 vcc, s73, v18
	v_mov_b32_e32 v18, s93
	s_nop 0
	v_cndmask_b32_e32 v21, v212, v21, vcc
	v_add_f32_e32 v22, v21, v1
	v_cndmask_b32_e64 v18, v18, v21, s[22:23]
	v_cndmask_b32_e64 v21, v1, v22, s[22:23]
	v_sub_f32_e32 v1, v27, v222
	v_mul_f32_e32 v22, 0x3fb8aa3b, v1
	v_fma_f32 v23, v1, s97, -v22
	v_rndne_f32_e32 v26, v22
	v_fmac_f32_e32 v23, 0x32a5705f, v1
	v_sub_f32_e32 v22, v22, v26
	v_add_f32_e32 v22, v22, v23
	v_exp_f32_e32 v22, v22
	v_cvt_i32_f32_e32 v23, v26
	v_cmp_ngt_f32_e32 vcc, s94, v1
	v_ldexp_f32 v22, v22, v23
	s_nop 0
	v_cndmask_b32_e32 v22, 0, v22, vcc
	v_cmp_nlt_f32_e32 vcc, s73, v1
	v_mov_b32_e32 v1, s93
	s_nop 0
	v_cndmask_b32_e32 v22, v212, v22, vcc
	v_add_f32_e32 v23, v22, v21
	v_cndmask_b32_e64 v1, v1, v22, s[24:25]
	v_sub_f32_e32 v22, v28, v222
	v_cndmask_b32_e64 v21, v21, v23, s[24:25]
	v_mul_f32_e32 v23, 0x3fb8aa3b, v22
	v_fma_f32 v26, v22, s97, -v23
	v_rndne_f32_e32 v27, v23
	v_fmac_f32_e32 v26, 0x32a5705f, v22
	v_sub_f32_e32 v23, v23, v27
	v_add_f32_e32 v23, v23, v26
	v_exp_f32_e32 v23, v23
	v_cvt_i32_f32_e32 v26, v27
	v_cmp_ngt_f32_e32 vcc, s94, v22
	v_ldexp_f32 v23, v23, v26
	s_nop 0
	v_cndmask_b32_e32 v23, 0, v23, vcc
	v_cmp_nlt_f32_e32 vcc, s73, v22
	v_mov_b32_e32 v22, s93
	s_nop 0
	v_cndmask_b32_e32 v23, v212, v23, vcc
	v_add_f32_e32 v26, v23, v21
	v_cndmask_b32_e64 v22, v22, v23, s[26:27]
	v_cndmask_b32_e64 v23, v21, v26, s[26:27]
	v_sub_f32_e32 v21, v29, v222
	v_mul_f32_e32 v26, 0x3fb8aa3b, v21
	v_fma_f32 v27, v21, s97, -v26
	v_rndne_f32_e32 v28, v26
	v_fmac_f32_e32 v27, 0x32a5705f, v21
	v_sub_f32_e32 v26, v26, v28
	v_add_f32_e32 v26, v26, v27
	v_exp_f32_e32 v26, v26
	v_cvt_i32_f32_e32 v27, v28
	v_cmp_ngt_f32_e32 vcc, s94, v21
	v_ldexp_f32 v26, v26, v27
	s_nop 0
	v_cndmask_b32_e32 v26, 0, v26, vcc
	v_cmp_nlt_f32_e32 vcc, s73, v21
	v_mov_b32_e32 v21, s93
	s_nop 0
	v_cndmask_b32_e32 v26, v212, v26, vcc
	v_add_f32_e32 v27, v26, v23
	v_cndmask_b32_e64 v91, v23, v27, s[28:29]
	v_sub_f32_e32 v23, v45, v222
	v_cndmask_b32_e64 v21, v21, v26, s[28:29]
	v_mul_f32_e32 v26, 0x3fb8aa3b, v23
	v_fma_f32 v27, v23, s97, -v26
	v_rndne_f32_e32 v28, v26
	v_fmac_f32_e32 v27, 0x32a5705f, v23
	v_sub_f32_e32 v26, v26, v28
	v_add_f32_e32 v26, v26, v27
	v_exp_f32_e32 v26, v26
	v_cvt_i32_f32_e32 v27, v28
	v_cmp_ngt_f32_e32 vcc, s94, v23
	v_ldexp_f32 v26, v26, v27
	s_nop 0
	v_cndmask_b32_e32 v26, 0, v26, vcc
	v_cmp_nlt_f32_e32 vcc, s73, v23
	s_nop 1
	v_cndmask_b32_e32 v26, v212, v26, vcc
	v_cmp_le_f32_e32 vcc, s95, v23
	s_nop 1
	v_cndmask_b32_e32 v23, 0, v26, vcc
	v_fmac_f32_e32 v91, v44, v23
	v_cvt_f16_f32_e32 v23, v23
	v_mul_u32_u24_e32 v26, 0x10001, v23
	v_pk_mul_f16 v45, v40, v26
	v_pk_mul_f16 v44, v37, v26
	;; [unrolled: 1-line block ×16, first 2 shown]
	v_lshl_add_u64 v[26:27], v[110:111], 0, v[70:71]
	v_mov_b32_e32 v25, s5
	v_cndmask_b32_e64 v29, v25, v27, s[6:7]
	v_cndmask_b32_e64 v28, v215, v26, s[6:7]
	flat_load_dwordx4 v[126:129], v[28:29]
	v_lshl_add_u64 v[26:27], v[112:113], 0, v[70:71]
	v_cndmask_b32_e64 v233, v25, v27, s[8:9]
	v_cndmask_b32_e64 v232, v215, v26, s[8:9]
	v_lshl_add_u64 v[26:27], v[114:115], 0, v[70:71]
	v_cndmask_b32_e64 v27, v25, v27, s[10:11]
	v_cndmask_b32_e64 v26, v215, v26, s[10:11]
	;; [unrolled: 3-line block ×3, first 2 shown]
	v_cvt_f32_f16_e32 v234, v32
	v_cvt_f32_f16_sdwa v235, v32 dst_sel:DWORD dst_unused:UNUSED_PAD src0_sel:WORD_1
	v_lshl_add_u64 v[110:111], v[110:111], 0, s[82:83]
	v_lshl_add_u64 v[112:113], v[112:113], 0, s[82:83]
	;; [unrolled: 1-line block ×4, first 2 shown]
	s_waitcnt vmcnt(0) lgkmcnt(0)
	ds_write_b128 v144, v[126:129]
	flat_load_dwordx4 v[126:129], v[232:233]
	v_cvt_f32_f16_e32 v232, v33
	v_cvt_f32_f16_sdwa v233, v33 dst_sel:DWORD dst_unused:UNUSED_PAD src0_sel:WORD_1
	s_waitcnt vmcnt(0) lgkmcnt(0)
	ds_write_b128 v199, v[126:129]
	flat_load_dwordx4 v[26:29], v[26:27]
	v_cvt_pk_f16_f32 v129, v24, v41
	v_cvt_pk_f16_f32 v128, v20, v19
	;; [unrolled: 1-line block ×4, first 2 shown]
	s_waitcnt vmcnt(0) lgkmcnt(0)
	ds_write_b128 v201, v[26:29]
	flat_load_dwordx4 v[26:29], v[30:31]
	s_waitcnt vmcnt(0) lgkmcnt(0)
	ds_write_b128 v203, v[26:29]
	s_waitcnt lgkmcnt(0)
	s_barrier
	ds_read_u16 v25, v145 offset:272
	ds_read_u16 v30, v145 offset:544
	v_cvt_f32_f16_e32 v28, v44
	v_cvt_f32_f16_sdwa v29, v44 dst_sel:DWORD dst_unused:UNUSED_PAD src0_sel:WORD_1
	ds_read_u16 v31, v146
	ds_read_u16 v44, v146 offset:32
	v_cvt_f32_f16_e32 v26, v45
	v_cvt_f32_f16_sdwa v27, v45 dst_sel:DWORD dst_unused:UNUSED_PAD src0_sel:WORD_1
	s_waitcnt lgkmcnt(1)
	v_perm_b32 v31, v31, v30, s4
	ds_read_u16 v30, v145
	ds_read_u16 v45, v145 offset:32
	s_waitcnt lgkmcnt(1)
	v_perm_b32 v30, v25, v30, s4
	s_nop 1
	v_mfma_f32_16x16x16_f16 v[24:27], v[30:31], v[128:129], v[26:29]
	s_nop 2
	ds_read_u16 v28, v145 offset:8704
	ds_read_u16 v30, v145 offset:8976
	;; [unrolled: 1-line block ×6, first 2 shown]
	v_cvt_f16_f32_e32 v19, v24
	v_cvt_f16_f32_e32 v20, v25
	;; [unrolled: 1-line block ×4, first 2 shown]
	s_waitcnt lgkmcnt(2)
	v_perm_b32 v29, v31, v29, s4
	v_perm_b32 v28, v30, v28, s4
	v_cvt_f32_f16_e32 v24, v19
	v_cvt_f32_f16_e32 v25, v20
	;; [unrolled: 1-line block ×4, first 2 shown]
	s_nop 1
	v_mfma_f32_16x16x16_f16 v[18:21], v[28:29], v[126:127], v[24:27]
	s_nop 2
	v_cvt_f32_f16_e32 v26, v23
	v_cvt_f32_f16_sdwa v27, v23 dst_sel:DWORD dst_unused:UNUSED_PAD src0_sel:WORD_1
	s_waitcnt lgkmcnt(0)
	v_perm_b32 v23, v44, v22, s4
	v_perm_b32 v22, v1, v45, s4
	v_cvt_f32_f16_e32 v24, v40
	v_cvt_f32_f16_sdwa v25, v40 dst_sel:DWORD dst_unused:UNUSED_PAD src0_sel:WORD_1
	s_nop 1
	v_mfma_f32_16x16x16_f16 v[22:25], v[22:23], v[128:129], v[24:27]
	s_nop 2
	ds_read_u16 v26, v145 offset:8736
	ds_read_u16 v28, v145 offset:9008
	;; [unrolled: 1-line block ×4, first 2 shown]
	s_nop 0
	v_cvt_f16_f32_e32 v1, v22
	v_cvt_f16_f32_e32 v23, v23
	;; [unrolled: 1-line block ×4, first 2 shown]
	v_cvt_f32_f16_e32 v22, v1
	ds_read_u16 v1, v145 offset:64
	ds_read_u16 v30, v145 offset:336
	;; [unrolled: 1-line block ×4, first 2 shown]
	s_waitcnt lgkmcnt(4)
	v_perm_b32 v27, v29, v27, s4
	v_perm_b32 v26, v28, v26, s4
	v_cvt_f32_f16_e32 v23, v23
	v_cvt_f32_f16_e32 v24, v24
	;; [unrolled: 1-line block ×3, first 2 shown]
	s_waitcnt lgkmcnt(0)
	v_perm_b32 v31, v40, v31, s4
	v_perm_b32 v30, v30, v1, s4
	v_mfma_f32_16x16x16_f16 v[22:25], v[26:27], v[126:127], v[22:25]
	v_cvt_f32_f16_e32 v26, v37
	v_cvt_f32_f16_sdwa v27, v37 dst_sel:DWORD dst_unused:UNUSED_PAD src0_sel:WORD_1
	v_cvt_f32_f16_e32 v28, v36
	v_cvt_f32_f16_sdwa v29, v36 dst_sel:DWORD dst_unused:UNUSED_PAD src0_sel:WORD_1
	s_nop 3
	v_cvt_pk_f16_f32 v25, v24, v25
	v_mfma_f32_16x16x16_f16 v[26:29], v[30:31], v[128:129], v[26:29]
	ds_read_u16 v30, v145 offset:8768
	ds_read_u16 v36, v145 offset:9040
	;; [unrolled: 1-line block ×4, first 2 shown]
	s_nop 3
	v_cvt_f16_f32_e32 v1, v26
	v_cvt_f16_f32_e32 v27, v27
	;; [unrolled: 1-line block ×4, first 2 shown]
	s_waitcnt lgkmcnt(0)
	v_perm_b32 v31, v37, v31, s4
	v_perm_b32 v30, v36, v30, s4
	v_cvt_f32_f16_e32 v26, v1
	v_cvt_f32_f16_e32 v27, v27
	;; [unrolled: 1-line block ×4, first 2 shown]
	s_nop 1
	v_mfma_f32_16x16x16_f16 v[26:29], v[30:31], v[126:127], v[26:29]
	ds_read_u16 v1, v145 offset:96
	ds_read_u16 v30, v145 offset:368
	;; [unrolled: 1-line block ×4, first 2 shown]
	s_waitcnt lgkmcnt(2)
	v_perm_b32 v30, v30, v1, s4
	s_waitcnt lgkmcnt(0)
	v_perm_b32 v31, v36, v31, s4
	ds_read_u16 v36, v145 offset:8800
	ds_read_u16 v40, v145 offset:9072
	;; [unrolled: 1-line block ×4, first 2 shown]
	v_mfma_f32_16x16x16_f16 v[30:33], v[30:31], v[128:129], v[232:235]
	s_waitcnt lgkmcnt(0)
	v_perm_b32 v37, v41, v37, s4
	v_perm_b32 v36, v40, v36, s4
	v_cvt_f32_f16_e32 v232, v35
	s_nop 3
	v_cvt_f16_f32_e32 v1, v30
	v_cvt_f16_f32_e32 v31, v31
	;; [unrolled: 1-line block ×4, first 2 shown]
	v_cvt_f32_f16_e32 v30, v1
	v_cvt_f32_f16_e32 v31, v31
	;; [unrolled: 1-line block ×4, first 2 shown]
	v_cvt_f32_f16_sdwa v233, v35 dst_sel:DWORD dst_unused:UNUSED_PAD src0_sel:WORD_1
	v_cvt_f32_f16_e32 v234, v34
	v_mfma_f32_16x16x16_f16 v[30:33], v[36:37], v[126:127], v[30:33]
	ds_read_u16 v1, v145 offset:128
	ds_read_u16 v36, v145 offset:400
	;; [unrolled: 1-line block ×4, first 2 shown]
	v_cvt_f32_f16_sdwa v235, v34 dst_sel:DWORD dst_unused:UNUSED_PAD src0_sel:WORD_1
	s_waitcnt lgkmcnt(2)
	v_perm_b32 v34, v36, v1, s4
	s_nop 0
	v_cvt_pk_f16_f32 v31, v30, v31
	s_waitcnt lgkmcnt(0)
	v_perm_b32 v35, v40, v37, s4
	ds_read_u16 v40, v145 offset:8832
	ds_read_u16 v44, v145 offset:9104
	;; [unrolled: 1-line block ×4, first 2 shown]
	v_mfma_f32_16x16x16_f16 v[34:37], v[34:35], v[128:129], v[232:235]
	s_waitcnt lgkmcnt(0)
	v_perm_b32 v41, v45, v41, s4
	v_perm_b32 v40, v44, v40, s4
	v_cvt_f32_f16_e32 v232, v39
	s_nop 3
	v_cvt_f16_f32_e32 v1, v34
	v_cvt_f16_f32_e32 v35, v35
	;; [unrolled: 1-line block ×4, first 2 shown]
	v_cvt_f32_f16_e32 v34, v1
	v_cvt_f32_f16_e32 v35, v35
	;; [unrolled: 1-line block ×4, first 2 shown]
	v_cvt_f32_f16_sdwa v233, v39 dst_sel:DWORD dst_unused:UNUSED_PAD src0_sel:WORD_1
	v_cvt_f32_f16_e32 v234, v38
	v_mfma_f32_16x16x16_f16 v[34:37], v[40:41], v[126:127], v[34:37]
	ds_read_u16 v1, v145 offset:160
	ds_read_u16 v40, v145 offset:432
	;; [unrolled: 1-line block ×4, first 2 shown]
	v_cvt_f32_f16_sdwa v235, v38 dst_sel:DWORD dst_unused:UNUSED_PAD src0_sel:WORD_1
	v_cvt_pk_f16_f32 v30, v32, v33
	s_waitcnt lgkmcnt(2)
	v_perm_b32 v38, v40, v1, s4
	v_cvt_pk_f16_f32 v35, v34, v35
	s_waitcnt lgkmcnt(0)
	v_perm_b32 v39, v44, v41, s4
	v_cvt_pk_f16_f32 v34, v36, v37
	v_cvt_pk_f16_f32 v33, v26, v27
	v_mfma_f32_16x16x16_f16 v[38:41], v[38:39], v[128:129], v[232:235]
	ds_read_u16 v44, v145 offset:8864
	s_nop 1
	ds_read_u16 v232, v145 offset:9136
	ds_read_u16 v45, v145 offset:9408
	;; [unrolled: 1-line block ×3, first 2 shown]
	v_cvt_f32_f16_e32 v234, v42
	v_cvt_f32_f16_sdwa v235, v42 dst_sel:DWORD dst_unused:UNUSED_PAD src0_sel:WORD_1
	v_cvt_f16_f32_e32 v1, v38
	v_cvt_f16_f32_e32 v39, v39
	;; [unrolled: 1-line block ×4, first 2 shown]
	s_waitcnt lgkmcnt(0)
	v_perm_b32 v45, v233, v45, s4
	v_perm_b32 v44, v232, v44, s4
	v_cvt_f32_f16_e32 v38, v1
	v_cvt_f32_f16_e32 v39, v39
	v_cvt_f32_f16_e32 v40, v40
	v_cvt_f32_f16_e32 v41, v41
	v_cvt_f32_f16_e32 v232, v43
	v_cvt_f32_f16_sdwa v233, v43 dst_sel:DWORD dst_unused:UNUSED_PAD src0_sel:WORD_1
	v_mfma_f32_16x16x16_f16 v[38:41], v[44:45], v[126:127], v[38:41]
	ds_read_u16 v1, v145 offset:192
	ds_read_u16 v44, v145 offset:464
	;; [unrolled: 1-line block ×4, first 2 shown]
	v_cvt_pk_f16_f32 v32, v28, v29
	v_cvt_pk_f16_f32 v36, v22, v23
	s_waitcnt lgkmcnt(2)
	v_perm_b32 v42, v44, v1, s4
	v_cvt_pk_f16_f32 v39, v38, v39
	s_waitcnt lgkmcnt(0)
	v_perm_b32 v43, v236, v45, s4
	v_cvt_pk_f16_f32 v38, v40, v41
	v_cvt_pk_f16_f32 v40, v18, v19
	v_mfma_f32_16x16x16_f16 v[42:45], v[42:43], v[128:129], v[232:235]
	s_nop 2
	ds_read_u16 v232, v145 offset:8896
	ds_read_u16 v234, v145 offset:9168
	;; [unrolled: 1-line block ×4, first 2 shown]
	v_cvt_pk_f16_f32 v37, v20, v21
	v_cvt_f16_f32_e32 v1, v42
	v_cvt_f16_f32_e32 v43, v43
	;; [unrolled: 1-line block ×4, first 2 shown]
	v_cvt_f32_f16_e32 v42, v1
	s_waitcnt lgkmcnt(0)
	v_perm_b32 v233, v235, v233, s4
	v_perm_b32 v232, v234, v232, s4
	ds_read_u16 v1, v145 offset:224
	ds_read_u16 v236, v145 offset:496
	;; [unrolled: 1-line block ×4, first 2 shown]
	v_cvt_f32_f16_e32 v43, v43
	v_cvt_f32_f16_e32 v44, v44
	;; [unrolled: 1-line block ×4, first 2 shown]
	v_cvt_f32_f16_sdwa v235, v226 dst_sel:DWORD dst_unused:UNUSED_PAD src0_sel:WORD_1
	v_mfma_f32_16x16x16_f16 v[42:45], v[232:233], v[126:127], v[42:45]
	v_cvt_f32_f16_e32 v232, v227
	v_cvt_f32_f16_sdwa v233, v227 dst_sel:DWORD dst_unused:UNUSED_PAD src0_sel:WORD_1
	s_waitcnt lgkmcnt(0)
	v_perm_b32 v227, v238, v237, s4
	v_perm_b32 v226, v236, v1, s4
	s_nop 2
	v_cvt_pk_f16_f32 v43, v42, v43
	v_cvt_pk_f16_f32 v42, v44, v45
	v_mfma_f32_16x16x16_f16 v[232:235], v[226:227], v[128:129], v[232:235]
	ds_read_u16 v227, v145 offset:8928
	ds_read_u16 v236, v145 offset:9200
	;; [unrolled: 1-line block ×4, first 2 shown]
	s_waitcnt lgkmcnt(0)
	s_barrier
	s_nop 1
	v_cvt_f16_f32_e32 v128, v233
	v_cvt_f16_f32_e32 v129, v234
	;; [unrolled: 1-line block ×4, first 2 shown]
	v_cvt_f32_f16_e32 v233, v128
	v_cvt_f32_f16_e32 v234, v129
	v_perm_b32 v129, v238, v237, s4
	v_perm_b32 v128, v236, v227, s4
	v_cvt_f32_f16_e32 v232, v1
	v_cvt_f32_f16_e32 v235, v226
	s_nop 1
	v_mfma_f32_16x16x16_f16 v[126:129], v[128:129], v[126:127], v[232:235]
	s_nop 7
	v_cvt_pk_f16_f32 v126, v126, v127
	v_cvt_pk_f16_f32 v127, v128, v129
	s_cbranch_scc0 .LBB24_214
; %bb.212:                              ;   in Loop: Header=BB24_209 Depth=2
	v_mov_b32_e32 v44, v91
	v_mov_b32_e32 v45, v222
	v_cndmask_b32_e64 v1, 0, 1, s[38:39]
	v_cmp_ne_u32_e64 s[36:37], 1, v1
	s_andn2_b64 vcc, exec, s[38:39]
	s_cbranch_vccz .LBB24_204
	s_branch .LBB24_209
.LBB24_213:                             ;   in Loop: Header=BB24_14 Depth=1
	v_mov_b32_e32 v222, 0xfeffffff
	s_mov_b32 s92, 0
	v_mov_b32_e32 v91, 0
	v_mov_b32_e32 v37, 0
	;; [unrolled: 1-line block ×17, first 2 shown]
	s_branch .LBB24_215
.LBB24_214:                             ;   in Loop: Header=BB24_14 Depth=1
	s_lshl_b32 s92, s40, 6
.LBB24_215:                             ;   in Loop: Header=BB24_14 Depth=1
	v_readlane_b32 s34, v240, 4
	s_sub_i32 s46, s34, s92
	s_cmp_lg_u64 s[2:3], 0
	s_cselect_b64 s[44:45], -1, 0
	s_cmp_eq_u64 s[2:3], 0
	v_readlane_b32 s35, v240, 5
	s_cbranch_scc1 .LBB24_225
; %bb.216:                              ;   in Loop: Header=BB24_14 Depth=1
	s_lshl_b64 s[34:35], s[92:93], 1
	s_add_u32 s34, s2, s34
	s_addc_u32 s35, s3, s35
	v_cmp_le_i32_e32 vcc, s46, v46
	s_and_saveexec_b64 s[2:3], vcc
	s_xor_b64 s[2:3], exec, s[2:3]
	s_cbranch_execz .LBB24_218
; %bb.217:                              ;   in Loop: Header=BB24_14 Depth=1
	ds_write_b16 v142, v49 offset:17408
	ds_write_b16 v191, v49 offset:17408
                                        ; implicit-def: $vgpr216
                                        ; implicit-def: $vgpr218
                                        ; implicit-def: $vgpr220
                                        ; implicit-def: $vgpr223
.LBB24_218:                             ;   in Loop: Header=BB24_14 Depth=1
	s_or_saveexec_b64 s[2:3], s[2:3]
	v_lshlrev_b32_e32 v48, 1, v46
	v_lshl_add_u64 v[18:19], s[34:35], 0, v[48:49]
	v_mov_b32_e32 v1, 0
	v_mov_b32_e32 v20, 0
	s_xor_b64 exec, exec, s[2:3]
	s_cbranch_execz .LBB24_220
; %bb.219:                              ;   in Loop: Header=BB24_14 Depth=1
	v_mul_hi_u32 v1, s88, v216
	v_add_u32_e32 v1, v216, v1
	v_lshrrev_b32_e32 v1, s89, v1
	v_mul_lo_u32 v1, v1, s72
	v_readlane_b32 s34, v239, 13
	v_sub_u32_e32 v1, v216, v1
	v_readlane_b32 s35, v239, 14
	s_mov_b32 s36, s34
	v_mad_i64_i32 v[20:21], s[34:35], v1, s36, 0
	v_lshl_add_u64 v[20:21], v[20:21], 1, v[18:19]
	global_load_ushort v1, v[20:21], off
	v_mul_hi_u32 v20, s88, v218
	v_add_u32_e32 v20, v218, v20
	v_lshrrev_b32_e32 v20, s89, v20
	v_mul_lo_u32 v20, v20, s72
	v_sub_u32_e32 v20, v218, v20
	v_mad_i64_i32 v[20:21], s[34:35], v20, s36, 0
	v_lshl_add_u64 v[20:21], v[20:21], 1, v[18:19]
	global_load_ushort v20, v[20:21], off
	s_waitcnt vmcnt(1)
	ds_write_b16 v142, v1 offset:17408
	s_waitcnt vmcnt(0)
	ds_write_b16 v191, v20 offset:17408
	v_mul_hi_u32 v1, s88, v220
	v_add_u32_e32 v1, v220, v1
	v_lshrrev_b32_e32 v1, s89, v1
	v_mul_lo_u32 v1, v1, s72
	v_sub_u32_e32 v1, v220, v1
	v_mad_i64_i32 v[20:21], s[34:35], v1, s36, 0
	v_lshl_add_u64 v[20:21], v[20:21], 1, v[18:19]
	global_load_ushort v1, v[20:21], off
	v_mul_hi_u32 v20, s88, v223
	v_add_u32_e32 v20, v223, v20
	v_lshrrev_b32_e32 v20, s89, v20
	v_mul_lo_u32 v20, v20, s72
	v_sub_u32_e32 v20, v223, v20
	v_mad_i64_i32 v[20:21], s[34:35], v20, s36, 0
	v_lshl_add_u64 v[20:21], v[20:21], 1, v[18:19]
	global_load_ushort v20, v[20:21], off
.LBB24_220:                             ;   in Loop: Header=BB24_14 Depth=1
	s_or_b64 exec, exec, s[2:3]
	s_waitcnt vmcnt(1)
	ds_write_b16 v192, v1 offset:17408
	s_waitcnt vmcnt(0)
	ds_write_b16 v193, v20 offset:17408
	s_and_saveexec_b64 s[2:3], vcc
	s_xor_b64 s[2:3], exec, s[2:3]
	s_cbranch_execz .LBB24_222
; %bb.221:                              ;   in Loop: Header=BB24_14 Depth=1
	ds_write_b16 v194, v49 offset:17408
	ds_write_b16 v195, v49 offset:17408
                                        ; implicit-def: $vgpr217
                                        ; implicit-def: $vgpr18_vgpr19
                                        ; implicit-def: $vgpr219
                                        ; implicit-def: $vgpr221
                                        ; implicit-def: $vgpr224
.LBB24_222:                             ;   in Loop: Header=BB24_14 Depth=1
	s_or_saveexec_b64 s[2:3], s[2:3]
	v_mov_b32_e32 v1, 0
	v_mov_b32_e32 v20, 0
	s_xor_b64 exec, exec, s[2:3]
	s_cbranch_execz .LBB24_224
; %bb.223:                              ;   in Loop: Header=BB24_14 Depth=1
	v_mul_hi_u32 v1, s88, v217
	v_add_u32_e32 v1, v217, v1
	v_lshrrev_b32_e32 v1, s89, v1
	v_mul_lo_u32 v1, v1, s72
	v_readlane_b32 s34, v239, 13
	v_sub_u32_e32 v1, v217, v1
	v_readlane_b32 s35, v239, 14
	s_mov_b32 s36, s34
	v_mad_i64_i32 v[20:21], s[34:35], v1, s36, 0
	v_lshl_add_u64 v[20:21], v[20:21], 1, v[18:19]
	global_load_ushort v1, v[20:21], off
	v_mul_hi_u32 v20, s88, v219
	v_add_u32_e32 v20, v219, v20
	v_lshrrev_b32_e32 v20, s89, v20
	v_mul_lo_u32 v20, v20, s72
	v_sub_u32_e32 v20, v219, v20
	v_mad_i64_i32 v[20:21], s[34:35], v20, s36, 0
	v_lshl_add_u64 v[20:21], v[20:21], 1, v[18:19]
	global_load_ushort v20, v[20:21], off
	s_waitcnt vmcnt(1)
	ds_write_b16 v194, v1 offset:17408
	s_waitcnt vmcnt(0)
	ds_write_b16 v195, v20 offset:17408
	v_mul_hi_u32 v1, s88, v221
	v_add_u32_e32 v1, v221, v1
	v_lshrrev_b32_e32 v1, s89, v1
	v_mul_lo_u32 v1, v1, s72
	v_sub_u32_e32 v1, v221, v1
	v_mad_i64_i32 v[20:21], s[34:35], v1, s36, 0
	v_lshl_add_u64 v[20:21], v[20:21], 1, v[18:19]
	global_load_ushort v1, v[20:21], off
	v_mul_hi_u32 v20, s88, v224
	v_add_u32_e32 v20, v224, v20
	v_lshrrev_b32_e32 v20, s89, v20
	v_mul_lo_u32 v20, v20, s72
	v_sub_u32_e32 v20, v224, v20
	v_mad_i64_i32 v[20:21], s[34:35], v20, s36, 0
	v_lshl_add_u64 v[18:19], v[20:21], 1, v[18:19]
	global_load_ushort v20, v[18:19], off
.LBB24_224:                             ;   in Loop: Header=BB24_14 Depth=1
	s_or_b64 exec, exec, s[2:3]
	s_waitcnt vmcnt(1)
	ds_write_b16 v196, v1 offset:17408
	s_waitcnt vmcnt(0)
	ds_write_b16 v197, v20 offset:17408
.LBB24_225:                             ;   in Loop: Header=BB24_14 Depth=1
	s_mul_i32 s2, s92, s87
	s_mul_hi_u32 s3, s92, s86
	s_add_i32 s3, s3, s2
	s_mul_i32 s2, s92, s86
	s_lshl_b64 s[2:3], s[2:3], 2
	s_add_u32 s2, s96, s2
	s_addc_u32 s3, s99, s3
	v_lshl_add_u64 v[18:19], v[54:55], 2, s[2:3]
	v_lshlrev_b32_e32 v48, 2, v52
	v_lshl_add_u64 v[18:19], v[18:19], 0, v[48:49]
	v_mov_b32_e32 v1, s5
	v_cmp_gt_i32_e64 s[42:43], s46, v143
	scratch_store_dwordx4 off, v[228:231], off
	v_lshl_add_u64 v[22:23], v[56:57], 2, s[2:3]
	v_cndmask_b32_e64 v19, v1, v19, s[42:43]
	v_cndmask_b32_e64 v18, v215, v18, s[42:43]
	flat_load_dwordx4 v[18:21], v[18:19]
	v_lshl_add_u64 v[22:23], v[22:23], 0, v[48:49]
	v_cmp_gt_i32_e64 s[40:41], s46, v198
	v_cmp_gt_i32_e64 s[36:37], s46, v200
	;; [unrolled: 1-line block ×3, first 2 shown]
	v_cndmask_b32_e64 v23, v1, v23, s[40:41]
	v_cndmask_b32_e64 v22, v215, v22, s[40:41]
	s_andn2_b64 vcc, exec, s[44:45]
	s_mov_b64 s[34:35], s[48:49]
	s_waitcnt vmcnt(0) lgkmcnt(0)
	ds_write_b128 v144, v[18:21]
	flat_load_dwordx4 v[18:21], v[22:23]
	v_lshl_add_u64 v[22:23], v[58:59], 2, s[2:3]
	v_lshl_add_u64 v[22:23], v[22:23], 0, v[48:49]
	v_cndmask_b32_e64 v23, v1, v23, s[36:37]
	v_cndmask_b32_e64 v22, v215, v22, s[36:37]
	s_waitcnt vmcnt(0) lgkmcnt(0)
	ds_write_b128 v199, v[18:21]
	flat_load_dwordx4 v[18:21], v[22:23]
	v_lshl_add_u64 v[22:23], v[60:61], 2, s[2:3]
	v_lshl_add_u64 v[22:23], v[22:23], 0, v[48:49]
	v_cndmask_b32_e64 v23, v1, v23, s[38:39]
	v_cndmask_b32_e64 v22, v215, v22, s[38:39]
	v_add_u32_e32 v1, v141, v165
	s_waitcnt vmcnt(0) lgkmcnt(0)
	ds_write_b128 v201, v[18:21]
	flat_load_dwordx4 v[18:21], v[22:23]
	v_add_u32_e32 v22, 0x2000, v1
	s_waitcnt vmcnt(0) lgkmcnt(0)
	ds_write_b128 v203, v[18:21]
	s_waitcnt lgkmcnt(0)
	s_barrier
	ds_read2_b64 v[18:21], v1 offset1:4
	ds_read2_b64 v[92:95], v22 offset0:64 offset1:68
	s_waitcnt lgkmcnt(1)
	v_mfma_f32_16x16x16_f16 v[26:29], v[18:19], v[14:15], 0
	s_waitcnt lgkmcnt(0)
	v_mfma_f32_16x16x16_f16 v[96:99], v[92:93], v[14:15], 0
	v_mfma_f32_16x16x16_f16 v[18:21], v[20:21], v[16:17], v[26:29]
	;; [unrolled: 1-line block ×3, first 2 shown]
	s_nop 3
	ds_read2_b64 v[26:29], v1 offset0:8 offset1:12
	ds_read2_b64 v[92:95], v22 offset0:72 offset1:76
	s_waitcnt lgkmcnt(1)
	v_mfma_f32_16x16x16_f16 v[18:21], v[26:27], v[10:11], v[18:21]
	s_waitcnt lgkmcnt(0)
	v_mfma_f32_16x16x16_f16 v[14:17], v[92:93], v[10:11], v[14:17]
	v_mfma_f32_16x16x16_f16 v[18:21], v[28:29], v[12:13], v[18:21]
	ds_read2_b64 v[26:29], v22 offset0:80 offset1:84
	v_mfma_f32_16x16x16_f16 v[10:13], v[94:95], v[12:13], v[14:17]
	s_nop 4
	ds_read2_b64 v[14:17], v1 offset0:16 offset1:20
	s_waitcnt lgkmcnt(0)
	v_mfma_f32_16x16x16_f16 v[18:21], v[14:15], v[6:7], v[18:21]
	v_mfma_f32_16x16x16_f16 v[10:13], v[26:27], v[6:7], v[10:13]
	;; [unrolled: 1-line block ×4, first 2 shown]
	s_nop 4
	ds_read2_b64 v[18:21], v22 offset0:88 offset1:92
	ds_read2_b64 v[10:13], v1 offset0:24 offset1:28
	s_waitcnt lgkmcnt(0)
	v_mfma_f32_16x16x16_f16 v[14:17], v[10:11], v[2:3], v[14:17]
	s_barrier
	v_mfma_f32_16x16x16_f16 v[26:29], v[18:19], v[2:3], v[6:9]
	v_mfma_f32_16x16x16_f16 v[6:9], v[12:13], v[4:5], v[14:17]
	;; [unrolled: 1-line block ×3, first 2 shown]
	s_cbranch_vccnz .LBB24_227
; %bb.226:                              ;   in Loop: Header=BB24_14 Depth=1
	v_add_u32_e32 v1, 0x4400, v167
	ds_read2_b32 v[10:11], v1 offset1:1
	ds_read_b32 v1, v169 offset:17408
	s_waitcnt lgkmcnt(1)
	v_cvt_f32_f16_e32 v12, v10
	v_cvt_f32_f16_sdwa v13, v10 dst_sel:DWORD dst_unused:UNUSED_PAD src0_sel:WORD_1
	v_cvt_f32_f16_e32 v10, v11
	v_cvt_f32_f16_sdwa v11, v11 dst_sel:DWORD dst_unused:UNUSED_PAD src0_sel:WORD_1
	v_pk_fma_f32 v[6:7], v[90:91], v[12:13], v[6:7] op_sel_hi:[0,1,1]
	v_pk_fma_f32 v[8:9], v[90:91], v[10:11], v[8:9] op_sel_hi:[0,1,1]
	s_waitcnt lgkmcnt(0)
	v_cvt_f32_f16_sdwa v11, v1 dst_sel:DWORD dst_unused:UNUSED_PAD src0_sel:WORD_1
	v_cvt_f32_f16_e32 v10, v1
	ds_read_b32 v1, v171 offset:17408
	v_pk_fma_f32 v[2:3], v[90:91], v[10:11], v[2:3] op_sel_hi:[0,1,1]
	s_waitcnt lgkmcnt(0)
	v_cvt_f32_f16_sdwa v13, v1 dst_sel:DWORD dst_unused:UNUSED_PAD src0_sel:WORD_1
	v_cvt_f32_f16_e32 v12, v1
	v_pk_fma_f32 v[4:5], v[90:91], v[12:13], v[4:5] op_sel_hi:[0,1,1]
.LBB24_227:                             ;   in Loop: Header=BB24_14 Depth=1
	s_mul_i32 s2, s92, s75
	s_mul_hi_u32 s3, s92, s74
	s_add_i32 s3, s3, s2
	s_mul_i32 s2, s92, s74
	s_lshl_b64 s[2:3], s[2:3], 2
	s_add_u32 s2, s91, s2
	s_addc_u32 s3, s78, s3
	v_lshl_add_u64 v[10:11], v[62:63], 2, s[2:3]
	v_lshl_add_u64 v[10:11], v[10:11], 0, v[48:49]
	v_mov_b32_e32 v24, s5
	v_cndmask_b32_e64 v11, v24, v11, s[42:43]
	v_cndmask_b32_e64 v10, v215, v10, s[42:43]
	scratch_store_dwordx4 off, v[228:231], off
	flat_load_dwordx4 v[10:13], v[10:11]
	v_lshl_add_u64 v[14:15], v[64:65], 2, s[2:3]
	v_lshl_add_u64 v[14:15], v[14:15], 0, v[48:49]
	v_cndmask_b32_e64 v15, v24, v15, s[40:41]
	v_cndmask_b32_e64 v14, v215, v14, s[40:41]
	v_add_f32_e32 v20, 0x40051340, v6
	v_max_f32_e32 v21, v222, v222
	v_and_b32_e32 v28, 64, v214
	v_xor_b32_e32 v29, 32, v214
	v_max_f32_e32 v20, v21, v20
	v_add_u32_e32 v21, 64, v28
	v_xor_b32_e32 v90, 16, v214
	v_cmp_gt_u32_e64 s[52:53], s46, v164
	v_cmp_lt_i32_e32 vcc, v29, v21
	v_add_f32_e32 v22, 0x40051340, v7
	v_cndmask_b32_e64 v20, v222, v20, s[52:53]
	v_cndmask_b32_e32 v28, v214, v29, vcc
	v_cmp_lt_i32_e32 vcc, v90, v21
	v_lshlrev_b32_e32 v29, 2, v28
	v_cmp_gt_u32_e64 s[44:45], s46, v204
	v_cndmask_b32_e32 v21, v214, v90, vcc
	v_max_f32_e32 v90, v20, v20
	v_lshlrev_b32_e32 v28, 2, v21
	v_max_f32_e32 v21, v90, v22
	v_cndmask_b32_e64 v22, v20, v21, s[44:45]
	v_add_f32_e32 v23, 0x40051340, v8
	v_max_f32_e32 v90, v22, v22
	v_max_f32_e32 v23, v90, v23
	v_cmp_gt_u32_e64 s[48:49], s46, v205
	v_add_f32_e32 v26, 0x40051340, v9
	v_cmp_gt_u32_e64 s[50:51], s46, v206
	v_cndmask_b32_e64 v22, v22, v23, s[48:49]
	v_max_f32_e32 v23, v22, v22
	v_max_f32_e32 v23, v23, v26
	v_cndmask_b32_e64 v22, v22, v23, s[50:51]
	v_add_f32_e32 v27, 0x40051340, v2
	v_max_f32_e32 v23, v22, v22
	v_max_f32_e32 v23, v23, v27
	v_cmp_gt_u32_e32 vcc, s46, v168
	v_add_f32_e32 v41, 0x40051340, v3
	v_cmp_gt_u32_e64 s[40:41], s46, v207
	v_cndmask_b32_e32 v22, v22, v23, vcc
	v_max_f32_e32 v23, v22, v22
	v_max_f32_e32 v23, v23, v41
	v_cndmask_b32_e64 v22, v22, v23, s[40:41]
	v_add_f32_e32 v44, 0x40051340, v4
	v_max_f32_e32 v23, v22, v22
	v_max_f32_e32 v23, v23, v44
	v_cmp_gt_u32_e64 s[42:43], s46, v170
	v_add_f32_e32 v45, 0x40051340, v5
	v_cmp_gt_u32_e64 s[46:47], s46, v208
	v_cndmask_b32_e64 v22, v22, v23, s[42:43]
	v_max_f32_e32 v23, v22, v22
	v_max_f32_e32 v23, v23, v45
	v_cndmask_b32_e64 v26, v22, v23, s[46:47]
	ds_bpermute_b32 v27, v29, v26
	v_max_f32_e32 v26, v26, v26
	v_lshl_add_u64 v[20:21], v[66:67], 2, s[2:3]
	v_lshl_add_u64 v[22:23], v[68:69], 2, s[2:3]
	;; [unrolled: 1-line block ×3, first 2 shown]
	s_waitcnt lgkmcnt(0)
	v_max_f32_e32 v27, v27, v27
	v_max_f32_e32 v26, v26, v27
	ds_bpermute_b32 v27, v28, v26
	v_lshl_add_u64 v[22:23], v[22:23], 0, v[48:49]
	v_cndmask_b32_e64 v21, v24, v21, s[36:37]
	v_cndmask_b32_e64 v23, v24, v23, s[38:39]
	;; [unrolled: 1-line block ×3, first 2 shown]
	s_waitcnt lgkmcnt(0)
	v_max_f32_e32 v24, v27, v27
	v_max_f32_e32 v24, v26, v24
	v_sub_f32_e32 v45, v2, v24
	v_sub_f32_e32 v48, v3, v24
	;; [unrolled: 1-line block ×6, first 2 shown]
	v_mul_f32_e32 v6, 0x3fb8aa3b, v26
	v_sub_f32_e32 v41, v8, v24
	v_sub_f32_e32 v44, v9, v24
	v_mul_f32_e32 v7, 0x3fb8aa3b, v27
	v_mul_f32_e32 v8, 0x3fb8aa3b, v41
	s_waitcnt vmcnt(0)
	ds_write_b128 v144, v[10:13]
	flat_load_dwordx4 v[16:19], v[14:15]
	v_mul_f32_e32 v9, 0x3fb8aa3b, v44
	v_rndne_f32_e32 v96, v7
	v_fma_f32 v97, v41, s97, -v8
	v_rndne_f32_e32 v98, v8
	v_fma_f32 v99, v44, s97, -v9
	v_rndne_f32_e32 v100, v9
	v_fmac_f32_e32 v97, 0x32a5705f, v41
	v_sub_f32_e32 v8, v8, v98
	v_fmac_f32_e32 v99, 0x32a5705f, v44
	v_sub_f32_e32 v9, v9, v100
	v_add_f32_e32 v8, v8, v97
	v_add_f32_e32 v9, v9, v99
	v_mul_f32_e32 v95, 0x3fb8aa3b, v48
	v_cvt_i32_f32_e32 v98, v98
	v_cvt_i32_f32_e32 v100, v100
	v_exp_f32_e32 v8, v8
	v_exp_f32_e32 v9, v9
	v_mul_f32_e32 v94, 0x3fb8aa3b, v45
	v_fma_f32 v103, v48, s97, -v95
	v_rndne_f32_e32 v104, v95
	v_fma_f32 v101, v45, s97, -v94
	v_rndne_f32_e32 v102, v94
	v_fmac_f32_e32 v103, 0x32a5705f, v48
	v_sub_f32_e32 v95, v95, v104
	v_cmp_ngt_f32_e64 s[36:37], s94, v26
	v_cndmask_b32_e64 v22, v215, v22, s[38:39]
	v_fmac_f32_e32 v101, 0x32a5705f, v45
	v_sub_f32_e32 v94, v94, v102
	v_sub_f32_e32 v93, v222, v24
	v_cvt_i32_f32_e32 v102, v102
	v_cvt_i32_f32_e32 v104, v104
	v_mov_b32_e32 v1, s93
	v_mov_b32_e32 v10, s93
	;; [unrolled: 1-line block ×7, first 2 shown]
	s_cmp_lg_u64 s[34:35], 0
	v_readlane_b32 s38, v240, 54
	s_cselect_b64 s[2:3], -1, 0
	v_readlane_b32 s39, v240, 55
	s_waitcnt vmcnt(0) lgkmcnt(0)
	ds_write_b128 v199, v[16:19]
	flat_load_dwordx4 v[2:5], v[20:21]
	v_fma_f32 v19, v26, s97, -v6
	v_rndne_f32_e32 v20, v6
	v_fma_f32 v21, v27, s97, -v7
	v_fmac_f32_e32 v19, 0x32a5705f, v26
	v_sub_f32_e32 v6, v6, v20
	v_fmac_f32_e32 v21, 0x32a5705f, v27
	v_sub_f32_e32 v7, v7, v96
	v_add_f32_e32 v6, v6, v19
	v_cvt_i32_f32_e32 v20, v20
	v_add_f32_e32 v7, v7, v21
	v_exp_f32_e32 v6, v6
	v_cvt_i32_f32_e32 v96, v96
	v_exp_f32_e32 v7, v7
	v_add_f32_e32 v21, v95, v103
	v_ldexp_f32 v6, v6, v20
	v_cndmask_b32_e64 v95, 0, v6, s[36:37]
	v_ldexp_f32 v7, v7, v96
	v_cmp_ngt_f32_e64 s[36:37], s94, v27
	v_add_f32_e32 v19, v94, v101
	v_ldexp_f32 v20, v8, v98
	v_ldexp_f32 v94, v9, v100
	v_cndmask_b32_e64 v96, 0, v7, s[36:37]
	v_mul_f32_e32 v16, 0x3fb8aa3b, v90
	v_mul_f32_e32 v17, 0x3fb8aa3b, v92
	v_fma_f32 v105, v90, s97, -v16
	v_rndne_f32_e32 v106, v16
	v_mul_f32_e32 v18, 0x3fb8aa3b, v93
	v_fma_f32 v107, v92, s97, -v17
	v_rndne_f32_e32 v108, v17
	v_fmac_f32_e32 v105, 0x32a5705f, v90
	v_sub_f32_e32 v16, v16, v106
	v_exp_f32_e32 v19, v19
	v_fma_f32 v109, v93, s97, -v18
	v_rndne_f32_e32 v110, v18
	v_fmac_f32_e32 v107, 0x32a5705f, v92
	v_sub_f32_e32 v17, v17, v108
	v_add_f32_e32 v16, v16, v105
	v_exp_f32_e32 v21, v21
	v_cvt_i32_f32_e32 v106, v106
	v_fmac_f32_e32 v109, 0x32a5705f, v93
	v_sub_f32_e32 v18, v18, v110
	v_add_f32_e32 v17, v17, v107
	v_exp_f32_e32 v16, v16
	v_cmp_ngt_f32_e64 s[36:37], s94, v41
	v_cvt_i32_f32_e32 v108, v108
	v_add_f32_e32 v18, v18, v109
	v_exp_f32_e32 v17, v17
	v_cvt_i32_f32_e32 v110, v110
	v_exp_f32_e32 v18, v18
	v_ldexp_f32 v19, v19, v102
	v_ldexp_f32 v21, v21, v104
	;; [unrolled: 1-line block ×5, first 2 shown]
	s_waitcnt vmcnt(0) lgkmcnt(0)
	ds_write_b128 v201, v[2:5]
	flat_load_dwordx4 v[6:9], v[22:23]
	v_cndmask_b32_e64 v2, 0, v20, s[36:37]
	v_cmp_ngt_f32_e64 s[36:37], s94, v44
	s_waitcnt vmcnt(0) lgkmcnt(0)
	ds_write_b128 v203, v[6:9]
	v_cndmask_b32_e64 v3, 0, v94, s[36:37]
	v_cmp_ngt_f32_e64 s[36:37], s94, v45
	s_waitcnt lgkmcnt(0)
	s_barrier
	v_cndmask_b32_e64 v4, 0, v19, s[36:37]
	v_cmp_ngt_f32_e64 s[36:37], s94, v48
	s_nop 1
	v_cndmask_b32_e64 v5, 0, v21, s[36:37]
	v_cmp_ngt_f32_e64 s[36:37], s94, v90
	s_nop 1
	;; [unrolled: 3-line block ×4, first 2 shown]
	v_cndmask_b32_e64 v18, 0, v18, s[36:37]
	v_cmp_nlt_f32_e64 s[36:37], s73, v26
	s_nop 1
	v_cndmask_b32_e64 v19, v212, v95, s[36:37]
	v_cmp_nlt_f32_e64 s[36:37], s73, v27
	s_nop 1
	v_cndmask_b32_e64 v20, v212, v96, s[36:37]
	v_cmp_nlt_f32_e64 s[36:37], s73, v41
	v_cndmask_b32_e64 v1, v1, v20, s[44:45]
	s_nop 0
	v_cndmask_b32_e64 v21, v212, v2, s[36:37]
	v_cmp_nlt_f32_e64 s[36:37], s73, v44
	v_cndmask_b32_e64 v2, 0, v19, s[52:53]
	v_cvt_pk_f16_f32 v22, v2, v1
	v_cndmask_b32_e64 v41, v212, v3, s[36:37]
	v_cmp_nlt_f32_e64 s[36:37], s73, v45
	v_cndmask_b32_e64 v11, v11, v41, s[50:51]
	s_nop 0
	v_cndmask_b32_e64 v44, v212, v4, s[36:37]
	v_cmp_nlt_f32_e64 s[36:37], s73, v48
	v_cndmask_b32_e64 v4, v10, v21, s[48:49]
	v_cndmask_b32_e32 v10, v12, v44, vcc
	v_cndmask_b32_e64 v45, v212, v5, s[36:37]
	v_cmp_nlt_f32_e64 s[36:37], s73, v90
	v_cndmask_b32_e64 v3, v13, v45, s[40:41]
	v_cvt_pk_f16_f32 v26, v10, v3
	v_cndmask_b32_e64 v48, v212, v16, s[36:37]
	v_cmp_nlt_f32_e64 s[36:37], s73, v92
	v_cvt_pk_f16_f32 v23, v4, v11
	v_cndmask_b32_e64 v12, v14, v48, s[42:43]
	v_cndmask_b32_e64 v17, v212, v17, s[36:37]
	v_cmp_nlt_f32_e64 s[36:37], s73, v93
	v_cndmask_b32_e64 v13, v15, v17, s[46:47]
	v_cvt_pk_f16_f32 v27, v12, v13
	v_cndmask_b32_e64 v5, v212, v18, s[36:37]
	v_cmp_le_f32_e64 s[36:37], s95, v93
	s_nop 1
	v_cndmask_b32_e64 v113, 0, v5, s[36:37]
	v_add_f32_e32 v5, v20, v2
	v_cndmask_b32_e64 v1, v2, v5, s[44:45]
	v_add_f32_e32 v2, v1, v21
	;; [unrolled: 2-line block ×4, first 2 shown]
	v_cndmask_b32_e32 v10, v10, v11, vcc
	v_cvt_f16_f32_e32 v14, v113
	v_add_f32_e32 v11, v45, v10
	v_cndmask_b32_e64 v10, v10, v11, s[40:41]
	v_add_f32_e32 v11, v48, v10
	v_cndmask_b32_e64 v10, v10, v11, s[42:43]
	v_mul_u32_u24_e32 v1, 0x10001, v14
	v_add_f32_e32 v11, v17, v10
	v_pk_mul_f16 v2, v40, v1
	v_pk_mul_f16 v3, v37, v1
	;; [unrolled: 1-line block ×9, first 2 shown]
	v_cndmask_b32_e64 v25, v10, v11, s[46:47]
	ds_read_u16 v6, v145
	ds_read_u16 v120, v145 offset:32
	ds_read_u16 v110, v145 offset:64
	;; [unrolled: 1-line block ×23, first 2 shown]
	ds_read_u16 v9, v146
	ds_read_u16 v124, v146 offset:32
	ds_read_u16 v125, v146 offset:64
	;; [unrolled: 1-line block ×31, first 2 shown]
	s_waitcnt lgkmcnt(14)
	v_perm_b32 v7, v9, v7, s4
	v_perm_b32 v6, v8, v6, s4
	v_cvt_f32_f16_e32 v116, v2
	v_cvt_f32_f16_sdwa v117, v2 dst_sel:DWORD dst_unused:UNUSED_PAD src0_sel:WORD_1
	v_cvt_f32_f16_e32 v118, v3
	v_cvt_f32_f16_sdwa v119, v3 dst_sel:DWORD dst_unused:UNUSED_PAD src0_sel:WORD_1
	ds_read_u16 v8, v146 offset:8704
	ds_read_u16 v221, v146 offset:8736
	;; [unrolled: 1-line block ×8, first 2 shown]
	s_waitcnt lgkmcnt(7)
	v_perm_b32 v11, v8, v11, s4
	v_mfma_f32_16x16x16_f16 v[6:9], v[6:7], v[22:23], v[116:119]
	v_cvt_f32_f16_e32 v2, v4
	v_cvt_f32_f16_sdwa v3, v4 dst_sel:DWORD dst_unused:UNUSED_PAD src0_sel:WORD_1
	s_nop 0
	v_perm_b32 v117, v124, v122, s4
	v_perm_b32 v116, v121, v120, s4
	v_cvt_f32_f16_e32 v4, v5
	v_cvt_f32_f16_sdwa v5, v5 dst_sel:DWORD dst_unused:UNUSED_PAD src0_sel:WORD_1
	s_nop 0
	v_cvt_f16_f32_e32 v6, v6
	v_cvt_f16_f32_e32 v7, v7
	v_cvt_f16_f32_e32 v8, v8
	v_cvt_f16_f32_e32 v9, v9
	v_mfma_f32_16x16x16_f16 v[2:5], v[116:117], v[22:23], v[2:5]
	v_perm_b32 v10, v216, v10, s4
	v_cvt_f32_f16_e32 v6, v6
	v_cvt_f32_f16_e32 v7, v7
	;; [unrolled: 1-line block ×4, first 2 shown]
	s_nop 2
	v_cvt_f16_f32_e32 v2, v2
	v_cvt_f16_f32_e32 v3, v3
	;; [unrolled: 1-line block ×4, first 2 shown]
	v_mfma_f32_16x16x16_f16 v[6:9], v[10:11], v[26:27], v[6:9]
	s_waitcnt lgkmcnt(6)
	v_perm_b32 v11, v221, v219, s4
	v_perm_b32 v10, v217, v128, s4
	v_cvt_f32_f16_e32 v2, v2
	v_cvt_f32_f16_e32 v3, v3
	;; [unrolled: 1-line block ×5, first 2 shown]
	v_cvt_f32_f16_sdwa v117, v15 dst_sel:DWORD dst_unused:UNUSED_PAD src0_sel:WORD_1
	v_mfma_f32_16x16x16_f16 v[2:5], v[10:11], v[26:27], v[2:5]
	v_perm_b32 v11, v125, v123, s4
	v_perm_b32 v10, v114, v110, s4
	v_cvt_f32_f16_e32 v118, v14
	v_cvt_f32_f16_sdwa v119, v14 dst_sel:DWORD dst_unused:UNUSED_PAD src0_sel:WORD_1
	v_fmac_f32_e32 v25, v91, v113
	v_pk_mul_f16 v34, v34, v1
	v_pk_mul_f16 v91, v39, v1
	;; [unrolled: 1-line block ×7, first 2 shown]
	v_cvt_f16_f32_e32 v1, v8
	v_cvt_f16_f32_e32 v38, v9
	v_mfma_f32_16x16x16_f16 v[8:11], v[10:11], v[22:23], v[116:119]
	s_waitcnt lgkmcnt(5)
	v_perm_b32 v15, v222, v220, s4
	v_perm_b32 v14, v218, v129, s4
	;; [unrolled: 1-line block ×3, first 2 shown]
	v_cvt_f32_f16_e32 v116, v13
	v_cvt_f32_f16_sdwa v117, v13 dst_sel:DWORD dst_unused:UNUSED_PAD src0_sel:WORD_1
	s_nop 1
	v_cvt_f16_f32_e32 v8, v8
	v_cvt_f16_f32_e32 v9, v9
	;; [unrolled: 1-line block ×4, first 2 shown]
	v_cvt_f32_f16_e32 v8, v8
	v_cvt_f32_f16_e32 v9, v9
	;; [unrolled: 1-line block ×5, first 2 shown]
	v_cvt_f32_f16_sdwa v119, v12 dst_sel:DWORD dst_unused:UNUSED_PAD src0_sel:WORD_1
	v_mfma_f32_16x16x16_f16 v[8:11], v[14:15], v[26:27], v[8:11]
	v_perm_b32 v15, v111, v107, s4
	v_perm_b32 v14, v105, v102, s4
	s_waitcnt lgkmcnt(4)
	v_perm_b32 v39, v223, v115, s4
	v_perm_b32 v38, v112, v108, s4
	v_mfma_f32_16x16x16_f16 v[12:15], v[14:15], v[22:23], v[116:119]
	v_cvt_f32_f16_e32 v110, v16
	v_cvt_f32_f16_sdwa v111, v16 dst_sel:DWORD dst_unused:UNUSED_PAD src0_sel:WORD_1
	v_cvt_f32_f16_e32 v112, v34
	s_nop 4
	v_cvt_f16_f32_e32 v12, v12
	v_cvt_f16_f32_e32 v13, v13
	;; [unrolled: 1-line block ×4, first 2 shown]
	v_cvt_f32_f16_e32 v12, v12
	v_cvt_f32_f16_e32 v13, v13
	;; [unrolled: 1-line block ×4, first 2 shown]
	v_cvt_f32_f16_sdwa v113, v34 dst_sel:DWORD dst_unused:UNUSED_PAD src0_sel:WORD_1
	v_cvt_f16_f32_e32 v4, v4
	v_mfma_f32_16x16x16_f16 v[12:15], v[38:39], v[26:27], v[12:15]
	v_perm_b32 v39, v103, v99, s4
	v_perm_b32 v38, v97, v17, s4
	v_cvt_f16_f32_e32 v5, v5
	v_cvt_f32_f16_e32 v102, v91
	v_mfma_f32_16x16x16_f16 v[110:113], v[38:39], v[22:23], v[110:113]
	v_perm_b32 v4, v5, v4, s4
	v_cvt_f16_f32_e32 v5, v10
	v_perm_b32 v39, v95, v92, s4
	s_nop 4
	v_cvt_f16_f32_e32 v38, v113
	v_cvt_f16_f32_e32 v10, v110
	v_cvt_f32_f16_sdwa v103, v91 dst_sel:DWORD dst_unused:UNUSED_PAD src0_sel:WORD_1
	v_cvt_f32_f16_sdwa v105, v120 dst_sel:DWORD dst_unused:UNUSED_PAD src0_sel:WORD_1
	v_cvt_f32_f16_e32 v113, v38
	v_perm_b32 v38, v19, v18, s4
	v_cvt_f32_f16_e32 v110, v10
	v_perm_b32 v10, v104, v100, s4
	v_cvt_f32_f16_e32 v104, v120
	v_cvt_f16_f32_e32 v16, v11
	v_cvt_f16_f32_e32 v11, v111
	v_mfma_f32_16x16x16_f16 v[102:105], v[38:39], v[22:23], v[102:105]
	v_cvt_f16_f32_e32 v17, v112
	v_cvt_f32_f16_e32 v111, v11
	s_waitcnt lgkmcnt(3)
	v_perm_b32 v11, v109, v106, s4
	v_cvt_f16_f32_e32 v97, v14
	s_nop 2
	v_cvt_f16_f32_e32 v38, v105
	v_cvt_f32_f16_e32 v112, v17
	v_cvt_f16_f32_e32 v99, v15
	v_cvt_f16_f32_e32 v18, v103
	;; [unrolled: 1-line block ×3, first 2 shown]
	v_cvt_f32_f16_e32 v105, v38
	v_perm_b32 v39, v45, v40, s4
	v_perm_b32 v38, v21, v20, s4
	;; [unrolled: 1-line block ×3, first 2 shown]
	v_mfma_f32_16x16x16_f16 v[14:17], v[10:11], v[26:27], v[110:113]
	v_perm_b32 v10, v99, v97, s4
	v_cvt_f32_f16_e32 v103, v18
	v_cvt_f32_f16_e32 v104, v19
	s_waitcnt lgkmcnt(2)
	v_perm_b32 v19, v101, v98, s4
	v_perm_b32 v18, v96, v93, s4
	v_cvt_f32_f16_e32 v96, v43
	v_cvt_f32_f16_sdwa v97, v43 dst_sel:DWORD dst_unused:UNUSED_PAD src0_sel:WORD_1
	v_cvt_f32_f16_e32 v98, v42
	v_cvt_f32_f16_sdwa v99, v42 dst_sel:DWORD dst_unused:UNUSED_PAD src0_sel:WORD_1
	v_cvt_f16_f32_e32 v11, v102
	v_cvt_f16_f32_e32 v95, v17
	v_mfma_f32_16x16x16_f16 v[96:99], v[38:39], v[22:23], v[96:99]
	v_cvt_f32_f16_e32 v102, v11
	v_cvt_f16_f32_e32 v11, v16
	v_cvt_f32_f16_e32 v42, v121
	v_mfma_f32_16x16x16_f16 v[16:19], v[18:19], v[26:27], v[102:105]
	s_nop 3
	v_cvt_f16_f32_e32 v20, v96
	v_cvt_f16_f32_e32 v21, v97
	;; [unrolled: 1-line block ×4, first 2 shown]
	v_cvt_f32_f16_e32 v96, v20
	v_cvt_f32_f16_e32 v97, v21
	s_waitcnt lgkmcnt(1)
	v_perm_b32 v21, v94, v90, s4
	v_perm_b32 v20, v48, v44, s4
	v_cvt_f32_f16_e32 v98, v38
	v_cvt_f32_f16_e32 v99, v39
	v_perm_b32 v39, v36, v33, s4
	v_perm_b32 v38, v31, v30, s4
	v_cvt_f16_f32_e32 v90, v18
	v_cvt_f16_f32_e32 v94, v19
	v_mfma_f32_16x16x16_f16 v[18:21], v[20:21], v[26:27], v[96:99]
	v_cvt_f32_f16_sdwa v43, v121 dst_sel:DWORD dst_unused:UNUSED_PAD src0_sel:WORD_1
	v_cvt_f32_f16_e32 v44, v114
	v_cvt_f32_f16_sdwa v45, v114 dst_sel:DWORD dst_unused:UNUSED_PAD src0_sel:WORD_1
	s_waitcnt lgkmcnt(0)
	v_perm_b32 v33, v41, v37, s4
	v_perm_b32 v32, v35, v32, s4
	s_nop 1
	v_cvt_f16_f32_e32 v31, v20
	v_cvt_f16_f32_e32 v36, v21
	v_mfma_f32_16x16x16_f16 v[20:23], v[38:39], v[22:23], v[42:45]
	v_cvt_f16_f32_e32 v122, v6
	v_cvt_f16_f32_e32 v123, v7
	;; [unrolled: 1-line block ×5, first 2 shown]
	s_nop 2
	v_cvt_f16_f32_e32 v20, v20
	v_cvt_f16_f32_e32 v21, v21
	;; [unrolled: 1-line block ×4, first 2 shown]
	v_cvt_f32_f16_e32 v20, v20
	v_cvt_f32_f16_e32 v21, v21
	;; [unrolled: 1-line block ×4, first 2 shown]
	v_cvt_f16_f32_e32 v34, v9
	v_cvt_f16_f32_e32 v91, v12
	v_mfma_f32_16x16x16_f16 v[20:23], v[32:33], v[26:27], v[20:23]
	ds_bpermute_b32 v26, v29, v25
	v_cvt_f16_f32_e32 v92, v13
	v_cvt_f16_f32_e32 v93, v14
	;; [unrolled: 1-line block ×3, first 2 shown]
	v_perm_b32 v11, v95, v11, s4
	s_waitcnt lgkmcnt(0)
	v_add_f32_e32 v25, v25, v26
	ds_bpermute_b32 v26, v28, v25
	v_cvt_f16_f32_e32 v95, v16
	v_cvt_f16_f32_e32 v48, v17
	;; [unrolled: 1-line block ×8, first 2 shown]
	v_perm_b32 v30, v94, v90, s4
	v_perm_b32 v31, v36, v31, s4
	;; [unrolled: 1-line block ×3, first 2 shown]
	s_waitcnt lgkmcnt(0)
	v_add_f32_e32 v25, v25, v26
	s_mov_b64 s[36:37], s[34:35]
	s_and_b64 s[34:35], s[38:39], s[2:3]
	v_perm_b32 v23, v29, v27, s4
	v_perm_b32 v26, v37, v35, s4
	;; [unrolled: 1-line block ×8, first 2 shown]
	s_barrier
	s_and_saveexec_b64 s[2:3], s[34:35]
	s_cbranch_execz .LBB24_229
; %bb.228:                              ;   in Loop: Header=BB24_14 Depth=1
	v_cvt_pk_f16_f32 v6, v6, v7
	v_cvt_pk_f16_f32 v7, v8, v9
	;; [unrolled: 1-line block ×3, first 2 shown]
	global_load_dword v15, v49, s[36:37]
	v_cvt_pk_f16_f32 v3, v2, v3
	v_cvt_pk_f16_f32 v8, v12, v13
	;; [unrolled: 1-line block ×3, first 2 shown]
	v_max_f32_e32 v16, v24, v24
	v_cvt_pk_f16_f32 v13, v18, v19
	v_cvt_pk_f16_f32 v14, v20, v21
	s_waitcnt vmcnt(0)
	v_max_f32_e32 v2, v15, v15
	v_max_f32_e32 v2, v16, v2
	v_sub_f32_e32 v16, v24, v2
	v_mul_f32_e32 v17, 0x3fb8aa3b, v16
	v_fma_f32 v18, v16, s97, -v17
	v_rndne_f32_e32 v19, v17
	v_fmac_f32_e32 v18, 0x32a5705f, v16
	v_sub_f32_e32 v17, v17, v19
	v_add_f32_e32 v17, v17, v18
	v_exp_f32_e32 v17, v17
	v_cvt_i32_f32_e32 v18, v19
	v_cmp_ngt_f32_e32 vcc, s94, v16
	v_sub_f32_e32 v15, v15, v2
	v_ldexp_f32 v17, v17, v18
	v_cndmask_b32_e32 v17, 0, v17, vcc
	v_cmp_nlt_f32_e32 vcc, s73, v16
	s_nop 1
	v_cndmask_b32_e32 v17, v212, v17, vcc
	v_cmp_le_f32_e32 vcc, s95, v16
	s_nop 1
	v_cndmask_b32_e32 v16, 0, v17, vcc
	v_cvt_f16_f32_e32 v17, v16
	v_cmp_ngt_f32_e32 vcc, s94, v15
	v_mul_u32_u24_e32 v17, 0x10001, v17
	v_pk_mul_f16 v34, v3, v17
	v_mul_f32_e32 v3, 0x3fb8aa3b, v15
	v_pk_mul_f16 v35, v6, v17
	v_pk_mul_f16 v33, v7, v17
	v_fma_f32 v6, v15, s97, -v3
	v_rndne_f32_e32 v7, v3
	v_fmac_f32_e32 v6, 0x32a5705f, v15
	v_sub_f32_e32 v3, v3, v7
	v_add_f32_e32 v3, v3, v6
	v_exp_f32_e32 v3, v3
	v_cvt_i32_f32_e32 v6, v7
	v_pk_mul_f16 v1, v1, v17
	v_pk_mul_f16 v4, v4, v17
	;; [unrolled: 1-line block ×3, first 2 shown]
	v_ldexp_f32 v3, v3, v6
	v_cndmask_b32_e32 v3, 0, v3, vcc
	v_cmp_nlt_f32_e32 vcc, s73, v15
	v_pk_mul_f16 v32, v8, v17
	v_pk_mul_f16 v10, v10, v17
	v_cndmask_b32_e32 v3, v212, v3, vcc
	v_fmac_f32_e32 v3, v25, v16
	v_pk_mul_f16 v29, v9, v17
	v_pk_mul_f16 v11, v11, v17
	v_pk_mul_f16 v27, v12, v17
	v_pk_mul_f16 v30, v30, v17
	v_pk_mul_f16 v26, v13, v17
	v_pk_mul_f16 v31, v31, v17
	v_pk_mul_f16 v23, v14, v17
	v_pk_mul_f16 v22, v22, v17
	v_mov_b64_e32 v[24:25], v[2:3]
.LBB24_229:                             ;   in Loop: Header=BB24_14 Depth=1
	s_or_b64 exec, exec, s[2:3]
	s_mov_b64 s[2:3], exec
	v_readlane_b32 s34, v239, 9
	v_readlane_b32 s35, v239, 10
	s_and_b64 s[34:35], s[2:3], s[34:35]
	s_mov_b64 exec, s[34:35]
; %bb.230:                              ;   in Loop: Header=BB24_14 Depth=1
	v_add_u32_e32 v2, 0, v172
	ds_write2_b32 v2, v24, v25 offset0:64 offset1:65
; %bb.231:                              ;   in Loop: Header=BB24_14 Depth=1
	s_or_b64 exec, exec, s[2:3]
	s_waitcnt lgkmcnt(0)
	s_barrier
	s_mov_b64 s[2:3], exec
	v_readlane_b32 s34, v240, 56
	v_readlane_b32 s35, v240, 57
	s_and_b64 s[34:35], s[2:3], s[34:35]
	s_xor_b64 s[2:3], s[34:35], s[2:3]
	s_mov_b64 exec, s[34:35]
	s_cbranch_execz .LBB24_233
; %bb.232:                              ;   in Loop: Header=BB24_14 Depth=1
	s_barrier
                                        ; implicit-def: $vgpr28
.LBB24_233:                             ;   in Loop: Header=BB24_14 Depth=1
	s_andn2_saveexec_b64 s[2:3], s[2:3]
	s_cbranch_execz .LBB24_237
; %bb.234:                              ;   in Loop: Header=BB24_14 Depth=1
	v_add_u32_e32 v6, 0, v173
	ds_read_b64 v[2:3], v6 offset:256
	s_waitcnt lgkmcnt(0)
	s_barrier
	ds_bpermute_b32 v7, v28, v2
	v_max_f32_e32 v8, v2, v2
	s_waitcnt lgkmcnt(0)
	v_max_f32_e32 v7, v7, v7
	v_max_f32_e32 v7, v8, v7
	v_sub_f32_e32 v2, v2, v7
	v_mul_f32_e32 v7, 0x3fb8aa3b, v2
	v_fma_f32 v8, v2, s97, -v7
	v_rndne_f32_e32 v9, v7
	v_fmac_f32_e32 v8, 0x32a5705f, v2
	v_sub_f32_e32 v7, v7, v9
	v_add_f32_e32 v7, v7, v8
	v_cvt_i32_f32_e32 v9, v9
	v_exp_f32_e32 v7, v7
	v_cmp_ngt_f32_e32 vcc, s94, v2
	v_ldexp_f32 v7, v7, v9
	s_nop 0
	v_cndmask_b32_e32 v7, 0, v7, vcc
	v_cmp_nlt_f32_e32 vcc, s73, v2
	s_nop 1
	v_cndmask_b32_e32 v2, v212, v7, vcc
	v_mul_f32_e32 v3, v3, v2
	ds_bpermute_b32 v7, v28, v3
	s_mov_b64 s[34:35], exec
	v_readlane_b32 s36, v239, 11
	v_readlane_b32 s37, v239, 12
	s_and_b64 s[36:37], s[34:35], s[36:37]
	s_mov_b64 exec, s[36:37]
	s_cbranch_execz .LBB24_236
; %bb.235:                              ;   in Loop: Header=BB24_14 Depth=1
	s_waitcnt lgkmcnt(0)
	v_add_f32_e32 v3, v3, v7
	ds_write_b64 v6, v[2:3] offset:256
.LBB24_236:                             ;   in Loop: Header=BB24_14 Depth=1
	s_or_b64 exec, exec, s[34:35]
.LBB24_237:                             ;   in Loop: Header=BB24_14 Depth=1
	s_or_b64 exec, exec, s[2:3]
	ds_write2_b32 v147, v35, v1 offset1:1
	ds_write2_b32 v147, v34, v4 offset0:8 offset1:9
	ds_write2_b32 v147, v33, v5 offset0:16 offset1:17
	;; [unrolled: 1-line block ×7, first 2 shown]
	s_waitcnt lgkmcnt(0)
	s_barrier
	s_and_saveexec_b64 s[2:3], s[38:39]
	s_cbranch_execz .LBB24_12
; %bb.238:                              ;   in Loop: Header=BB24_14 Depth=1
	v_add_u32_e32 v1, s76, v148
	v_cmp_gt_i32_e32 vcc, s72, v1
	v_mov_b32_e32 v2, 0x47
	s_and_saveexec_b64 s[34:35], vcc
	s_cbranch_execz .LBB24_240
; %bb.239:                              ;   in Loop: Header=BB24_14 Depth=1
	v_add_u32_e32 v6, 0, v174
	v_add_u32_e32 v4, v140, v174
	ds_read2_b32 v[2:3], v6 offset0:64 offset1:65
	ds_read2st64_b32 v[4:5], v4 offset1:17
	ds_read_b32 v6, v6 offset:4608
	v_readlane_b32 s36, v240, 61
	s_waitcnt lgkmcnt(1)
	v_cvt_f32_f16_e32 v10, v4
	v_cvt_f32_f16_sdwa v11, v4 dst_sel:DWORD dst_unused:UNUSED_PAD src0_sel:WORD_1
	v_cvt_f32_f16_e32 v4, v5
	v_cvt_f32_f16_sdwa v5, v5 dst_sel:DWORD dst_unused:UNUSED_PAD src0_sel:WORD_1
	v_mad_u64_u32 v[8:9], s[36:37], s36, v1, v[46:47]
	v_readlane_b32 s36, v239, 18
	v_pk_fma_f32 v[10:11], v[2:3], v[10:11], 0 op_sel_hi:[0,1,0]
	v_ashrrev_i32_e32 v9, 31, v8
	v_readlane_b32 s37, v239, 19
	s_waitcnt lgkmcnt(0)
	v_pk_fma_f32 v[4:5], v[6:7], v[4:5], v[10:11] op_sel_hi:[0,1,1]
	v_lshl_add_u64 v[8:9], v[8:9], 3, s[36:37]
	v_div_scale_f32 v1, s[36:37], v3, v3, v5
	v_rcp_f32_e32 v2, v1
	s_nop 0
	v_fma_f32 v6, -v1, v2, 1.0
	v_fmac_f32_e32 v2, v6, v2
	v_div_scale_f32 v6, vcc, v5, v3, v5
	v_mul_f32_e32 v7, v6, v2
	v_fma_f32 v10, -v1, v7, v6
	v_fmac_f32_e32 v7, v10, v2
	v_fma_f32 v1, -v1, v7, v6
	v_div_fmas_f32 v1, v1, v2, v7
	v_div_fixup_f32 v5, v1, v3, v5
	v_div_scale_f32 v1, s[36:37], v3, v3, v4
	v_rcp_f32_e32 v2, v1
	s_nop 0
	v_fma_f32 v6, -v1, v2, 1.0
	v_fmac_f32_e32 v2, v6, v2
	v_div_scale_f32 v6, vcc, v4, v3, v4
	v_mul_f32_e32 v7, v6, v2
	v_fma_f32 v10, -v1, v7, v6
	v_fmac_f32_e32 v7, v10, v2
	v_fma_f32 v1, -v1, v7, v6
	v_div_fmas_f32 v1, v1, v2, v7
	v_div_fixup_f32 v4, v1, v3, v4
	v_mov_b32_e32 v2, 0
	global_store_dwordx2 v[8:9], v[4:5], off
.LBB24_240:                             ;   in Loop: Header=BB24_14 Depth=1
	s_or_b64 exec, exec, s[34:35]
	s_movk_i32 s34, 0x47
	v_cmp_gt_i32_e32 vcc, s34, v2
	s_mov_b64 s[34:35], -1
	s_and_saveexec_b64 s[36:37], vcc
; %bb.241:                              ;   in Loop: Header=BB24_14 Depth=1
	v_cmp_eq_u32_e32 vcc, 0, v2
	s_orn2_b64 s[34:35], vcc, exec
; %bb.242:                              ;   in Loop: Header=BB24_14 Depth=1
	s_or_b64 exec, exec, s[36:37]
	s_and_b64 exec, exec, s[34:35]
	s_cbranch_execz .LBB24_12
; %bb.243:                              ;   in Loop: Header=BB24_14 Depth=1
	v_add_u32_e32 v1, s76, v149
	v_cmp_gt_i32_e32 vcc, s72, v1
	v_mov_b32_e32 v2, 0x47
	s_and_saveexec_b64 s[34:35], vcc
	s_cbranch_execz .LBB24_245
; %bb.244:                              ;   in Loop: Header=BB24_14 Depth=1
	v_add_u32_e32 v6, 0, v175
	v_add_u32_e32 v4, v140, v175
	ds_read2_b32 v[2:3], v6 offset0:64 offset1:65
	ds_read2st64_b32 v[4:5], v4 offset1:17
	ds_read_b32 v6, v6 offset:4608
	v_readlane_b32 s36, v240, 61
	s_waitcnt lgkmcnt(1)
	v_cvt_f32_f16_e32 v10, v4
	v_cvt_f32_f16_sdwa v11, v4 dst_sel:DWORD dst_unused:UNUSED_PAD src0_sel:WORD_1
	v_cvt_f32_f16_e32 v4, v5
	v_cvt_f32_f16_sdwa v5, v5 dst_sel:DWORD dst_unused:UNUSED_PAD src0_sel:WORD_1
	v_mad_u64_u32 v[8:9], s[36:37], s36, v1, v[46:47]
	v_readlane_b32 s36, v239, 18
	v_pk_fma_f32 v[10:11], v[2:3], v[10:11], 0 op_sel_hi:[0,1,0]
	v_ashrrev_i32_e32 v9, 31, v8
	v_readlane_b32 s37, v239, 19
	s_waitcnt lgkmcnt(0)
	v_pk_fma_f32 v[4:5], v[6:7], v[4:5], v[10:11] op_sel_hi:[0,1,1]
	v_lshl_add_u64 v[8:9], v[8:9], 3, s[36:37]
	v_div_scale_f32 v1, s[36:37], v3, v3, v5
	v_rcp_f32_e32 v2, v1
	s_nop 0
	v_fma_f32 v6, -v1, v2, 1.0
	v_fmac_f32_e32 v2, v6, v2
	v_div_scale_f32 v6, vcc, v5, v3, v5
	v_mul_f32_e32 v7, v6, v2
	v_fma_f32 v10, -v1, v7, v6
	v_fmac_f32_e32 v7, v10, v2
	v_fma_f32 v1, -v1, v7, v6
	v_div_fmas_f32 v1, v1, v2, v7
	v_div_fixup_f32 v5, v1, v3, v5
	v_div_scale_f32 v1, s[36:37], v3, v3, v4
	v_rcp_f32_e32 v2, v1
	s_nop 0
	v_fma_f32 v6, -v1, v2, 1.0
	v_fmac_f32_e32 v2, v6, v2
	v_div_scale_f32 v6, vcc, v4, v3, v4
	v_mul_f32_e32 v7, v6, v2
	v_fma_f32 v10, -v1, v7, v6
	v_fmac_f32_e32 v7, v10, v2
	v_fma_f32 v1, -v1, v7, v6
	v_div_fmas_f32 v1, v1, v2, v7
	v_div_fixup_f32 v4, v1, v3, v4
	v_mov_b32_e32 v2, 0
	global_store_dwordx2 v[8:9], v[4:5], off
.LBB24_245:                             ;   in Loop: Header=BB24_14 Depth=1
	s_or_b64 exec, exec, s[34:35]
	s_movk_i32 s34, 0x47
	v_cmp_gt_i32_e32 vcc, s34, v2
	s_mov_b64 s[34:35], -1
	s_and_saveexec_b64 s[36:37], vcc
; %bb.246:                              ;   in Loop: Header=BB24_14 Depth=1
	v_cmp_eq_u32_e32 vcc, 0, v2
	s_orn2_b64 s[34:35], vcc, exec
; %bb.247:                              ;   in Loop: Header=BB24_14 Depth=1
	s_or_b64 exec, exec, s[36:37]
	s_and_b64 exec, exec, s[34:35]
	s_cbranch_execz .LBB24_12
; %bb.248:                              ;   in Loop: Header=BB24_14 Depth=1
	v_add_u32_e32 v1, s76, v150
	v_cmp_gt_i32_e32 vcc, s72, v1
	v_mov_b32_e32 v2, 0x47
	s_and_saveexec_b64 s[34:35], vcc
	s_cbranch_execz .LBB24_250
; %bb.249:                              ;   in Loop: Header=BB24_14 Depth=1
	v_add_u32_e32 v6, 0, v176
	v_add_u32_e32 v4, v140, v176
	ds_read2_b32 v[2:3], v6 offset0:64 offset1:65
	ds_read2st64_b32 v[4:5], v4 offset1:17
	ds_read_b32 v6, v6 offset:4608
	v_readlane_b32 s36, v240, 61
	s_waitcnt lgkmcnt(1)
	v_cvt_f32_f16_e32 v10, v4
	v_cvt_f32_f16_sdwa v11, v4 dst_sel:DWORD dst_unused:UNUSED_PAD src0_sel:WORD_1
	v_cvt_f32_f16_e32 v4, v5
	v_cvt_f32_f16_sdwa v5, v5 dst_sel:DWORD dst_unused:UNUSED_PAD src0_sel:WORD_1
	v_mad_u64_u32 v[8:9], s[36:37], s36, v1, v[46:47]
	v_readlane_b32 s36, v239, 18
	v_pk_fma_f32 v[10:11], v[2:3], v[10:11], 0 op_sel_hi:[0,1,0]
	v_ashrrev_i32_e32 v9, 31, v8
	v_readlane_b32 s37, v239, 19
	s_waitcnt lgkmcnt(0)
	v_pk_fma_f32 v[4:5], v[6:7], v[4:5], v[10:11] op_sel_hi:[0,1,1]
	v_lshl_add_u64 v[8:9], v[8:9], 3, s[36:37]
	v_div_scale_f32 v1, s[36:37], v3, v3, v5
	v_rcp_f32_e32 v2, v1
	s_nop 0
	v_fma_f32 v6, -v1, v2, 1.0
	v_fmac_f32_e32 v2, v6, v2
	v_div_scale_f32 v6, vcc, v5, v3, v5
	v_mul_f32_e32 v7, v6, v2
	v_fma_f32 v10, -v1, v7, v6
	v_fmac_f32_e32 v7, v10, v2
	v_fma_f32 v1, -v1, v7, v6
	v_div_fmas_f32 v1, v1, v2, v7
	v_div_fixup_f32 v5, v1, v3, v5
	v_div_scale_f32 v1, s[36:37], v3, v3, v4
	v_rcp_f32_e32 v2, v1
	s_nop 0
	v_fma_f32 v6, -v1, v2, 1.0
	v_fmac_f32_e32 v2, v6, v2
	v_div_scale_f32 v6, vcc, v4, v3, v4
	v_mul_f32_e32 v7, v6, v2
	v_fma_f32 v10, -v1, v7, v6
	v_fmac_f32_e32 v7, v10, v2
	v_fma_f32 v1, -v1, v7, v6
	v_div_fmas_f32 v1, v1, v2, v7
	v_div_fixup_f32 v4, v1, v3, v4
	v_mov_b32_e32 v2, 0
	global_store_dwordx2 v[8:9], v[4:5], off
.LBB24_250:                             ;   in Loop: Header=BB24_14 Depth=1
	s_or_b64 exec, exec, s[34:35]
	s_movk_i32 s34, 0x47
	v_cmp_gt_i32_e32 vcc, s34, v2
	s_mov_b64 s[34:35], -1
	s_and_saveexec_b64 s[36:37], vcc
; %bb.251:                              ;   in Loop: Header=BB24_14 Depth=1
	v_cmp_eq_u32_e32 vcc, 0, v2
	s_orn2_b64 s[34:35], vcc, exec
; %bb.252:                              ;   in Loop: Header=BB24_14 Depth=1
	s_or_b64 exec, exec, s[36:37]
	s_and_b64 exec, exec, s[34:35]
	s_cbranch_execz .LBB24_12
; %bb.253:                              ;   in Loop: Header=BB24_14 Depth=1
	v_add_u32_e32 v1, s76, v151
	v_cmp_gt_i32_e32 vcc, s72, v1
	v_mov_b32_e32 v2, 0x47
	s_and_saveexec_b64 s[34:35], vcc
	s_cbranch_execz .LBB24_255
; %bb.254:                              ;   in Loop: Header=BB24_14 Depth=1
	v_add_u32_e32 v6, 0, v177
	v_add_u32_e32 v4, v140, v177
	ds_read2_b32 v[2:3], v6 offset0:64 offset1:65
	ds_read2st64_b32 v[4:5], v4 offset1:17
	ds_read_b32 v6, v6 offset:4608
	v_readlane_b32 s36, v240, 61
	s_waitcnt lgkmcnt(1)
	v_cvt_f32_f16_e32 v10, v4
	v_cvt_f32_f16_sdwa v11, v4 dst_sel:DWORD dst_unused:UNUSED_PAD src0_sel:WORD_1
	v_cvt_f32_f16_e32 v4, v5
	v_cvt_f32_f16_sdwa v5, v5 dst_sel:DWORD dst_unused:UNUSED_PAD src0_sel:WORD_1
	v_mad_u64_u32 v[8:9], s[36:37], s36, v1, v[46:47]
	v_readlane_b32 s36, v239, 18
	v_pk_fma_f32 v[10:11], v[2:3], v[10:11], 0 op_sel_hi:[0,1,0]
	v_ashrrev_i32_e32 v9, 31, v8
	v_readlane_b32 s37, v239, 19
	s_waitcnt lgkmcnt(0)
	v_pk_fma_f32 v[4:5], v[6:7], v[4:5], v[10:11] op_sel_hi:[0,1,1]
	v_lshl_add_u64 v[8:9], v[8:9], 3, s[36:37]
	v_div_scale_f32 v1, s[36:37], v3, v3, v5
	v_rcp_f32_e32 v2, v1
	s_nop 0
	v_fma_f32 v6, -v1, v2, 1.0
	v_fmac_f32_e32 v2, v6, v2
	v_div_scale_f32 v6, vcc, v5, v3, v5
	v_mul_f32_e32 v7, v6, v2
	v_fma_f32 v10, -v1, v7, v6
	v_fmac_f32_e32 v7, v10, v2
	v_fma_f32 v1, -v1, v7, v6
	v_div_fmas_f32 v1, v1, v2, v7
	v_div_fixup_f32 v5, v1, v3, v5
	v_div_scale_f32 v1, s[36:37], v3, v3, v4
	v_rcp_f32_e32 v2, v1
	s_nop 0
	v_fma_f32 v6, -v1, v2, 1.0
	v_fmac_f32_e32 v2, v6, v2
	v_div_scale_f32 v6, vcc, v4, v3, v4
	v_mul_f32_e32 v7, v6, v2
	v_fma_f32 v10, -v1, v7, v6
	v_fmac_f32_e32 v7, v10, v2
	v_fma_f32 v1, -v1, v7, v6
	v_div_fmas_f32 v1, v1, v2, v7
	v_div_fixup_f32 v4, v1, v3, v4
	v_mov_b32_e32 v2, 0
	global_store_dwordx2 v[8:9], v[4:5], off
.LBB24_255:                             ;   in Loop: Header=BB24_14 Depth=1
	s_or_b64 exec, exec, s[34:35]
	s_movk_i32 s34, 0x47
	v_cmp_gt_i32_e32 vcc, s34, v2
	s_mov_b64 s[34:35], -1
	s_and_saveexec_b64 s[36:37], vcc
; %bb.256:                              ;   in Loop: Header=BB24_14 Depth=1
	v_cmp_eq_u32_e32 vcc, 0, v2
	s_orn2_b64 s[34:35], vcc, exec
; %bb.257:                              ;   in Loop: Header=BB24_14 Depth=1
	s_or_b64 exec, exec, s[36:37]
	s_and_b64 exec, exec, s[34:35]
	s_cbranch_execz .LBB24_12
; %bb.258:                              ;   in Loop: Header=BB24_14 Depth=1
	v_add_u32_e32 v1, s76, v152
	v_cmp_gt_i32_e32 vcc, s72, v1
	v_mov_b32_e32 v2, 0x47
	s_and_saveexec_b64 s[34:35], vcc
	s_cbranch_execz .LBB24_260
; %bb.259:                              ;   in Loop: Header=BB24_14 Depth=1
	v_add_u32_e32 v6, 0, v178
	v_add_u32_e32 v4, v140, v178
	ds_read2_b32 v[2:3], v6 offset0:64 offset1:65
	ds_read2st64_b32 v[4:5], v4 offset1:17
	ds_read_b32 v6, v6 offset:4608
	v_readlane_b32 s36, v240, 61
	s_waitcnt lgkmcnt(1)
	v_cvt_f32_f16_e32 v10, v4
	v_cvt_f32_f16_sdwa v11, v4 dst_sel:DWORD dst_unused:UNUSED_PAD src0_sel:WORD_1
	v_cvt_f32_f16_e32 v4, v5
	v_cvt_f32_f16_sdwa v5, v5 dst_sel:DWORD dst_unused:UNUSED_PAD src0_sel:WORD_1
	v_mad_u64_u32 v[8:9], s[36:37], s36, v1, v[46:47]
	v_readlane_b32 s36, v239, 18
	v_pk_fma_f32 v[10:11], v[2:3], v[10:11], 0 op_sel_hi:[0,1,0]
	v_ashrrev_i32_e32 v9, 31, v8
	v_readlane_b32 s37, v239, 19
	s_waitcnt lgkmcnt(0)
	v_pk_fma_f32 v[4:5], v[6:7], v[4:5], v[10:11] op_sel_hi:[0,1,1]
	v_lshl_add_u64 v[8:9], v[8:9], 3, s[36:37]
	v_div_scale_f32 v1, s[36:37], v3, v3, v5
	v_rcp_f32_e32 v2, v1
	s_nop 0
	v_fma_f32 v6, -v1, v2, 1.0
	v_fmac_f32_e32 v2, v6, v2
	v_div_scale_f32 v6, vcc, v5, v3, v5
	v_mul_f32_e32 v7, v6, v2
	v_fma_f32 v10, -v1, v7, v6
	v_fmac_f32_e32 v7, v10, v2
	v_fma_f32 v1, -v1, v7, v6
	v_div_fmas_f32 v1, v1, v2, v7
	v_div_fixup_f32 v5, v1, v3, v5
	v_div_scale_f32 v1, s[36:37], v3, v3, v4
	v_rcp_f32_e32 v2, v1
	s_nop 0
	v_fma_f32 v6, -v1, v2, 1.0
	v_fmac_f32_e32 v2, v6, v2
	v_div_scale_f32 v6, vcc, v4, v3, v4
	v_mul_f32_e32 v7, v6, v2
	v_fma_f32 v10, -v1, v7, v6
	v_fmac_f32_e32 v7, v10, v2
	v_fma_f32 v1, -v1, v7, v6
	v_div_fmas_f32 v1, v1, v2, v7
	v_div_fixup_f32 v4, v1, v3, v4
	v_mov_b32_e32 v2, 0
	global_store_dwordx2 v[8:9], v[4:5], off
.LBB24_260:                             ;   in Loop: Header=BB24_14 Depth=1
	s_or_b64 exec, exec, s[34:35]
	s_movk_i32 s34, 0x47
	v_cmp_gt_i32_e32 vcc, s34, v2
	s_mov_b64 s[34:35], -1
	s_and_saveexec_b64 s[36:37], vcc
; %bb.261:                              ;   in Loop: Header=BB24_14 Depth=1
	v_cmp_eq_u32_e32 vcc, 0, v2
	s_orn2_b64 s[34:35], vcc, exec
; %bb.262:                              ;   in Loop: Header=BB24_14 Depth=1
	s_or_b64 exec, exec, s[36:37]
	s_and_b64 exec, exec, s[34:35]
	s_cbranch_execz .LBB24_12
; %bb.263:                              ;   in Loop: Header=BB24_14 Depth=1
	v_add_u32_e32 v1, s76, v153
	v_cmp_gt_i32_e32 vcc, s72, v1
	v_mov_b32_e32 v2, 0x47
	s_and_saveexec_b64 s[34:35], vcc
	s_cbranch_execz .LBB24_265
; %bb.264:                              ;   in Loop: Header=BB24_14 Depth=1
	v_add_u32_e32 v6, 0, v179
	v_add_u32_e32 v4, v140, v179
	ds_read2_b32 v[2:3], v6 offset0:64 offset1:65
	ds_read2st64_b32 v[4:5], v4 offset1:17
	ds_read_b32 v6, v6 offset:4608
	v_readlane_b32 s36, v240, 61
	s_waitcnt lgkmcnt(1)
	v_cvt_f32_f16_e32 v10, v4
	v_cvt_f32_f16_sdwa v11, v4 dst_sel:DWORD dst_unused:UNUSED_PAD src0_sel:WORD_1
	v_cvt_f32_f16_e32 v4, v5
	v_cvt_f32_f16_sdwa v5, v5 dst_sel:DWORD dst_unused:UNUSED_PAD src0_sel:WORD_1
	v_mad_u64_u32 v[8:9], s[36:37], s36, v1, v[46:47]
	v_readlane_b32 s36, v239, 18
	v_pk_fma_f32 v[10:11], v[2:3], v[10:11], 0 op_sel_hi:[0,1,0]
	v_ashrrev_i32_e32 v9, 31, v8
	v_readlane_b32 s37, v239, 19
	s_waitcnt lgkmcnt(0)
	v_pk_fma_f32 v[4:5], v[6:7], v[4:5], v[10:11] op_sel_hi:[0,1,1]
	v_lshl_add_u64 v[8:9], v[8:9], 3, s[36:37]
	v_div_scale_f32 v1, s[36:37], v3, v3, v5
	v_rcp_f32_e32 v2, v1
	s_nop 0
	v_fma_f32 v6, -v1, v2, 1.0
	v_fmac_f32_e32 v2, v6, v2
	v_div_scale_f32 v6, vcc, v5, v3, v5
	v_mul_f32_e32 v7, v6, v2
	v_fma_f32 v10, -v1, v7, v6
	v_fmac_f32_e32 v7, v10, v2
	v_fma_f32 v1, -v1, v7, v6
	v_div_fmas_f32 v1, v1, v2, v7
	v_div_fixup_f32 v5, v1, v3, v5
	v_div_scale_f32 v1, s[36:37], v3, v3, v4
	v_rcp_f32_e32 v2, v1
	s_nop 0
	v_fma_f32 v6, -v1, v2, 1.0
	v_fmac_f32_e32 v2, v6, v2
	v_div_scale_f32 v6, vcc, v4, v3, v4
	v_mul_f32_e32 v7, v6, v2
	v_fma_f32 v10, -v1, v7, v6
	v_fmac_f32_e32 v7, v10, v2
	v_fma_f32 v1, -v1, v7, v6
	v_div_fmas_f32 v1, v1, v2, v7
	v_div_fixup_f32 v4, v1, v3, v4
	v_mov_b32_e32 v2, 0
	global_store_dwordx2 v[8:9], v[4:5], off
.LBB24_265:                             ;   in Loop: Header=BB24_14 Depth=1
	s_or_b64 exec, exec, s[34:35]
	s_movk_i32 s34, 0x47
	v_cmp_gt_i32_e32 vcc, s34, v2
	s_mov_b64 s[34:35], -1
	s_and_saveexec_b64 s[36:37], vcc
; %bb.266:                              ;   in Loop: Header=BB24_14 Depth=1
	v_cmp_eq_u32_e32 vcc, 0, v2
	s_orn2_b64 s[34:35], vcc, exec
; %bb.267:                              ;   in Loop: Header=BB24_14 Depth=1
	s_or_b64 exec, exec, s[36:37]
	s_and_b64 exec, exec, s[34:35]
	s_cbranch_execz .LBB24_12
; %bb.268:                              ;   in Loop: Header=BB24_14 Depth=1
	v_add_u32_e32 v1, s76, v154
	v_cmp_gt_i32_e32 vcc, s72, v1
	v_mov_b32_e32 v2, 0x47
	s_and_saveexec_b64 s[34:35], vcc
	s_cbranch_execz .LBB24_270
; %bb.269:                              ;   in Loop: Header=BB24_14 Depth=1
	v_add_u32_e32 v6, 0, v180
	v_add_u32_e32 v4, v140, v180
	ds_read2_b32 v[2:3], v6 offset0:64 offset1:65
	ds_read2st64_b32 v[4:5], v4 offset1:17
	ds_read_b32 v6, v6 offset:4608
	v_readlane_b32 s36, v240, 61
	s_waitcnt lgkmcnt(1)
	v_cvt_f32_f16_e32 v10, v4
	v_cvt_f32_f16_sdwa v11, v4 dst_sel:DWORD dst_unused:UNUSED_PAD src0_sel:WORD_1
	v_cvt_f32_f16_e32 v4, v5
	v_cvt_f32_f16_sdwa v5, v5 dst_sel:DWORD dst_unused:UNUSED_PAD src0_sel:WORD_1
	v_mad_u64_u32 v[8:9], s[36:37], s36, v1, v[46:47]
	v_readlane_b32 s36, v239, 18
	v_pk_fma_f32 v[10:11], v[2:3], v[10:11], 0 op_sel_hi:[0,1,0]
	v_ashrrev_i32_e32 v9, 31, v8
	v_readlane_b32 s37, v239, 19
	s_waitcnt lgkmcnt(0)
	v_pk_fma_f32 v[4:5], v[6:7], v[4:5], v[10:11] op_sel_hi:[0,1,1]
	v_lshl_add_u64 v[8:9], v[8:9], 3, s[36:37]
	v_div_scale_f32 v1, s[36:37], v3, v3, v5
	v_rcp_f32_e32 v2, v1
	s_nop 0
	v_fma_f32 v6, -v1, v2, 1.0
	v_fmac_f32_e32 v2, v6, v2
	v_div_scale_f32 v6, vcc, v5, v3, v5
	v_mul_f32_e32 v7, v6, v2
	v_fma_f32 v10, -v1, v7, v6
	v_fmac_f32_e32 v7, v10, v2
	v_fma_f32 v1, -v1, v7, v6
	v_div_fmas_f32 v1, v1, v2, v7
	v_div_fixup_f32 v5, v1, v3, v5
	v_div_scale_f32 v1, s[36:37], v3, v3, v4
	v_rcp_f32_e32 v2, v1
	s_nop 0
	v_fma_f32 v6, -v1, v2, 1.0
	v_fmac_f32_e32 v2, v6, v2
	v_div_scale_f32 v6, vcc, v4, v3, v4
	v_mul_f32_e32 v7, v6, v2
	v_fma_f32 v10, -v1, v7, v6
	v_fmac_f32_e32 v7, v10, v2
	v_fma_f32 v1, -v1, v7, v6
	v_div_fmas_f32 v1, v1, v2, v7
	v_div_fixup_f32 v4, v1, v3, v4
	v_mov_b32_e32 v2, 0
	global_store_dwordx2 v[8:9], v[4:5], off
.LBB24_270:                             ;   in Loop: Header=BB24_14 Depth=1
	s_or_b64 exec, exec, s[34:35]
	s_movk_i32 s34, 0x47
	v_cmp_gt_i32_e32 vcc, s34, v2
	s_mov_b64 s[34:35], -1
	s_and_saveexec_b64 s[36:37], vcc
; %bb.271:                              ;   in Loop: Header=BB24_14 Depth=1
	v_cmp_eq_u32_e32 vcc, 0, v2
	s_orn2_b64 s[34:35], vcc, exec
; %bb.272:                              ;   in Loop: Header=BB24_14 Depth=1
	s_or_b64 exec, exec, s[36:37]
	s_and_b64 exec, exec, s[34:35]
	s_cbranch_execz .LBB24_12
; %bb.273:                              ;   in Loop: Header=BB24_14 Depth=1
	v_add_u32_e32 v1, s76, v155
	v_cmp_gt_i32_e32 vcc, s72, v1
	v_mov_b32_e32 v2, 0x47
	s_and_saveexec_b64 s[34:35], vcc
	s_cbranch_execz .LBB24_275
; %bb.274:                              ;   in Loop: Header=BB24_14 Depth=1
	v_add_u32_e32 v6, 0, v181
	v_add_u32_e32 v4, v140, v181
	ds_read2_b32 v[2:3], v6 offset0:64 offset1:65
	ds_read2st64_b32 v[4:5], v4 offset1:17
	ds_read_b32 v6, v6 offset:4608
	v_readlane_b32 s36, v240, 61
	s_waitcnt lgkmcnt(1)
	v_cvt_f32_f16_e32 v10, v4
	v_cvt_f32_f16_sdwa v11, v4 dst_sel:DWORD dst_unused:UNUSED_PAD src0_sel:WORD_1
	v_cvt_f32_f16_e32 v4, v5
	v_cvt_f32_f16_sdwa v5, v5 dst_sel:DWORD dst_unused:UNUSED_PAD src0_sel:WORD_1
	v_mad_u64_u32 v[8:9], s[36:37], s36, v1, v[46:47]
	v_readlane_b32 s36, v239, 18
	v_pk_fma_f32 v[10:11], v[2:3], v[10:11], 0 op_sel_hi:[0,1,0]
	v_ashrrev_i32_e32 v9, 31, v8
	v_readlane_b32 s37, v239, 19
	s_waitcnt lgkmcnt(0)
	v_pk_fma_f32 v[4:5], v[6:7], v[4:5], v[10:11] op_sel_hi:[0,1,1]
	v_lshl_add_u64 v[8:9], v[8:9], 3, s[36:37]
	v_div_scale_f32 v1, s[36:37], v3, v3, v5
	v_rcp_f32_e32 v2, v1
	s_nop 0
	v_fma_f32 v6, -v1, v2, 1.0
	v_fmac_f32_e32 v2, v6, v2
	v_div_scale_f32 v6, vcc, v5, v3, v5
	v_mul_f32_e32 v7, v6, v2
	v_fma_f32 v10, -v1, v7, v6
	v_fmac_f32_e32 v7, v10, v2
	v_fma_f32 v1, -v1, v7, v6
	v_div_fmas_f32 v1, v1, v2, v7
	v_div_fixup_f32 v5, v1, v3, v5
	v_div_scale_f32 v1, s[36:37], v3, v3, v4
	v_rcp_f32_e32 v2, v1
	s_nop 0
	v_fma_f32 v6, -v1, v2, 1.0
	v_fmac_f32_e32 v2, v6, v2
	v_div_scale_f32 v6, vcc, v4, v3, v4
	v_mul_f32_e32 v7, v6, v2
	v_fma_f32 v10, -v1, v7, v6
	v_fmac_f32_e32 v7, v10, v2
	v_fma_f32 v1, -v1, v7, v6
	v_div_fmas_f32 v1, v1, v2, v7
	v_div_fixup_f32 v4, v1, v3, v4
	v_mov_b32_e32 v2, 0
	global_store_dwordx2 v[8:9], v[4:5], off
.LBB24_275:                             ;   in Loop: Header=BB24_14 Depth=1
	s_or_b64 exec, exec, s[34:35]
	s_movk_i32 s34, 0x47
	v_cmp_gt_i32_e32 vcc, s34, v2
	s_mov_b64 s[34:35], -1
	s_and_saveexec_b64 s[36:37], vcc
; %bb.276:                              ;   in Loop: Header=BB24_14 Depth=1
	v_cmp_eq_u32_e32 vcc, 0, v2
	s_orn2_b64 s[34:35], vcc, exec
; %bb.277:                              ;   in Loop: Header=BB24_14 Depth=1
	s_or_b64 exec, exec, s[36:37]
	s_and_b64 exec, exec, s[34:35]
	s_cbranch_execz .LBB24_12
; %bb.278:                              ;   in Loop: Header=BB24_14 Depth=1
	v_add_u32_e32 v1, s76, v156
	v_cmp_gt_i32_e32 vcc, s72, v1
	v_mov_b32_e32 v2, 0x47
	s_and_saveexec_b64 s[34:35], vcc
	s_cbranch_execz .LBB24_280
; %bb.279:                              ;   in Loop: Header=BB24_14 Depth=1
	v_add_u32_e32 v6, 0, v182
	v_add_u32_e32 v4, v140, v182
	ds_read2_b32 v[2:3], v6 offset0:64 offset1:65
	ds_read2st64_b32 v[4:5], v4 offset1:17
	ds_read_b32 v6, v6 offset:4608
	v_readlane_b32 s36, v240, 61
	s_waitcnt lgkmcnt(1)
	v_cvt_f32_f16_e32 v10, v4
	v_cvt_f32_f16_sdwa v11, v4 dst_sel:DWORD dst_unused:UNUSED_PAD src0_sel:WORD_1
	v_cvt_f32_f16_e32 v4, v5
	v_cvt_f32_f16_sdwa v5, v5 dst_sel:DWORD dst_unused:UNUSED_PAD src0_sel:WORD_1
	v_mad_u64_u32 v[8:9], s[36:37], s36, v1, v[46:47]
	v_readlane_b32 s36, v239, 18
	v_pk_fma_f32 v[10:11], v[2:3], v[10:11], 0 op_sel_hi:[0,1,0]
	v_ashrrev_i32_e32 v9, 31, v8
	v_readlane_b32 s37, v239, 19
	s_waitcnt lgkmcnt(0)
	v_pk_fma_f32 v[4:5], v[6:7], v[4:5], v[10:11] op_sel_hi:[0,1,1]
	v_lshl_add_u64 v[8:9], v[8:9], 3, s[36:37]
	v_div_scale_f32 v1, s[36:37], v3, v3, v5
	v_rcp_f32_e32 v2, v1
	s_nop 0
	v_fma_f32 v6, -v1, v2, 1.0
	v_fmac_f32_e32 v2, v6, v2
	v_div_scale_f32 v6, vcc, v5, v3, v5
	v_mul_f32_e32 v7, v6, v2
	v_fma_f32 v10, -v1, v7, v6
	v_fmac_f32_e32 v7, v10, v2
	v_fma_f32 v1, -v1, v7, v6
	v_div_fmas_f32 v1, v1, v2, v7
	v_div_fixup_f32 v5, v1, v3, v5
	v_div_scale_f32 v1, s[36:37], v3, v3, v4
	v_rcp_f32_e32 v2, v1
	s_nop 0
	v_fma_f32 v6, -v1, v2, 1.0
	v_fmac_f32_e32 v2, v6, v2
	v_div_scale_f32 v6, vcc, v4, v3, v4
	v_mul_f32_e32 v7, v6, v2
	v_fma_f32 v10, -v1, v7, v6
	v_fmac_f32_e32 v7, v10, v2
	v_fma_f32 v1, -v1, v7, v6
	v_div_fmas_f32 v1, v1, v2, v7
	v_div_fixup_f32 v4, v1, v3, v4
	v_mov_b32_e32 v2, 0
	global_store_dwordx2 v[8:9], v[4:5], off
.LBB24_280:                             ;   in Loop: Header=BB24_14 Depth=1
	s_or_b64 exec, exec, s[34:35]
	s_movk_i32 s34, 0x47
	v_cmp_gt_i32_e32 vcc, s34, v2
	s_mov_b64 s[34:35], -1
	s_and_saveexec_b64 s[36:37], vcc
; %bb.281:                              ;   in Loop: Header=BB24_14 Depth=1
	v_cmp_eq_u32_e32 vcc, 0, v2
	s_orn2_b64 s[34:35], vcc, exec
; %bb.282:                              ;   in Loop: Header=BB24_14 Depth=1
	s_or_b64 exec, exec, s[36:37]
	s_and_b64 exec, exec, s[34:35]
	s_cbranch_execz .LBB24_12
; %bb.283:                              ;   in Loop: Header=BB24_14 Depth=1
	v_add_u32_e32 v1, s76, v157
	v_cmp_gt_i32_e32 vcc, s72, v1
	v_mov_b32_e32 v2, 0x47
	s_and_saveexec_b64 s[34:35], vcc
	s_cbranch_execz .LBB24_285
; %bb.284:                              ;   in Loop: Header=BB24_14 Depth=1
	v_add_u32_e32 v6, 0, v183
	v_add_u32_e32 v4, v140, v183
	ds_read2_b32 v[2:3], v6 offset0:64 offset1:65
	ds_read2st64_b32 v[4:5], v4 offset1:17
	ds_read_b32 v6, v6 offset:4608
	v_readlane_b32 s36, v240, 61
	s_waitcnt lgkmcnt(1)
	v_cvt_f32_f16_e32 v10, v4
	v_cvt_f32_f16_sdwa v11, v4 dst_sel:DWORD dst_unused:UNUSED_PAD src0_sel:WORD_1
	v_cvt_f32_f16_e32 v4, v5
	v_cvt_f32_f16_sdwa v5, v5 dst_sel:DWORD dst_unused:UNUSED_PAD src0_sel:WORD_1
	v_mad_u64_u32 v[8:9], s[36:37], s36, v1, v[46:47]
	v_readlane_b32 s36, v239, 18
	v_pk_fma_f32 v[10:11], v[2:3], v[10:11], 0 op_sel_hi:[0,1,0]
	v_ashrrev_i32_e32 v9, 31, v8
	v_readlane_b32 s37, v239, 19
	s_waitcnt lgkmcnt(0)
	v_pk_fma_f32 v[4:5], v[6:7], v[4:5], v[10:11] op_sel_hi:[0,1,1]
	v_lshl_add_u64 v[8:9], v[8:9], 3, s[36:37]
	v_div_scale_f32 v1, s[36:37], v3, v3, v5
	v_rcp_f32_e32 v2, v1
	s_nop 0
	v_fma_f32 v6, -v1, v2, 1.0
	v_fmac_f32_e32 v2, v6, v2
	v_div_scale_f32 v6, vcc, v5, v3, v5
	v_mul_f32_e32 v7, v6, v2
	v_fma_f32 v10, -v1, v7, v6
	v_fmac_f32_e32 v7, v10, v2
	v_fma_f32 v1, -v1, v7, v6
	v_div_fmas_f32 v1, v1, v2, v7
	v_div_fixup_f32 v5, v1, v3, v5
	v_div_scale_f32 v1, s[36:37], v3, v3, v4
	v_rcp_f32_e32 v2, v1
	s_nop 0
	v_fma_f32 v6, -v1, v2, 1.0
	v_fmac_f32_e32 v2, v6, v2
	v_div_scale_f32 v6, vcc, v4, v3, v4
	v_mul_f32_e32 v7, v6, v2
	v_fma_f32 v10, -v1, v7, v6
	v_fmac_f32_e32 v7, v10, v2
	v_fma_f32 v1, -v1, v7, v6
	v_div_fmas_f32 v1, v1, v2, v7
	v_div_fixup_f32 v4, v1, v3, v4
	v_mov_b32_e32 v2, 0
	global_store_dwordx2 v[8:9], v[4:5], off
.LBB24_285:                             ;   in Loop: Header=BB24_14 Depth=1
	s_or_b64 exec, exec, s[34:35]
	s_movk_i32 s34, 0x47
	v_cmp_gt_i32_e32 vcc, s34, v2
	s_mov_b64 s[34:35], -1
	s_and_saveexec_b64 s[36:37], vcc
; %bb.286:                              ;   in Loop: Header=BB24_14 Depth=1
	v_cmp_eq_u32_e32 vcc, 0, v2
	s_orn2_b64 s[34:35], vcc, exec
; %bb.287:                              ;   in Loop: Header=BB24_14 Depth=1
	s_or_b64 exec, exec, s[36:37]
	s_and_b64 exec, exec, s[34:35]
	s_cbranch_execz .LBB24_12
; %bb.288:                              ;   in Loop: Header=BB24_14 Depth=1
	v_add_u32_e32 v1, s76, v158
	v_cmp_gt_i32_e32 vcc, s72, v1
	v_mov_b32_e32 v2, 0x47
	s_and_saveexec_b64 s[34:35], vcc
	s_cbranch_execz .LBB24_290
; %bb.289:                              ;   in Loop: Header=BB24_14 Depth=1
	v_add_u32_e32 v6, 0, v184
	v_add_u32_e32 v4, v140, v184
	ds_read2_b32 v[2:3], v6 offset0:64 offset1:65
	ds_read2st64_b32 v[4:5], v4 offset1:17
	ds_read_b32 v6, v6 offset:4608
	v_readlane_b32 s36, v240, 61
	s_waitcnt lgkmcnt(1)
	v_cvt_f32_f16_e32 v10, v4
	v_cvt_f32_f16_sdwa v11, v4 dst_sel:DWORD dst_unused:UNUSED_PAD src0_sel:WORD_1
	v_cvt_f32_f16_e32 v4, v5
	v_cvt_f32_f16_sdwa v5, v5 dst_sel:DWORD dst_unused:UNUSED_PAD src0_sel:WORD_1
	v_mad_u64_u32 v[8:9], s[36:37], s36, v1, v[46:47]
	v_readlane_b32 s36, v239, 18
	v_pk_fma_f32 v[10:11], v[2:3], v[10:11], 0 op_sel_hi:[0,1,0]
	v_ashrrev_i32_e32 v9, 31, v8
	v_readlane_b32 s37, v239, 19
	s_waitcnt lgkmcnt(0)
	v_pk_fma_f32 v[4:5], v[6:7], v[4:5], v[10:11] op_sel_hi:[0,1,1]
	v_lshl_add_u64 v[8:9], v[8:9], 3, s[36:37]
	v_div_scale_f32 v1, s[36:37], v3, v3, v5
	v_rcp_f32_e32 v2, v1
	s_nop 0
	v_fma_f32 v6, -v1, v2, 1.0
	v_fmac_f32_e32 v2, v6, v2
	v_div_scale_f32 v6, vcc, v5, v3, v5
	v_mul_f32_e32 v7, v6, v2
	v_fma_f32 v10, -v1, v7, v6
	v_fmac_f32_e32 v7, v10, v2
	v_fma_f32 v1, -v1, v7, v6
	v_div_fmas_f32 v1, v1, v2, v7
	v_div_fixup_f32 v5, v1, v3, v5
	v_div_scale_f32 v1, s[36:37], v3, v3, v4
	v_rcp_f32_e32 v2, v1
	s_nop 0
	v_fma_f32 v6, -v1, v2, 1.0
	v_fmac_f32_e32 v2, v6, v2
	v_div_scale_f32 v6, vcc, v4, v3, v4
	v_mul_f32_e32 v7, v6, v2
	v_fma_f32 v10, -v1, v7, v6
	v_fmac_f32_e32 v7, v10, v2
	v_fma_f32 v1, -v1, v7, v6
	v_div_fmas_f32 v1, v1, v2, v7
	v_div_fixup_f32 v4, v1, v3, v4
	v_mov_b32_e32 v2, 0
	global_store_dwordx2 v[8:9], v[4:5], off
.LBB24_290:                             ;   in Loop: Header=BB24_14 Depth=1
	s_or_b64 exec, exec, s[34:35]
	s_movk_i32 s34, 0x47
	v_cmp_gt_i32_e32 vcc, s34, v2
	s_mov_b64 s[34:35], -1
	s_and_saveexec_b64 s[36:37], vcc
; %bb.291:                              ;   in Loop: Header=BB24_14 Depth=1
	v_cmp_eq_u32_e32 vcc, 0, v2
	s_orn2_b64 s[34:35], vcc, exec
; %bb.292:                              ;   in Loop: Header=BB24_14 Depth=1
	s_or_b64 exec, exec, s[36:37]
	s_and_b64 exec, exec, s[34:35]
	s_cbranch_execz .LBB24_12
; %bb.293:                              ;   in Loop: Header=BB24_14 Depth=1
	v_add_u32_e32 v1, s76, v159
	v_cmp_gt_i32_e32 vcc, s72, v1
	v_mov_b32_e32 v2, 0x47
	s_and_saveexec_b64 s[34:35], vcc
	s_cbranch_execz .LBB24_295
; %bb.294:                              ;   in Loop: Header=BB24_14 Depth=1
	v_add_u32_e32 v6, 0, v185
	v_add_u32_e32 v4, v140, v185
	ds_read2_b32 v[2:3], v6 offset0:64 offset1:65
	ds_read2st64_b32 v[4:5], v4 offset1:17
	ds_read_b32 v6, v6 offset:4608
	v_readlane_b32 s36, v240, 61
	s_waitcnt lgkmcnt(1)
	v_cvt_f32_f16_e32 v10, v4
	v_cvt_f32_f16_sdwa v11, v4 dst_sel:DWORD dst_unused:UNUSED_PAD src0_sel:WORD_1
	v_cvt_f32_f16_e32 v4, v5
	v_cvt_f32_f16_sdwa v5, v5 dst_sel:DWORD dst_unused:UNUSED_PAD src0_sel:WORD_1
	v_mad_u64_u32 v[8:9], s[36:37], s36, v1, v[46:47]
	v_readlane_b32 s36, v239, 18
	v_pk_fma_f32 v[10:11], v[2:3], v[10:11], 0 op_sel_hi:[0,1,0]
	v_ashrrev_i32_e32 v9, 31, v8
	v_readlane_b32 s37, v239, 19
	s_waitcnt lgkmcnt(0)
	v_pk_fma_f32 v[4:5], v[6:7], v[4:5], v[10:11] op_sel_hi:[0,1,1]
	v_lshl_add_u64 v[8:9], v[8:9], 3, s[36:37]
	v_div_scale_f32 v1, s[36:37], v3, v3, v5
	v_rcp_f32_e32 v2, v1
	s_nop 0
	v_fma_f32 v6, -v1, v2, 1.0
	v_fmac_f32_e32 v2, v6, v2
	v_div_scale_f32 v6, vcc, v5, v3, v5
	v_mul_f32_e32 v7, v6, v2
	v_fma_f32 v10, -v1, v7, v6
	v_fmac_f32_e32 v7, v10, v2
	v_fma_f32 v1, -v1, v7, v6
	v_div_fmas_f32 v1, v1, v2, v7
	v_div_fixup_f32 v5, v1, v3, v5
	v_div_scale_f32 v1, s[36:37], v3, v3, v4
	v_rcp_f32_e32 v2, v1
	s_nop 0
	v_fma_f32 v6, -v1, v2, 1.0
	v_fmac_f32_e32 v2, v6, v2
	v_div_scale_f32 v6, vcc, v4, v3, v4
	v_mul_f32_e32 v7, v6, v2
	v_fma_f32 v10, -v1, v7, v6
	v_fmac_f32_e32 v7, v10, v2
	v_fma_f32 v1, -v1, v7, v6
	v_div_fmas_f32 v1, v1, v2, v7
	v_div_fixup_f32 v4, v1, v3, v4
	v_mov_b32_e32 v2, 0
	global_store_dwordx2 v[8:9], v[4:5], off
.LBB24_295:                             ;   in Loop: Header=BB24_14 Depth=1
	s_or_b64 exec, exec, s[34:35]
	s_movk_i32 s34, 0x47
	v_cmp_gt_i32_e32 vcc, s34, v2
	s_mov_b64 s[34:35], -1
	s_and_saveexec_b64 s[36:37], vcc
; %bb.296:                              ;   in Loop: Header=BB24_14 Depth=1
	v_cmp_eq_u32_e32 vcc, 0, v2
	s_orn2_b64 s[34:35], vcc, exec
; %bb.297:                              ;   in Loop: Header=BB24_14 Depth=1
	s_or_b64 exec, exec, s[36:37]
	s_and_b64 exec, exec, s[34:35]
	s_cbranch_execz .LBB24_12
; %bb.298:                              ;   in Loop: Header=BB24_14 Depth=1
	v_add_u32_e32 v1, s76, v160
	v_cmp_gt_i32_e32 vcc, s72, v1
	v_mov_b32_e32 v2, 0x47
	s_and_saveexec_b64 s[34:35], vcc
	s_cbranch_execz .LBB24_300
; %bb.299:                              ;   in Loop: Header=BB24_14 Depth=1
	v_add_u32_e32 v6, 0, v186
	v_add_u32_e32 v4, v140, v186
	ds_read2_b32 v[2:3], v6 offset0:64 offset1:65
	ds_read2st64_b32 v[4:5], v4 offset1:17
	ds_read_b32 v6, v6 offset:4608
	v_readlane_b32 s36, v240, 61
	s_waitcnt lgkmcnt(1)
	v_cvt_f32_f16_e32 v10, v4
	v_cvt_f32_f16_sdwa v11, v4 dst_sel:DWORD dst_unused:UNUSED_PAD src0_sel:WORD_1
	v_cvt_f32_f16_e32 v4, v5
	v_cvt_f32_f16_sdwa v5, v5 dst_sel:DWORD dst_unused:UNUSED_PAD src0_sel:WORD_1
	v_mad_u64_u32 v[8:9], s[36:37], s36, v1, v[46:47]
	v_readlane_b32 s36, v239, 18
	v_pk_fma_f32 v[10:11], v[2:3], v[10:11], 0 op_sel_hi:[0,1,0]
	v_ashrrev_i32_e32 v9, 31, v8
	v_readlane_b32 s37, v239, 19
	s_waitcnt lgkmcnt(0)
	v_pk_fma_f32 v[4:5], v[6:7], v[4:5], v[10:11] op_sel_hi:[0,1,1]
	v_lshl_add_u64 v[8:9], v[8:9], 3, s[36:37]
	v_div_scale_f32 v1, s[36:37], v3, v3, v5
	v_rcp_f32_e32 v2, v1
	s_nop 0
	v_fma_f32 v6, -v1, v2, 1.0
	v_fmac_f32_e32 v2, v6, v2
	v_div_scale_f32 v6, vcc, v5, v3, v5
	v_mul_f32_e32 v7, v6, v2
	v_fma_f32 v10, -v1, v7, v6
	v_fmac_f32_e32 v7, v10, v2
	v_fma_f32 v1, -v1, v7, v6
	v_div_fmas_f32 v1, v1, v2, v7
	v_div_fixup_f32 v5, v1, v3, v5
	v_div_scale_f32 v1, s[36:37], v3, v3, v4
	v_rcp_f32_e32 v2, v1
	s_nop 0
	v_fma_f32 v6, -v1, v2, 1.0
	v_fmac_f32_e32 v2, v6, v2
	v_div_scale_f32 v6, vcc, v4, v3, v4
	v_mul_f32_e32 v7, v6, v2
	v_fma_f32 v10, -v1, v7, v6
	v_fmac_f32_e32 v7, v10, v2
	v_fma_f32 v1, -v1, v7, v6
	v_div_fmas_f32 v1, v1, v2, v7
	v_div_fixup_f32 v4, v1, v3, v4
	v_mov_b32_e32 v2, 0
	global_store_dwordx2 v[8:9], v[4:5], off
.LBB24_300:                             ;   in Loop: Header=BB24_14 Depth=1
	s_or_b64 exec, exec, s[34:35]
	s_movk_i32 s34, 0x47
	v_cmp_gt_i32_e32 vcc, s34, v2
	s_mov_b64 s[34:35], -1
	s_and_saveexec_b64 s[36:37], vcc
; %bb.301:                              ;   in Loop: Header=BB24_14 Depth=1
	v_cmp_eq_u32_e32 vcc, 0, v2
	s_orn2_b64 s[34:35], vcc, exec
; %bb.302:                              ;   in Loop: Header=BB24_14 Depth=1
	s_or_b64 exec, exec, s[36:37]
	s_and_b64 exec, exec, s[34:35]
	s_cbranch_execz .LBB24_12
; %bb.303:                              ;   in Loop: Header=BB24_14 Depth=1
	v_add_u32_e32 v1, s76, v161
	v_cmp_gt_i32_e32 vcc, s72, v1
	v_mov_b32_e32 v2, 0x47
	s_and_saveexec_b64 s[34:35], vcc
	s_cbranch_execz .LBB24_305
; %bb.304:                              ;   in Loop: Header=BB24_14 Depth=1
	v_add_u32_e32 v6, 0, v187
	v_add_u32_e32 v4, v140, v187
	ds_read2_b32 v[2:3], v6 offset0:64 offset1:65
	ds_read2st64_b32 v[4:5], v4 offset1:17
	ds_read_b32 v6, v6 offset:4608
	v_readlane_b32 s36, v240, 61
	s_waitcnt lgkmcnt(1)
	v_cvt_f32_f16_e32 v10, v4
	v_cvt_f32_f16_sdwa v11, v4 dst_sel:DWORD dst_unused:UNUSED_PAD src0_sel:WORD_1
	v_cvt_f32_f16_e32 v4, v5
	v_cvt_f32_f16_sdwa v5, v5 dst_sel:DWORD dst_unused:UNUSED_PAD src0_sel:WORD_1
	v_mad_u64_u32 v[8:9], s[36:37], s36, v1, v[46:47]
	v_readlane_b32 s36, v239, 18
	v_pk_fma_f32 v[10:11], v[2:3], v[10:11], 0 op_sel_hi:[0,1,0]
	v_ashrrev_i32_e32 v9, 31, v8
	v_readlane_b32 s37, v239, 19
	s_waitcnt lgkmcnt(0)
	v_pk_fma_f32 v[4:5], v[6:7], v[4:5], v[10:11] op_sel_hi:[0,1,1]
	v_lshl_add_u64 v[8:9], v[8:9], 3, s[36:37]
	v_div_scale_f32 v1, s[36:37], v3, v3, v5
	v_rcp_f32_e32 v2, v1
	s_nop 0
	v_fma_f32 v6, -v1, v2, 1.0
	v_fmac_f32_e32 v2, v6, v2
	v_div_scale_f32 v6, vcc, v5, v3, v5
	v_mul_f32_e32 v7, v6, v2
	v_fma_f32 v10, -v1, v7, v6
	v_fmac_f32_e32 v7, v10, v2
	v_fma_f32 v1, -v1, v7, v6
	v_div_fmas_f32 v1, v1, v2, v7
	v_div_fixup_f32 v5, v1, v3, v5
	v_div_scale_f32 v1, s[36:37], v3, v3, v4
	v_rcp_f32_e32 v2, v1
	s_nop 0
	v_fma_f32 v6, -v1, v2, 1.0
	v_fmac_f32_e32 v2, v6, v2
	v_div_scale_f32 v6, vcc, v4, v3, v4
	v_mul_f32_e32 v7, v6, v2
	v_fma_f32 v10, -v1, v7, v6
	v_fmac_f32_e32 v7, v10, v2
	v_fma_f32 v1, -v1, v7, v6
	v_div_fmas_f32 v1, v1, v2, v7
	v_div_fixup_f32 v4, v1, v3, v4
	v_mov_b32_e32 v2, 0
	global_store_dwordx2 v[8:9], v[4:5], off
.LBB24_305:                             ;   in Loop: Header=BB24_14 Depth=1
	s_or_b64 exec, exec, s[34:35]
	s_movk_i32 s34, 0x47
	v_cmp_gt_i32_e32 vcc, s34, v2
	s_mov_b64 s[34:35], -1
	s_and_saveexec_b64 s[36:37], vcc
; %bb.306:                              ;   in Loop: Header=BB24_14 Depth=1
	v_cmp_eq_u32_e32 vcc, 0, v2
	s_orn2_b64 s[34:35], vcc, exec
; %bb.307:                              ;   in Loop: Header=BB24_14 Depth=1
	s_or_b64 exec, exec, s[36:37]
	s_and_b64 exec, exec, s[34:35]
	s_cbranch_execz .LBB24_12
; %bb.308:                              ;   in Loop: Header=BB24_14 Depth=1
	v_add_u32_e32 v1, s76, v162
	v_cmp_gt_i32_e32 vcc, s72, v1
	v_mov_b32_e32 v2, 0x47
	s_and_saveexec_b64 s[34:35], vcc
	s_cbranch_execz .LBB24_310
; %bb.309:                              ;   in Loop: Header=BB24_14 Depth=1
	v_add_u32_e32 v6, 0, v188
	v_add_u32_e32 v4, v140, v188
	ds_read2_b32 v[2:3], v6 offset0:64 offset1:65
	ds_read2st64_b32 v[4:5], v4 offset1:17
	ds_read_b32 v6, v6 offset:4608
	v_readlane_b32 s36, v240, 61
	s_waitcnt lgkmcnt(1)
	v_cvt_f32_f16_e32 v10, v4
	v_cvt_f32_f16_sdwa v11, v4 dst_sel:DWORD dst_unused:UNUSED_PAD src0_sel:WORD_1
	v_cvt_f32_f16_e32 v4, v5
	v_cvt_f32_f16_sdwa v5, v5 dst_sel:DWORD dst_unused:UNUSED_PAD src0_sel:WORD_1
	v_mad_u64_u32 v[8:9], s[36:37], s36, v1, v[46:47]
	v_readlane_b32 s36, v239, 18
	v_pk_fma_f32 v[10:11], v[2:3], v[10:11], 0 op_sel_hi:[0,1,0]
	v_ashrrev_i32_e32 v9, 31, v8
	v_readlane_b32 s37, v239, 19
	s_waitcnt lgkmcnt(0)
	v_pk_fma_f32 v[4:5], v[6:7], v[4:5], v[10:11] op_sel_hi:[0,1,1]
	v_lshl_add_u64 v[8:9], v[8:9], 3, s[36:37]
	v_div_scale_f32 v1, s[36:37], v3, v3, v5
	v_rcp_f32_e32 v2, v1
	s_nop 0
	v_fma_f32 v6, -v1, v2, 1.0
	v_fmac_f32_e32 v2, v6, v2
	v_div_scale_f32 v6, vcc, v5, v3, v5
	v_mul_f32_e32 v7, v6, v2
	v_fma_f32 v10, -v1, v7, v6
	v_fmac_f32_e32 v7, v10, v2
	v_fma_f32 v1, -v1, v7, v6
	v_div_fmas_f32 v1, v1, v2, v7
	v_div_fixup_f32 v5, v1, v3, v5
	v_div_scale_f32 v1, s[36:37], v3, v3, v4
	v_rcp_f32_e32 v2, v1
	s_nop 0
	v_fma_f32 v6, -v1, v2, 1.0
	v_fmac_f32_e32 v2, v6, v2
	v_div_scale_f32 v6, vcc, v4, v3, v4
	v_mul_f32_e32 v7, v6, v2
	v_fma_f32 v10, -v1, v7, v6
	v_fmac_f32_e32 v7, v10, v2
	v_fma_f32 v1, -v1, v7, v6
	v_div_fmas_f32 v1, v1, v2, v7
	v_div_fixup_f32 v4, v1, v3, v4
	v_mov_b32_e32 v2, 0
	global_store_dwordx2 v[8:9], v[4:5], off
.LBB24_310:                             ;   in Loop: Header=BB24_14 Depth=1
	s_or_b64 exec, exec, s[34:35]
	s_movk_i32 s34, 0x47
	v_cmp_gt_i32_e32 vcc, s34, v2
	s_mov_b64 s[34:35], -1
	s_and_saveexec_b64 s[36:37], vcc
; %bb.311:                              ;   in Loop: Header=BB24_14 Depth=1
	v_cmp_eq_u32_e32 vcc, 0, v2
	s_orn2_b64 s[34:35], vcc, exec
; %bb.312:                              ;   in Loop: Header=BB24_14 Depth=1
	s_or_b64 exec, exec, s[36:37]
	s_and_b64 exec, exec, s[34:35]
	s_cbranch_execz .LBB24_12
; %bb.313:                              ;   in Loop: Header=BB24_14 Depth=1
	v_add_u32_e32 v1, s76, v163
	v_cmp_gt_i32_e32 vcc, s72, v1
	s_and_b64 exec, exec, vcc
	s_cbranch_execz .LBB24_12
; %bb.314:                              ;   in Loop: Header=BB24_14 Depth=1
	v_add_u32_e32 v2, v140, v189
	ds_read2st64_b32 v[2:3], v2 offset1:17
	v_add_u32_e32 v6, 0, v189
	ds_read2_b32 v[4:5], v6 offset0:64 offset1:65
	ds_read_b32 v6, v6 offset:4608
	s_waitcnt lgkmcnt(2)
	v_cvt_f32_f16_e32 v8, v2
	v_cvt_f32_f16_sdwa v9, v2 dst_sel:DWORD dst_unused:UNUSED_PAD src0_sel:WORD_1
	v_cvt_f32_f16_e32 v2, v3
	v_cvt_f32_f16_sdwa v3, v3 dst_sel:DWORD dst_unused:UNUSED_PAD src0_sel:WORD_1
	s_waitcnt lgkmcnt(1)
	v_pk_fma_f32 v[8:9], v[4:5], v[8:9], 0 op_sel_hi:[0,1,0]
	s_waitcnt lgkmcnt(0)
	v_pk_fma_f32 v[2:3], v[6:7], v[2:3], v[8:9] op_sel_hi:[0,1,1]
	v_div_scale_f32 v4, s[34:35], v5, v5, v3
	v_rcp_f32_e32 v8, v4
	v_readlane_b32 s34, v240, 61
	s_nop 1
	v_mad_u64_u32 v[6:7], s[34:35], s34, v1, v[46:47]
	v_fma_f32 v1, -v4, v8, 1.0
	v_fmac_f32_e32 v8, v1, v8
	v_div_scale_f32 v1, vcc, v3, v5, v3
	v_mul_f32_e32 v9, v1, v8
	v_readlane_b32 s34, v239, 18
	v_fma_f32 v10, -v4, v9, v1
	v_ashrrev_i32_e32 v7, 31, v6
	v_readlane_b32 s35, v239, 19
	v_fmac_f32_e32 v9, v10, v8
	v_fma_f32 v1, -v4, v9, v1
	v_lshl_add_u64 v[6:7], v[6:7], 3, s[34:35]
	v_div_scale_f32 v4, s[34:35], v5, v5, v2
	v_rcp_f32_e32 v10, v4
	v_div_fmas_f32 v1, v1, v8, v9
	v_div_fixup_f32 v3, v1, v5, v3
	v_fma_f32 v1, -v4, v10, 1.0
	v_fmac_f32_e32 v10, v1, v10
	v_div_scale_f32 v1, vcc, v2, v5, v2
	v_mul_f32_e32 v8, v1, v10
	v_fma_f32 v9, -v4, v8, v1
	v_fmac_f32_e32 v8, v9, v10
	v_fma_f32 v1, -v4, v8, v1
	v_div_fmas_f32 v1, v1, v10, v8
	v_div_fixup_f32 v2, v1, v5, v2
	global_store_dwordx2 v[6:7], v[2:3], off
	s_branch .LBB24_12
.LBB24_315:
	v_readlane_b32 s12, v240, 46
	v_readlane_b32 s49, v240, 40
	v_readlane_b32 s52, v239, 13
	v_readlane_b32 s54, v240, 58
	v_readlane_b32 s13, v240, 47
	v_readlane_b32 s14, v240, 48
	v_readlane_b32 s15, v240, 49
	v_readlane_b32 s20, v240, 59
	v_readlane_b32 s53, v239, 14
	v_readlane_b32 s21, v240, 60
	s_andn2_b64 vcc, exec, s[2:3]
	s_cbranch_vccnz .LBB24_10
.LBB24_316:
	v_readlane_b32 s7, v240, 7
	s_abs_i32 s0, s7
	v_cvt_f32_u32_e32 v1, s0
	s_sub_i32 s3, 0, s0
	s_abs_i32 s2, s98
	s_xor_b32 s1, s98, s7
	v_rcp_iflag_f32_e32 v1, v1
	s_ashr_i32 s1, s1, 31
	v_readlane_b32 s8, v240, 6
	v_readlane_b32 s9, v240, 3
	v_mul_f32_e32 v1, 0x4f7ffffe, v1
	v_cvt_u32_f32_e32 v1, v1
	v_readlane_b32 s56, v240, 24
	v_readlane_b32 s62, v240, 30
	;; [unrolled: 1-line block ×3, first 2 shown]
	v_readfirstlane_b32 s4, v1
	s_mul_i32 s3, s3, s4
	s_mul_hi_u32 s3, s4, s3
	s_add_i32 s4, s4, s3
	s_mul_hi_u32 s3, s2, s4
	s_mul_i32 s4, s3, s0
	s_sub_i32 s2, s2, s4
	s_add_i32 s5, s3, 1
	s_sub_i32 s4, s2, s0
	s_cmp_ge_u32 s2, s0
	s_cselect_b32 s3, s5, s3
	s_cselect_b32 s2, s4, s2
	s_add_i32 s4, s3, 1
	s_cmp_ge_u32 s2, s0
	s_cselect_b32 s0, s4, s3
	s_abs_i32 s2, s8
	v_cvt_f32_u32_e32 v1, s2
	s_xor_b32 s0, s0, s1
	s_sub_i32 s3, 0, s2
	s_sub_i32 s6, s0, s1
	v_rcp_iflag_f32_e32 v1, v1
	s_mul_i32 s0, s6, s7
	s_sub_i32 s0, s98, s0
	s_abs_i32 s4, s0
	v_mul_f32_e32 v1, 0x4f7ffffe, v1
	v_cvt_u32_f32_e32 v1, v1
	s_xor_b32 s1, s0, s8
	s_ashr_i32 s1, s1, 31
	v_readlane_b32 s57, v240, 25
	v_readfirstlane_b32 s5, v1
	s_mul_i32 s3, s3, s5
	s_mul_hi_u32 s3, s5, s3
	s_add_i32 s5, s5, s3
	s_mul_hi_u32 s3, s4, s5
	s_mul_i32 s5, s3, s2
	s_sub_i32 s4, s4, s5
	s_add_i32 s7, s3, 1
	s_sub_i32 s5, s4, s2
	s_cmp_ge_u32 s4, s2
	s_cselect_b32 s3, s7, s3
	s_cselect_b32 s4, s5, s4
	s_add_i32 s5, s3, 1
	s_cmp_ge_u32 s4, s2
	s_cselect_b32 s2, s5, s3
	s_abs_i32 s3, s9
	v_cvt_f32_u32_e32 v1, s3
	s_xor_b32 s2, s2, s1
	s_sub_i32 s4, 0, s3
	s_sub_i32 s7, s2, s1
	v_rcp_iflag_f32_e32 v1, v1
	s_mul_i32 s1, s7, s8
	s_sub_i32 s1, s0, s1
	s_abs_i32 s2, s1
	v_mul_f32_e32 v1, 0x4f7ffffe, v1
	v_cvt_u32_f32_e32 v1, v1
	s_xor_b32 s0, s1, s9
	s_ashr_i32 s0, s0, 31
	v_readlane_b32 s58, v240, 26
	v_readfirstlane_b32 s5, v1
	s_mul_i32 s4, s4, s5
	s_mul_hi_u32 s4, s5, s4
	s_add_i32 s5, s5, s4
	s_mul_hi_u32 s4, s2, s5
	s_mul_i32 s5, s4, s3
	s_sub_i32 s2, s2, s5
	s_add_i32 s8, s4, 1
	s_sub_i32 s5, s2, s3
	s_cmp_ge_u32 s2, s3
	s_cselect_b32 s4, s8, s4
	s_cselect_b32 s2, s5, s2
	s_add_i32 s5, s4, 1
	s_cmp_ge_u32 s2, s3
	s_cselect_b32 s2, s5, s4
	s_xor_b32 s2, s2, s0
	s_sub_i32 s0, s2, s0
	s_mul_i32 s2, s0, s9
	s_sub_i32 s1, s1, s2
	s_abs_i32 s10, s1
	s_ashr_i32 s8, s6, 31
	s_mul_hi_u32 s9, s10, s45
	s_cmp_eq_u64 s[62:63], 0
	s_mov_b64 s[2:3], 0
	v_readlane_b32 s59, v240, 27
	v_readlane_b32 s60, v240, 28
	;; [unrolled: 1-line block ×11, first 2 shown]
	s_cbranch_scc1 .LBB24_318
; %bb.317:
	s_abs_i32 s2, s20
	v_cvt_f32_u32_e32 v1, s2
	s_sub_i32 s4, 0, s2
	s_abs_i32 s3, s6
	v_readlane_b32 s16, v240, 15
	v_rcp_iflag_f32_e32 v1, v1
	v_readlane_b32 s17, v240, 16
	v_mul_f32_e32 v1, 0x4f7ffffe, v1
	v_cvt_u32_f32_e32 v1, v1
	s_nop 0
	v_readfirstlane_b32 s5, v1
	s_mul_i32 s4, s4, s5
	s_mul_hi_u32 s4, s5, s4
	s_add_i32 s5, s5, s4
	s_mul_hi_u32 s4, s3, s5
	s_mul_i32 s4, s4, s2
	s_sub_i32 s3, s3, s4
	s_sub_i32 s4, s3, s2
	s_cmp_ge_u32 s3, s2
	s_cselect_b32 s3, s4, s3
	s_sub_i32 s4, s3, s2
	s_cmp_ge_u32 s3, s2
	s_cselect_b32 s2, s4, s3
	s_xor_b32 s2, s2, s8
	s_sub_i32 s2, s2, s8
	s_ashr_i32 s3, s2, 31
	s_mul_hi_u32 s4, s16, s2
	s_mul_i32 s3, s16, s3
	s_mul_i32 s5, s17, s2
	s_add_i32 s3, s4, s3
	s_add_i32 s3, s3, s5
	s_mul_i32 s2, s16, s2
	s_add_u32 s2, s62, s2
	s_addc_u32 s3, s63, s3
.LBB24_318:
	s_ashr_i32 s12, s1, 31
	v_readlane_b32 s1, v240, 2
	s_mul_i32 s11, s7, s1
	s_add_i32 s11, s11, s0
	v_cmp_le_f32_e64 s[0:1], s13, 0
	s_and_b64 vcc, exec, s[0:1]
	v_mov_b32_e32 v36, 1.0
	s_cbranch_vccnz .LBB24_320
; %bb.319:
	v_readlane_b32 s0, v240, 12
	v_mov_b32_e32 v2, s15
	v_mov_b32_e32 v3, s14
	v_mov_b32_e32 v1, s0
	v_sub_co_u32_e32 v1, vcc, s11, v1
	s_add_i32 s0, s11, 1
	v_lshlrev_b32_e32 v1, 1, v1
	v_cndmask_b32_e32 v2, v2, v3, vcc
	v_or_b32_e32 v1, 1, v1
	v_mov_b32_e32 v3, s0
	v_cndmask_b32_e32 v1, v1, v3, vcc
	v_cvt_f32_i32_e32 v1, v1
	v_cmp_neq_f32_e32 vcc, 1.0, v2
	s_mov_b32 s0, 0x3f2aaaab
	s_movk_i32 s4, 0x204
	v_cndmask_b32_e32 v1, 1.0, v1, vcc
	v_cmp_neq_f32_e32 vcc, 0, v1
	s_mov_b32 s1, 0x42b17218
	s_mov_b32 s5, 0x3fb8aa3b
	v_cndmask_b32_e32 v18, 1.0, v2, vcc
	v_frexp_mant_f32_e64 v2, |v18|
	v_cmp_gt_f32_e32 vcc, s0, v2
	s_mov_b32 s0, 0x3f317218
	s_brev_b32 s13, -2
	v_cndmask_b32_e64 v3, 1.0, 2.0, vcc
	v_mul_f32_e32 v2, v2, v3
	v_add_f32_e32 v5, 1.0, v2
	v_rcp_f32_e32 v10, v5
	v_add_f32_e32 v3, -1.0, v5
	v_sub_f32_e32 v7, v2, v3
	v_add_f32_e32 v3, -1.0, v2
	v_mul_f32_e32 v11, v3, v10
	v_mul_f32_e32 v4, v5, v11
	v_fma_f32 v6, v11, v5, -v4
	v_fmac_f32_e32 v6, v11, v7
	v_add_f32_e32 v2, v4, v6
	v_sub_f32_e32 v5, v3, v2
	v_pk_add_f32 v[8:9], v[2:3], v[4:5] neg_lo:[0,1] neg_hi:[0,1]
	v_mov_b32_e32 v7, v2
	v_pk_add_f32 v[2:3], v[8:9], v[6:7] neg_lo:[0,1] neg_hi:[0,1]
	v_mov_b32_e32 v6, 0x3e91f4c4
	v_add_f32_e32 v2, v2, v3
	v_add_f32_e32 v2, v5, v2
	v_mul_f32_e32 v3, v10, v2
	v_add_f32_e32 v2, v11, v3
	v_sub_f32_e32 v4, v2, v11
	v_sub_f32_e32 v12, v3, v4
	v_mul_f32_e32 v3, v2, v2
	v_fma_f32 v5, v2, v2, -v3
	v_add_f32_e32 v4, v12, v12
	v_fmac_f32_e32 v5, v2, v4
	v_add_f32_e32 v4, v3, v5
	v_fmac_f32_e32 v6, 0x3e76c4e1, v4
	v_fmaak_f32 v6, v4, v6, 0x3ecccdef
	v_sub_f32_e32 v3, v4, v3
	v_sub_f32_e32 v13, v5, v3
	v_mul_f32_e32 v3, v4, v6
	v_fma_f32 v5, v4, v6, -v3
	v_fmac_f32_e32 v5, v13, v6
	v_add_f32_e32 v6, v3, v5
	v_add_f32_e32 v7, 0x3f2aaaaa, v6
	v_sub_f32_e32 v3, v6, v3
	v_sub_f32_e32 v3, v5, v3
	v_add_f32_e32 v5, 0xbf2aaaaa, v7
	v_add_f32_e32 v3, 0x31739010, v3
	v_sub_f32_e32 v5, v6, v5
	v_pk_mul_f32 v[8:9], v[2:3], v[4:5]
	v_pk_add_f32 v[10:11], v[2:3], v[4:5]
	v_fma_f32 v6, v4, v2, -v8
	v_fmac_f32_e32 v6, v4, v12
	v_mov_b32_e32 v9, v11
	v_fmac_f32_e32 v6, v13, v2
	v_pk_add_f32 v[4:5], v[8:9], v[6:7]
	v_ldexp_f32 v14, v12, 1
	v_sub_f32_e32 v3, v4, v8
	v_sub_f32_e32 v3, v6, v3
	;; [unrolled: 1-line block ×3, first 2 shown]
	v_add_f32_e32 v9, v11, v6
	v_pk_mul_f32 v[6:7], v[4:5], v[4:5] op_sel:[0,1] op_sel_hi:[1,0]
	v_cvt_f64_f32_e64 v[10:11], |v18|
	v_frexp_exp_i32_f64_e32 v7, v[10:11]
	v_subbrev_co_u32_e32 v7, vcc, 0, v7, vcc
	v_cvt_f32_i32_e32 v7, v7
	v_fma_f32 v8, v4, v5, -v6
	v_fmac_f32_e32 v8, v4, v9
	v_fmac_f32_e32 v8, v3, v5
	v_mul_f32_e32 v4, 0x3f317218, v7
	v_fma_f32 v3, v7, s0, -v4
	v_fmamk_f32 v10, v7, 0xb102e308, v3
	v_ldexp_f32 v11, v2, 1
	v_add_f32_e32 v5, v6, v8
	v_pk_add_f32 v[2:3], v[4:5], v[10:11]
	v_mov_b32_e32 v12, v5
	v_mov_b32_e32 v13, v3
	v_mov_b32_e32 v7, v11
	v_pk_add_f32 v[6:7], v[12:13], v[6:7] neg_lo:[0,1] neg_hi:[0,1]
	v_mov_b32_e32 v9, v5
	v_pk_add_f32 v[6:7], v[8:9], v[6:7] neg_lo:[0,1] neg_hi:[0,1]
	v_mov_b32_e32 v11, v2
	v_add_f32_e32 v5, v14, v6
	v_add_f32_e32 v5, v5, v7
	v_pk_add_f32 v[6:7], v[2:3], v[4:5] neg_lo:[0,1] neg_hi:[0,1]
	v_pk_add_f32 v[8:9], v[2:3], v[4:5]
	v_mov_b32_e32 v16, v3
	v_mov_b32_e32 v7, v9
	v_pk_add_f32 v[12:13], v[10:11], v[6:7] neg_lo:[0,1] neg_hi:[0,1]
	v_pk_add_f32 v[6:7], v[10:11], v[6:7]
	v_mov_b32_e32 v4, v5
	v_pk_add_f32 v[10:11], v[6:7], v[2:3] op_sel:[1,0] op_sel_hi:[0,1] neg_lo:[0,1] neg_hi:[0,1]
	v_pk_add_f32 v[14:15], v[8:9], v[10:11] op_sel_hi:[1,0] neg_lo:[0,1] neg_hi:[0,1]
	v_mov_b32_e32 v8, v9
	v_mov_b32_e32 v9, v7
	;; [unrolled: 1-line block ×3, first 2 shown]
	v_pk_add_f32 v[8:9], v[8:9], v[16:17] neg_lo:[0,1] neg_hi:[0,1]
	v_mov_b32_e32 v5, v2
	v_pk_add_f32 v[2:3], v[4:5], v[8:9] neg_lo:[0,1] neg_hi:[0,1]
	v_mov_b32_e32 v14, v12
	v_pk_add_f32 v[4:5], v[14:15], v[2:3]
	v_mov_b32_e32 v13, v7
	v_pk_add_f32 v[8:9], v[4:5], v[4:5] op_sel:[0,1] op_sel_hi:[1,0]
	s_mov_b32 s0, 0x7f800000
	v_pk_add_f32 v[6:7], v[6:7], v[8:9] op_sel:[1,0] op_sel_hi:[0,1]
	v_mov_b32_e32 v5, v6
	v_pk_add_f32 v[10:11], v[4:5], v[12:13] neg_lo:[0,1] neg_hi:[0,1]
	v_mov_b32_e32 v3, v8
	v_sub_f32_e32 v4, v4, v10
	v_pk_add_f32 v[2:3], v[2:3], v[10:11] neg_lo:[0,1] neg_hi:[0,1]
	v_sub_f32_e32 v4, v12, v4
	v_add_f32_e32 v2, v2, v4
	v_add_f32_e32 v2, v2, v3
	;; [unrolled: 1-line block ×3, first 2 shown]
	v_sub_f32_e32 v4, v3, v6
	v_sub_f32_e32 v2, v2, v4
	v_mul_f32_e32 v4, v1, v3
	v_fma_f32 v3, v1, v3, -v4
	v_fmac_f32_e32 v3, v1, v2
	v_add_f32_e32 v2, v4, v3
	v_cmp_class_f32_e64 vcc, v4, s4
	v_sub_f32_e32 v5, v2, v4
	v_sub_f32_e32 v3, v3, v5
	v_cndmask_b32_e32 v2, v2, v4, vcc
	v_mov_b32_e32 v4, 0x37000000
	v_cmp_eq_f32_e32 vcc, s1, v2
	v_cmp_class_f32_e64 s[14:15], v18, s4
	s_nop 0
	v_cndmask_b32_e32 v4, 0, v4, vcc
	v_sub_f32_e32 v5, v2, v4
	v_mul_f32_e32 v6, 0x3fb8aa3b, v5
	v_fma_f32 v7, v5, s5, -v6
	v_rndne_f32_e32 v8, v6
	v_fmamk_f32 v7, v5, 0x32a5705f, v7
	v_sub_f32_e32 v6, v6, v8
	v_add_f32_e32 v6, v6, v7
	v_exp_f32_e32 v6, v6
	v_cvt_i32_f32_e32 v7, v8
	v_cmp_neq_f32_e64 vcc, |v2|, s0
	s_mov_b32 s0, 0xc2ce8ed0
	s_nop 0
	v_cndmask_b32_e32 v2, 0, v3, vcc
	v_ldexp_f32 v3, v6, v7
	v_cmp_ngt_f32_e32 vcc, s0, v5
	v_add_f32_e32 v2, v4, v2
	v_mov_b32_e32 v4, 0x7f800000
	v_cndmask_b32_e32 v3, 0, v3, vcc
	v_cmp_nlt_f32_e32 vcc, s1, v5
	v_mov_b32_e32 v5, 0x7fc00000
	s_nop 0
	v_cndmask_b32_e32 v3, v4, v3, vcc
	v_fma_f32 v2, v3, v2, v3
	v_cmp_class_f32_e64 vcc, v3, s4
	v_cmp_gt_f32_e64 s[4:5], 0, v1
	s_nop 0
	v_cndmask_b32_e32 v2, v2, v3, vcc
	v_trunc_f32_e32 v3, v1
	v_cmp_eq_f32_e32 vcc, v3, v1
	v_mul_f32_e32 v3, 0.5, v1
	v_trunc_f32_e32 v6, v3
	v_cmp_neq_f32_e64 s[0:1], v6, v3
	s_and_b64 s[0:1], vcc, s[0:1]
	s_nop 0
	v_cndmask_b32_e64 v3, 1.0, v18, s[0:1]
	v_bfi_b32 v2, s13, v2, v3
	v_cndmask_b32_e32 v3, v5, v2, vcc
	v_cmp_gt_f32_e32 vcc, 0, v18
	s_nop 1
	v_cndmask_b32_e32 v2, v2, v3, vcc
	v_cmp_eq_f32_e32 vcc, 0, v18
	s_xor_b64 s[4:5], s[4:5], vcc
	v_cndmask_b32_e64 v1, v4, 0, s[4:5]
	v_cndmask_b32_e64 v3, 0, v18, s[0:1]
	v_bfi_b32 v1, s13, v1, v3
	s_or_b64 vcc, vcc, s[14:15]
	v_cndmask_b32_e32 v1, v2, v1, vcc
	v_cmp_o_f32_e32 vcc, v18, v18
	s_nop 1
	v_cndmask_b32_e32 v36, v5, v1, vcc
.LBB24_320:
	s_mul_i32 s1, s9, s33
	v_readlane_b32 s0, v240, 23
	s_sub_i32 s1, s10, s1
	s_xor_b32 s0, s12, s0
	s_add_i32 s4, s9, 1
	s_sub_i32 s5, s1, s33
	s_cmp_ge_u32 s1, s33
	s_cselect_b32 s4, s4, s9
	s_cselect_b32 s1, s5, s1
	s_add_i32 s5, s4, 1
	s_cmp_ge_u32 s1, s33
	s_cselect_b32 s1, s5, s4
	s_xor_b32 s1, s1, s0
	v_readlane_b32 s16, v240, 24
	s_sub_i32 s4, s1, s0
	v_readlane_b32 s26, v240, 34
	v_readlane_b32 s27, v240, 35
	;; [unrolled: 1-line block ×3, first 2 shown]
	s_cmp_eq_u64 s[26:27], 0
	v_mov_b32_e32 v16, s90
	v_readlane_b32 s18, v240, 26
	v_readlane_b32 s19, v240, 27
	;; [unrolled: 1-line block ×12, first 2 shown]
	s_cbranch_scc1 .LBB24_322
; %bb.321:
	v_readlane_b32 s0, v240, 0
	s_mul_i32 s0, s6, s0
	s_add_i32 s0, s4, s0
	s_ashr_i32 s1, s0, 31
	s_lshl_b64 s[0:1], s[0:1], 2
	s_add_u32 s0, s26, s0
	s_addc_u32 s1, s27, s1
	v_mov_b32_e32 v1, 0
	global_load_dword v1, v1, s[0:1]
	s_waitcnt vmcnt(0)
	v_ashrrev_i32_e32 v2, 31, v1
	v_lshrrev_b32_e32 v2, 26, v2
	v_add_u32_e32 v1, v1, v2
	v_ashrrev_i32_e32 v1, 6, v1
	v_min_i32_e32 v16, s90, v1
.LBB24_322:
	v_readlane_b32 s12, v240, 8
	v_readlane_b32 s13, v240, 9
	s_mul_i32 s0, s6, s13
	s_ashr_i32 s1, s0, 31
	s_add_u32 s0, s16, s0
	s_mul_i32 s11, s11, s12
	s_addc_u32 s1, s17, s1
	s_ashr_i32 s5, s11, 31
	s_add_u32 s0, s0, s11
	s_addc_u32 s1, s1, s5
	s_lshl_b32 s9, s4, 5
	v_and_b32_e32 v34, 0x3ff, v0
	v_add_u32_e32 v95, s9, v130
	s_mov_b32 s10, 0x10001
	v_lshl_add_u32 v35, v34, 2, 0
	v_cmp_le_i32_e32 vcc, s72, v95
	s_and_saveexec_b64 s[4:5], vcc
	s_xor_b64 s[4:5], exec, s[4:5]
; %bb.323:
	s_movk_i32 s11, 0x110
	v_mad_u32_u24 v0, v130, s11, v35
	v_mov_b32_e32 v1, 0
	ds_write_b32 v0, v1
; %bb.324:
	s_or_saveexec_b64 s[4:5], s[4:5]
	v_mul_lo_u32 v0, v139, s10
	s_xor_b64 exec, exec, s[4:5]
	s_cbranch_execz .LBB24_326
; %bb.325:
	v_mad_u64_u32 v[2:3], s[10:11], v95, s81, v[34:35]
	v_ashrrev_i32_e32 v3, 31, v2
	v_lshl_add_u64 v[2:3], v[2:3], 3, s[0:1]
	global_load_dwordx2 v[2:3], v[2:3], off
	s_movk_i32 s10, 0x110
	s_waitcnt vmcnt(0)
	v_cvt_pk_f16_f32 v1, v2, v3
	v_pk_mul_f16 v1, v1, v0
	v_mad_u32_u24 v2, v130, s10, v35
	ds_write_b32 v2, v1
.LBB24_326:
	s_or_b64 exec, exec, s[4:5]
	v_add_u32_e32 v96, s9, v138
	v_cmp_le_i32_e32 vcc, s72, v96
	s_and_saveexec_b64 s[4:5], vcc
	s_xor_b64 s[4:5], exec, s[4:5]
; %bb.327:
	s_movk_i32 s10, 0x110
	v_mad_u32_u24 v1, v138, s10, v35
	v_mov_b32_e32 v2, 0
	ds_write_b32 v1, v2
                                        ; implicit-def: $vgpr138
; %bb.328:
	s_andn2_saveexec_b64 s[4:5], s[4:5]
	s_cbranch_execz .LBB24_330
; %bb.329:
	v_mad_u64_u32 v[2:3], s[10:11], v96, s81, v[34:35]
	v_ashrrev_i32_e32 v3, 31, v2
	v_lshl_add_u64 v[2:3], v[2:3], 3, s[0:1]
	global_load_dwordx2 v[2:3], v[2:3], off
	s_movk_i32 s10, 0x110
	s_waitcnt vmcnt(0)
	v_cvt_pk_f16_f32 v1, v2, v3
	v_pk_mul_f16 v1, v1, v0
	v_mad_u32_u24 v2, v138, s10, v35
	ds_write_b32 v2, v1
.LBB24_330:
	s_or_b64 exec, exec, s[4:5]
	v_add_u32_e32 v97, s9, v137
	v_cmp_le_i32_e32 vcc, s72, v97
	s_and_saveexec_b64 s[4:5], vcc
	s_xor_b64 s[4:5], exec, s[4:5]
; %bb.331:
	s_movk_i32 s10, 0x110
	v_mad_u32_u24 v1, v137, s10, v35
	v_mov_b32_e32 v2, 0
	ds_write_b32 v1, v2
                                        ; implicit-def: $vgpr137
; %bb.332:
	s_andn2_saveexec_b64 s[4:5], s[4:5]
	s_cbranch_execz .LBB24_334
; %bb.333:
	v_mad_u64_u32 v[2:3], s[10:11], v97, s81, v[34:35]
	v_ashrrev_i32_e32 v3, 31, v2
	v_lshl_add_u64 v[2:3], v[2:3], 3, s[0:1]
	global_load_dwordx2 v[2:3], v[2:3], off
	s_movk_i32 s10, 0x110
	s_waitcnt vmcnt(0)
	v_cvt_pk_f16_f32 v1, v2, v3
	v_pk_mul_f16 v1, v1, v0
	v_mad_u32_u24 v2, v137, s10, v35
	ds_write_b32 v2, v1
.LBB24_334:
	s_or_b64 exec, exec, s[4:5]
	v_add_u32_e32 v99, s9, v136
	v_cmp_le_i32_e32 vcc, s72, v99
	s_and_saveexec_b64 s[4:5], vcc
	s_xor_b64 s[4:5], exec, s[4:5]
; %bb.335:
	s_movk_i32 s10, 0x110
	v_mad_u32_u24 v1, v136, s10, v35
	v_mov_b32_e32 v2, 0
	ds_write_b32 v1, v2
                                        ; implicit-def: $vgpr136
; %bb.336:
	s_andn2_saveexec_b64 s[4:5], s[4:5]
	s_cbranch_execz .LBB24_338
; %bb.337:
	v_mad_u64_u32 v[2:3], s[10:11], v99, s81, v[34:35]
	v_ashrrev_i32_e32 v3, 31, v2
	v_lshl_add_u64 v[2:3], v[2:3], 3, s[0:1]
	global_load_dwordx2 v[2:3], v[2:3], off
	s_movk_i32 s10, 0x110
	s_waitcnt vmcnt(0)
	v_cvt_pk_f16_f32 v1, v2, v3
	v_pk_mul_f16 v1, v1, v0
	v_mad_u32_u24 v2, v136, s10, v35
	ds_write_b32 v2, v1
.LBB24_338:
	s_or_b64 exec, exec, s[4:5]
	v_add_u32_e32 v100, s9, v135
	v_cmp_le_i32_e32 vcc, s72, v100
	s_and_saveexec_b64 s[4:5], vcc
	s_xor_b64 s[4:5], exec, s[4:5]
; %bb.339:
	s_movk_i32 s10, 0x110
	v_mad_u32_u24 v1, v135, s10, v35
	v_mov_b32_e32 v2, 0
	ds_write_b32 v1, v2
                                        ; implicit-def: $vgpr135
; %bb.340:
	s_andn2_saveexec_b64 s[4:5], s[4:5]
	s_cbranch_execz .LBB24_342
; %bb.341:
	v_mad_u64_u32 v[2:3], s[10:11], v100, s81, v[34:35]
	v_ashrrev_i32_e32 v3, 31, v2
	v_lshl_add_u64 v[2:3], v[2:3], 3, s[0:1]
	global_load_dwordx2 v[2:3], v[2:3], off
	s_movk_i32 s10, 0x110
	s_waitcnt vmcnt(0)
	v_cvt_pk_f16_f32 v1, v2, v3
	v_pk_mul_f16 v1, v1, v0
	v_mad_u32_u24 v2, v135, s10, v35
	ds_write_b32 v2, v1
.LBB24_342:
	s_or_b64 exec, exec, s[4:5]
	v_add_u32_e32 v101, s9, v134
	v_cmp_le_i32_e32 vcc, s72, v101
	s_and_saveexec_b64 s[4:5], vcc
	s_xor_b64 s[4:5], exec, s[4:5]
; %bb.343:
	s_movk_i32 s10, 0x110
	v_mad_u32_u24 v1, v134, s10, v35
	v_mov_b32_e32 v2, 0
	ds_write_b32 v1, v2
                                        ; implicit-def: $vgpr134
; %bb.344:
	s_andn2_saveexec_b64 s[4:5], s[4:5]
	s_cbranch_execz .LBB24_346
; %bb.345:
	v_mad_u64_u32 v[2:3], s[10:11], v101, s81, v[34:35]
	v_ashrrev_i32_e32 v3, 31, v2
	v_lshl_add_u64 v[2:3], v[2:3], 3, s[0:1]
	global_load_dwordx2 v[2:3], v[2:3], off
	s_movk_i32 s10, 0x110
	s_waitcnt vmcnt(0)
	v_cvt_pk_f16_f32 v1, v2, v3
	v_pk_mul_f16 v1, v1, v0
	v_mad_u32_u24 v2, v134, s10, v35
	ds_write_b32 v2, v1
.LBB24_346:
	s_or_b64 exec, exec, s[4:5]
	v_add_u32_e32 v103, s9, v53
	v_cmp_le_i32_e32 vcc, s72, v103
	s_and_saveexec_b64 s[4:5], vcc
	s_xor_b64 s[4:5], exec, s[4:5]
; %bb.347:
	s_movk_i32 s10, 0x110
	v_mad_u32_u24 v1, v53, s10, v35
	v_mov_b32_e32 v2, 0
	ds_write_b32 v1, v2
                                        ; implicit-def: $vgpr53
; %bb.348:
	s_andn2_saveexec_b64 s[4:5], s[4:5]
	s_cbranch_execz .LBB24_350
; %bb.349:
	v_mad_u64_u32 v[2:3], s[10:11], v103, s81, v[34:35]
	v_ashrrev_i32_e32 v3, 31, v2
	v_lshl_add_u64 v[2:3], v[2:3], 3, s[0:1]
	global_load_dwordx2 v[2:3], v[2:3], off
	s_movk_i32 s10, 0x110
	s_waitcnt vmcnt(0)
	v_cvt_pk_f16_f32 v1, v2, v3
	v_pk_mul_f16 v1, v1, v0
	v_mad_u32_u24 v2, v53, s10, v35
	ds_write_b32 v2, v1
.LBB24_350:
	s_or_b64 exec, exec, s[4:5]
	v_add_u32_e32 v104, s9, v47
	v_cmp_le_i32_e32 vcc, s72, v104
	s_and_saveexec_b64 s[4:5], vcc
	s_xor_b64 s[4:5], exec, s[4:5]
; %bb.351:
	s_movk_i32 s9, 0x110
	v_mad_u32_u24 v0, v47, s9, v35
	v_mov_b32_e32 v1, 0
	ds_write_b32 v0, v1
                                        ; implicit-def: $vgpr0
                                        ; implicit-def: $vgpr47
; %bb.352:
	s_andn2_saveexec_b64 s[4:5], s[4:5]
	s_cbranch_execz .LBB24_354
; %bb.353:
	v_mad_u64_u32 v[2:3], s[10:11], v104, s81, v[34:35]
	v_ashrrev_i32_e32 v3, 31, v2
	v_lshl_add_u64 v[2:3], v[2:3], 3, s[0:1]
	global_load_dwordx2 v[2:3], v[2:3], off
	s_movk_i32 s0, 0x110
	s_waitcnt vmcnt(0)
	v_cvt_pk_f16_f32 v1, v2, v3
	v_pk_mul_f16 v0, v1, v0
	v_mad_u32_u24 v1, v47, s0, v35
	ds_write_b32 v1, v0
.LBB24_354:
	s_or_b64 exec, exec, s[4:5]
	v_readlane_b32 s4, v240, 13
	v_readlane_b32 s5, v240, 14
	s_mul_i32 s0, s4, s8
	s_mul_hi_u32 s1, s4, s6
	v_readlane_b32 s12, v240, 24
	s_add_i32 s0, s1, s0
	s_mul_i32 s1, s5, s6
	v_readlane_b32 s13, v240, 25
	v_readlane_b32 s16, v240, 28
	v_readlane_b32 s17, v240, 29
	s_add_i32 s0, s0, s1
	s_mul_i32 s1, s4, s6
	s_mov_b64 s[12:13], s[16:17]
	v_readlane_b32 s14, v240, 26
	v_readlane_b32 s15, v240, 27
	s_add_u32 s1, s12, s1
	s_mov_b64 s[10:11], s[14:15]
	s_addc_u32 s0, s13, s0
	v_readlane_b32 s12, v240, 19
	v_readlane_b32 s15, v240, 22
	s_mul_i32 s4, s7, s15
	s_ashr_i32 s5, s4, 31
	s_add_u32 s33, s1, s4
	v_readlane_b32 s13, v240, 20
	s_addc_u32 s40, s0, s5
	s_mul_i32 s0, s12, s8
	s_mul_hi_u32 s1, s12, s6
	s_add_i32 s0, s1, s0
	s_mul_i32 s1, s13, s6
	v_readlane_b32 s4, v240, 17
	s_add_i32 s0, s0, s1
	s_mul_i32 s1, s12, s6
	v_readlane_b32 s5, v240, 18
	s_add_u32 s1, s10, s1
	s_mul_i32 s7, s7, s5
	s_addc_u32 s0, s11, s0
	s_ashr_i32 s4, s7, 31
	s_add_u32 s41, s1, s7
	v_lshrrev_b32_e32 v1, 3, v34
	s_addc_u32 s43, s0, s4
	v_and_b32_e32 v17, 0x1ff0, v132
	s_movk_i32 s0, 0x110
	v_and_b32_e32 v82, 15, v34
	v_and_b32_e32 v1, 0x7e, v1
	v_mad_u32_u24 v0, v17, s0, 0
	v_mul_u32_u24_e32 v102, 0x110, v82
	v_lshlrev_b32_e32 v83, 2, v1
	v_add3_u32 v0, v0, v102, v83
	s_waitcnt lgkmcnt(0)
	s_barrier
	ds_read2_b64 v[12:15], v0 offset1:4
	ds_read2_b64 v[8:11], v0 offset0:8 offset1:12
	ds_read2_b64 v[4:7], v0 offset0:16 offset1:20
	;; [unrolled: 1-line block ×3, first 2 shown]
	v_add_u32_e32 v107, -1, v16
	v_cmp_ge_i32_e32 vcc, s42, v107
	s_mov_b32 s44, 0
	s_and_b64 vcc, exec, vcc
	v_or_b32_e32 v98, v17, v82
	v_lshlrev_b32_e32 v38, 1, v34
	v_and_b32_e32 v93, 8, v132
	v_lshrrev_b32_e32 v106, 4, v34
	v_lshlrev_b32_e32 v105, 2, v34
	v_lshrrev_b32_e32 v94, 2, v34
	v_lshlrev_b32_e32 v92, 1, v82
	v_readlane_b32 s18, v240, 30
	v_readlane_b32 s19, v240, 31
	;; [unrolled: 1-line block ×11, first 2 shown]
	s_waitcnt lgkmcnt(0)
	s_barrier
	s_cbranch_vccnz .LBB24_367
; %bb.355:
	v_mov_b32_e32 v41, 0
	v_mov_b32_e32 v39, v41
	v_mul_u32_u24_e32 v16, 0x90, v130
	v_lshl_add_u64 v[42:43], s[2:3], 0, v[38:39]
	v_add3_u32 v39, 0, v16, v38
	v_mul_hi_u32 v16, s88, v95
	v_add_u32_e32 v16, v95, v16
	v_lshrrev_b32_e32 v16, s89, v16
	v_mul_lo_u32 v16, v16, s72
	v_sub_u32_e32 v16, v95, v16
	v_mad_i64_i32 v[44:45], s[4:5], v16, s52, 0
	v_mul_hi_u32 v16, s88, v96
	v_add_u32_e32 v16, v96, v16
	v_lshrrev_b32_e32 v16, s89, v16
	v_mul_lo_u32 v16, v16, s72
	v_sub_u32_e32 v16, v96, v16
	v_mad_i64_i32 v[46:47], s[4:5], v16, s52, 0
	;; [unrolled: 6-line block ×8, first 2 shown]
	v_mbcnt_hi_u32_b32 v16, -1, v133
	v_and_b32_e32 v19, 64, v16
	v_add_u32_e32 v19, 64, v19
	v_xor_b32_e32 v20, 32, v16
	v_cmp_lt_i32_e32 vcc, v20, v19
	s_cmp_lg_u64 s[2:3], 0
	s_cselect_b64 s[34:35], -1, 0
	v_cndmask_b32_e32 v20, v16, v20, vcc
	v_lshlrev_b32_e32 v115, 2, v20
	v_xor_b32_e32 v20, 16, v16
	v_cmp_lt_i32_e32 vcc, v20, v19
	v_and_b32_e32 v17, 16, v131
	s_lshl_b32 s11, s86, 4
	v_cndmask_b32_e32 v16, v16, v20, vcc
	v_lshlrev_b32_e32 v116, 2, v16
	v_lshl_add_u32 v20, v130, 2, v106
	v_and_b32_e32 v16, 60, v105
	v_mul_u32_u24_e32 v21, 0x110, v20
	v_lshlrev_b32_e32 v22, 2, v16
	v_add3_u32 v117, 0, v21, v22
	v_mul_lo_u32 v60, s86, v20
	v_and_b32_e32 v22, 0xfc, v94
	v_mul_lo_u32 v68, s74, v20
	s_lshl_b32 s26, s74, 4
	s_movk_i32 s10, 0x90
	v_mul_u32_u24_e32 v18, 0x110, v17
	s_movk_i32 s4, 0x220
	v_add_u32_e32 v62, s11, v60
	v_add_u32_e32 v23, v22, v17
	v_add_u16_e32 v17, v22, v17
	v_add_u32_e32 v70, s26, v68
	v_mad_u32_u24 v19, v93, s4, 0
	v_cmp_gt_u32_e64 s[28:29], 64, v20
	v_cmp_gt_u32_e64 s[4:5], 48, v20
	;; [unrolled: 1-line block ×3, first 2 shown]
	v_add_u32_e32 v64, s11, v62
	v_cmp_gt_u32_e64 s[8:9], 16, v20
	v_mad_u32_u24 v24, v98, s10, 0
	v_lshrrev_b16_e32 v17, 1, v17
	v_add_u32_e32 v72, s26, v70
	v_mul_u32_u24_e32 v20, 0x110, v22
	v_or_b32_e32 v22, 3, v94
	s_mov_b64 s[30:31], src_private_base
	v_add_u32_e32 v66, s11, v64
	v_add3_u32 v21, 0, v102, v83
	v_lshl_add_u32 v17, v17, 2, v24
	v_lshl_add_u32 v24, v23, 1, v24
	v_add_u32_e32 v74, s26, v72
	v_mul_u32_u24_e32 v22, 0x110, v22
	v_cmp_lt_u32_e64 s[0:1], 63, v34
	v_add_u32_e32 v108, 0x240, v39
	v_add_u32_e32 v109, 0x480, v39
	v_add_u32_e32 v110, 0x6c0, v39
	v_add_u32_e32 v111, 0x900, v39
	v_add_u32_e32 v112, 0xb40, v39
	v_add_u32_e32 v113, 0xd80, v39
	v_add_u32_e32 v114, 0xfc0, v39
	v_ashrrev_i32_e32 v61, 31, v60
	v_add_u32_e32 v118, 0x1100, v117
	v_ashrrev_i32_e32 v63, 31, v62
	v_add_u32_e32 v119, 0x2200, v117
	;; [unrolled: 2-line block ×4, first 2 shown]
	v_add_u32_e32 v122, 0x44, v24
	v_cmp_gt_u32_e64 s[10:11], 64, v23
	v_cmp_gt_u32_e64 s[12:13], 63, v23
	;; [unrolled: 1-line block ×8, first 2 shown]
	v_ashrrev_i32_e32 v69, 31, v68
	v_ashrrev_i32_e32 v71, 31, v70
	;; [unrolled: 1-line block ×4, first 2 shown]
	v_add3_u32 v123, v19, v20, v92
	v_add3_u32 v124, v19, v22, v92
	v_mov_b32_e32 v76, v36
	v_mov_b32_e32 v77, v36
	s_lshl_b32 s36, s42, 6
	v_mov_b32_e32 v30, 0xfeffffff
	v_lshlrev_b32_e32 v40, 2, v16
	v_add_u32_e32 v125, v21, v18
	v_add_u32_e32 v126, 0x4400, v17
	s_mov_b32 s30, 0x3fb8aa3b
	s_mov_b32 s45, 0xc2ce8ed0
	;; [unrolled: 1-line block ×5, first 2 shown]
	v_mov_b32_e32 v127, 0
	v_mov_b32_e32 v138, v41
	;; [unrolled: 1-line block ×23, first 2 shown]
.LBB24_356:                             ; =>This Inner Loop Header: Depth=1
	v_cndmask_b32_e64 v16, 0, 1, s[34:35]
	v_cmp_ne_u32_e64 s[26:27], 1, v16
	s_andn2_b64 vcc, exec, s[34:35]
	s_ashr_i32 s37, s36, 31
	s_cbranch_vccnz .LBB24_362
; %bb.357:                              ;   in Loop: Header=BB24_356 Depth=1
	s_and_saveexec_b64 s[38:39], s[0:1]
	s_xor_b64 s[38:39], exec, s[38:39]
	s_cbranch_execz .LBB24_359
; %bb.358:                              ;   in Loop: Header=BB24_356 Depth=1
	ds_write_b16 v39, v41 offset:17408
	ds_write_b16 v108, v41 offset:17408
	;; [unrolled: 1-line block ×4, first 2 shown]
.LBB24_359:                             ;   in Loop: Header=BB24_356 Depth=1
	s_or_saveexec_b64 s[38:39], s[38:39]
	v_mov_b32_e32 v16, 0
	v_mov_b32_e32 v17, 0
	;; [unrolled: 1-line block ×4, first 2 shown]
	s_xor_b64 exec, exec, s[38:39]
	s_cbranch_execz .LBB24_361
; %bb.360:                              ;   in Loop: Header=BB24_356 Depth=1
	v_lshl_add_u64 v[16:17], s[36:37], 1, v[42:43]
	v_lshl_add_u64 v[18:19], v[44:45], 1, v[16:17]
	;; [unrolled: 1-line block ×9, first 2 shown]
	global_load_ushort v31, v[18:19], off
	s_nop 0
	global_load_ushort v20, v[20:21], off
	s_nop 0
	;; [unrolled: 2-line block ×3, first 2 shown]
	global_load_ushort v22, v[78:79], off
	global_load_ushort v16, v[80:81], off
	;; [unrolled: 1-line block ×5, first 2 shown]
	s_waitcnt vmcnt(7)
	ds_write_b16 v39, v31 offset:17408
	s_waitcnt vmcnt(6)
	ds_write_b16 v108, v20 offset:17408
	;; [unrolled: 2-line block ×4, first 2 shown]
.LBB24_361:                             ;   in Loop: Header=BB24_356 Depth=1
	s_or_b64 exec, exec, s[38:39]
	s_waitcnt vmcnt(3)
	ds_write_b16 v111, v16 offset:17408
	s_waitcnt vmcnt(2)
	ds_write_b16 v112, v17 offset:17408
	;; [unrolled: 2-line block ×4, first 2 shown]
.LBB24_362:                             ;   in Loop: Header=BB24_356 Depth=1
	s_mul_hi_i32 s39, s36, s86
	s_mul_i32 s38, s36, s86
	s_lshl_b64 s[38:39], s[38:39], 2
	s_add_u32 s38, s41, s38
	s_addc_u32 s39, s43, s39
	v_lshl_add_u64 v[16:17], v[60:61], 2, s[38:39]
	v_lshl_add_u64 v[16:17], v[16:17], 0, v[40:41]
	v_mov_b32_e32 v22, s31
	v_cndmask_b32_e64 v17, v22, v17, s[28:29]
	v_cndmask_b32_e64 v16, v127, v16, s[28:29]
	scratch_store_dwordx4 off, v[138:141], off
	flat_load_dwordx4 v[16:19], v[16:17]
	v_lshl_add_u64 v[20:21], v[62:63], 2, s[38:39]
	v_lshl_add_u64 v[20:21], v[20:21], 0, v[40:41]
	v_cndmask_b32_e64 v21, v22, v21, s[4:5]
	v_cndmask_b32_e64 v20, v127, v20, s[4:5]
	v_add_u32_e32 v31, 0x2000, v125
	s_and_b64 vcc, exec, s[26:27]
	s_waitcnt vmcnt(0) lgkmcnt(0)
	ds_write_b128 v117, v[16:19]
	flat_load_dwordx4 v[16:19], v[20:21]
	v_lshl_add_u64 v[20:21], v[64:65], 2, s[38:39]
	v_lshl_add_u64 v[20:21], v[20:21], 0, v[40:41]
	v_cndmask_b32_e64 v21, v22, v21, s[6:7]
	v_cndmask_b32_e64 v20, v127, v20, s[6:7]
	s_waitcnt vmcnt(0) lgkmcnt(0)
	ds_write_b128 v118, v[16:19]
	flat_load_dwordx4 v[16:19], v[20:21]
	v_lshl_add_u64 v[20:21], v[66:67], 2, s[38:39]
	v_lshl_add_u64 v[20:21], v[20:21], 0, v[40:41]
	v_cndmask_b32_e64 v21, v22, v21, s[8:9]
	v_cndmask_b32_e64 v20, v127, v20, s[8:9]
	s_waitcnt vmcnt(0) lgkmcnt(0)
	ds_write_b128 v119, v[16:19]
	flat_load_dwordx4 v[16:19], v[20:21]
	s_waitcnt vmcnt(0) lgkmcnt(0)
	ds_write_b128 v120, v[16:19]
	s_waitcnt lgkmcnt(0)
	s_barrier
	ds_read2_b64 v[16:19], v125 offset1:4
	ds_read2_b64 v[78:81], v31 offset0:64 offset1:68
	s_waitcnt lgkmcnt(1)
	v_mfma_f32_16x16x16_f16 v[20:23], v[16:17], v[12:13], 0
	s_waitcnt lgkmcnt(0)
	v_mfma_f32_16x16x16_f16 v[134:137], v[78:79], v[12:13], 0
	v_mfma_f32_16x16x16_f16 v[16:19], v[18:19], v[14:15], v[20:23]
	;; [unrolled: 1-line block ×3, first 2 shown]
	ds_read2_b64 v[78:81], v125 offset0:8 offset1:12
	s_nop 4
	ds_read2_b64 v[134:137], v31 offset0:72 offset1:76
	s_waitcnt lgkmcnt(1)
	v_mfma_f32_16x16x16_f16 v[16:19], v[78:79], v[8:9], v[16:19]
	s_waitcnt lgkmcnt(0)
	v_mfma_f32_16x16x16_f16 v[20:23], v[134:135], v[8:9], v[20:23]
	v_mfma_f32_16x16x16_f16 v[16:19], v[80:81], v[10:11], v[16:19]
	ds_read2_b64 v[78:81], v125 offset0:16 offset1:20
	v_mfma_f32_16x16x16_f16 v[20:23], v[136:137], v[10:11], v[20:23]
	ds_read2_b64 v[134:137], v31 offset0:80 offset1:84
	s_waitcnt lgkmcnt(1)
	v_mfma_f32_16x16x16_f16 v[16:19], v[78:79], v[4:5], v[16:19]
	s_waitcnt lgkmcnt(0)
	v_mfma_f32_16x16x16_f16 v[20:23], v[134:135], v[4:5], v[20:23]
	v_mfma_f32_16x16x16_f16 v[16:19], v[80:81], v[6:7], v[16:19]
	ds_read2_b64 v[78:81], v125 offset0:24 offset1:28
	v_mfma_f32_16x16x16_f16 v[20:23], v[136:137], v[6:7], v[20:23]
	ds_read2_b64 v[134:137], v31 offset0:88 offset1:92
	s_waitcnt lgkmcnt(0)
	s_barrier
	v_mfma_f32_16x16x16_f16 v[16:19], v[78:79], v[0:1], v[16:19]
	v_mfma_f32_16x16x16_f16 v[142:145], v[134:135], v[0:1], v[20:23]
	;; [unrolled: 1-line block ×4, first 2 shown]
	s_cbranch_vccnz .LBB24_364
; %bb.363:                              ;   in Loop: Header=BB24_356 Depth=1
	ds_read2_b32 v[78:79], v126 offset1:1
	ds_read_b32 v31, v121 offset:17408
	ds_read_b32 v134, v122 offset:17408
	v_mov_b32_e32 v37, v36
	s_waitcnt lgkmcnt(2)
	v_cvt_f32_f16_e32 v80, v78
	v_cvt_f32_f16_sdwa v81, v78 dst_sel:DWORD dst_unused:UNUSED_PAD src0_sel:WORD_1
	v_cvt_f32_f16_e32 v78, v79
	v_cvt_f32_f16_sdwa v79, v79 dst_sel:DWORD dst_unused:UNUSED_PAD src0_sel:WORD_1
	s_waitcnt lgkmcnt(1)
	v_cvt_f32_f16_sdwa v135, v31 dst_sel:DWORD dst_unused:UNUSED_PAD src0_sel:WORD_1
	s_waitcnt lgkmcnt(0)
	v_cvt_f32_f16_sdwa v137, v134 dst_sel:DWORD dst_unused:UNUSED_PAD src0_sel:WORD_1
	v_cvt_f32_f16_e32 v136, v134
	v_cvt_f32_f16_e32 v134, v31
	v_pk_fma_f32 v[22:23], v[36:37], v[78:79], v[22:23]
	v_pk_fma_f32 v[20:21], v[76:77], v[80:81], v[20:21]
	;; [unrolled: 1-line block ×4, first 2 shown]
.LBB24_364:                             ;   in Loop: Header=BB24_356 Depth=1
	s_mul_hi_i32 s27, s36, s74
	s_mul_i32 s26, s36, s74
	s_lshl_b64 s[26:27], s[26:27], 2
	s_add_u32 s26, s33, s26
	s_addc_u32 s27, s40, s27
	v_lshl_add_u64 v[78:79], v[68:69], 2, s[26:27]
	v_lshl_add_u64 v[78:79], v[78:79], 0, v[40:41]
	v_mov_b32_e32 v37, s31
	v_cndmask_b32_e64 v79, v37, v79, s[28:29]
	v_cndmask_b32_e64 v78, v127, v78, s[28:29]
	scratch_store_dwordx4 off, v[138:141], off
	flat_load_dwordx4 v[78:81], v[78:79]
	v_lshl_add_u64 v[134:135], v[70:71], 2, s[26:27]
	v_lshl_add_u64 v[134:135], v[134:135], 0, v[40:41]
	v_cndmask_b32_e64 v135, v37, v135, s[4:5]
	v_cndmask_b32_e64 v134, v127, v134, s[4:5]
	v_max_f32_e32 v136, v30, v30
	v_add_f32_e32 v146, 0x40051340, v21
	v_add_f32_e32 v148, 0x40051340, v22
	v_add_f32_e32 v149, 0x40051340, v23
	v_add_f32_e32 v150, 0x40051340, v16
	v_add_f32_e32 v151, 0x40051340, v17
	v_add_f32_e32 v152, 0x40051340, v18
	v_add_f32_e32 v153, 0x40051340, v19
	v_mov_b32_e32 v31, s44
	v_mov_b32_e32 v137, s44
	;; [unrolled: 1-line block ×6, first 2 shown]
	s_add_i32 s42, s42, 1
	s_add_i32 s36, s36, 64
	s_waitcnt vmcnt(0) lgkmcnt(0)
	ds_write_b128 v117, v[78:81]
	flat_load_dwordx4 v[78:81], v[134:135]
	v_add_f32_e32 v135, 0x40051340, v20
	v_max_f32_e32 v135, v136, v135
	v_cndmask_b32_e64 v135, v30, v135, s[10:11]
	v_max_f32_e32 v136, v135, v135
	v_max_f32_e32 v136, v136, v146
	v_cndmask_b32_e64 v135, v135, v136, s[12:13]
	v_max_f32_e32 v136, v135, v135
	;; [unrolled: 3-line block ×7, first 2 shown]
	v_max_f32_e32 v136, v136, v153
	v_cndmask_b32_e64 v135, v135, v136, s[24:25]
	ds_bpermute_b32 v136, v115, v135
	v_max_f32_e32 v135, v135, v135
	v_lshl_add_u64 v[146:147], v[72:73], 2, s[26:27]
	v_lshl_add_u64 v[148:149], v[74:75], 2, s[26:27]
	;; [unrolled: 1-line block ×3, first 2 shown]
	s_waitcnt lgkmcnt(0)
	v_max_f32_e32 v136, v136, v136
	v_max_f32_e32 v135, v135, v136
	ds_bpermute_b32 v136, v116, v135
	v_lshl_add_u64 v[148:149], v[148:149], 0, v[40:41]
	v_cndmask_b32_e64 v147, v37, v147, s[6:7]
	v_cndmask_b32_e64 v149, v37, v149, s[8:9]
	;; [unrolled: 1-line block ×3, first 2 shown]
	s_waitcnt lgkmcnt(0)
	v_max_f32_e32 v37, v136, v136
	v_max_f32_e32 v37, v135, v37
	v_sub_f32_e32 v135, v20, v37
	v_sub_f32_e32 v136, v21, v37
	;; [unrolled: 1-line block ×6, first 2 shown]
	v_cndmask_b32_e64 v148, v127, v148, s[8:9]
	v_sub_f32_e32 v18, v18, v37
	v_sub_f32_e32 v19, v19, v37
	v_mul_f32_e32 v152, 0x3fb8aa3b, v18
	v_sub_f32_e32 v30, v30, v37
	v_mul_f32_e32 v153, 0x3fb8aa3b, v19
	v_fma_f32 v167, v18, s30, -v152
	v_rndne_f32_e32 v168, v152
	v_mul_f32_e32 v154, 0x3fb8aa3b, v30
	v_fma_f32 v169, v19, s30, -v153
	v_rndne_f32_e32 v170, v153
	v_fmac_f32_e32 v167, 0x32a5705f, v18
	v_sub_f32_e32 v152, v152, v168
	v_cmp_ngt_f32_e32 vcc, s45, v135
	v_fma_f32 v171, v30, s30, -v154
	v_rndne_f32_e32 v172, v154
	v_fmac_f32_e32 v169, 0x32a5705f, v19
	v_sub_f32_e32 v153, v153, v170
	v_add_f32_e32 v152, v152, v167
	v_cvt_i32_f32_e32 v168, v168
	v_fmac_f32_e32 v171, 0x32a5705f, v30
	v_sub_f32_e32 v154, v154, v172
	v_add_f32_e32 v153, v153, v169
	v_exp_f32_e32 v152, v152
	v_cvt_i32_f32_e32 v170, v170
	v_add_f32_e32 v154, v154, v171
	v_exp_f32_e32 v153, v153
	v_cvt_i32_f32_e32 v172, v172
	v_exp_f32_e32 v154, v154
	v_mov_b32_e32 v134, s44
	s_waitcnt vmcnt(0)
	ds_write_b128 v118, v[78:81]
	flat_load_dwordx4 v[20:23], v[146:147]
	v_mul_f32_e32 v146, 0x3fb8aa3b, v16
	v_mul_f32_e32 v147, 0x3fb8aa3b, v17
	;; [unrolled: 1-line block ×4, first 2 shown]
	v_fma_f32 v163, v16, s30, -v146
	v_rndne_f32_e32 v164, v146
	v_fma_f32 v165, v17, s30, -v147
	v_rndne_f32_e32 v166, v147
	;; [unrolled: 2-line block ×4, first 2 shown]
	v_fmac_f32_e32 v163, 0x32a5705f, v16
	v_sub_f32_e32 v146, v146, v164
	v_fmac_f32_e32 v165, 0x32a5705f, v17
	v_sub_f32_e32 v147, v147, v166
	;; [unrolled: 2-line block ×4, first 2 shown]
	v_add_f32_e32 v146, v146, v163
	v_add_f32_e32 v147, v147, v165
	;; [unrolled: 1-line block ×4, first 2 shown]
	v_exp_f32_e32 v155, v146
	v_exp_f32_e32 v157, v147
	v_mul_f32_e32 v80, 0x3fb8aa3b, v150
	v_mul_f32_e32 v81, 0x3fb8aa3b, v151
	v_fma_f32 v159, v150, s30, -v80
	v_rndne_f32_e32 v160, v80
	v_fma_f32 v161, v151, s30, -v81
	v_rndne_f32_e32 v162, v81
	v_cvt_i32_f32_e32 v156, v156
	v_fmac_f32_e32 v159, 0x32a5705f, v150
	v_sub_f32_e32 v80, v80, v160
	v_exp_f32_e32 v78, v78
	v_cvt_i32_f32_e32 v158, v158
	v_fmac_f32_e32 v161, 0x32a5705f, v151
	v_sub_f32_e32 v81, v81, v162
	v_add_f32_e32 v80, v80, v159
	v_exp_f32_e32 v79, v79
	v_cvt_i32_f32_e32 v160, v160
	v_add_f32_e32 v81, v81, v161
	v_exp_f32_e32 v80, v80
	v_cvt_i32_f32_e32 v162, v162
	v_exp_f32_e32 v81, v81
	v_cvt_i32_f32_e32 v164, v164
	v_ldexp_f32 v78, v78, v156
	v_cvt_i32_f32_e32 v166, v166
	v_ldexp_f32 v79, v79, v158
	v_cndmask_b32_e32 v78, 0, v78, vcc
	v_cmp_ngt_f32_e32 vcc, s45, v136
	v_ldexp_f32 v80, v80, v160
	v_ldexp_f32 v81, v81, v162
	v_cndmask_b32_e32 v79, 0, v79, vcc
	v_cmp_ngt_f32_e32 vcc, s45, v150
	s_waitcnt vmcnt(0) lgkmcnt(0)
	ds_write_b128 v119, v[20:23]
	flat_load_dwordx4 v[146:149], v[148:149]
	v_cndmask_b32_e32 v80, 0, v80, vcc
	v_cmp_ngt_f32_e32 vcc, s45, v151
	v_ldexp_f32 v20, v155, v164
	v_ldexp_f32 v21, v157, v166
	v_cndmask_b32_e32 v81, 0, v81, vcc
	v_cmp_ngt_f32_e32 vcc, s45, v16
	v_ldexp_f32 v22, v152, v168
	v_ldexp_f32 v23, v153, v170
	v_cndmask_b32_e32 v20, 0, v20, vcc
	v_cmp_ngt_f32_e32 vcc, s45, v17
	v_ldexp_f32 v152, v154, v172
	s_waitcnt vmcnt(0) lgkmcnt(0)
	ds_write_b128 v120, v[146:149]
	v_cndmask_b32_e32 v21, 0, v21, vcc
	v_cmp_ngt_f32_e32 vcc, s45, v18
	s_waitcnt lgkmcnt(0)
	s_barrier
	v_cndmask_b32_e32 v22, 0, v22, vcc
	v_cmp_ngt_f32_e32 vcc, s45, v19
	s_nop 1
	v_cndmask_b32_e32 v23, 0, v23, vcc
	v_cmp_ngt_f32_e32 vcc, s45, v30
	s_nop 1
	v_cndmask_b32_e32 v152, 0, v152, vcc
	v_cmp_nlt_f32_e32 vcc, s46, v135
	s_nop 1
	v_cndmask_b32_e32 v78, v128, v78, vcc
	v_cmp_nlt_f32_e32 vcc, s46, v136
	;; [unrolled: 3-line block ×5, first 2 shown]
	v_cndmask_b32_e64 v16, 0, v78, s[10:11]
	s_nop 0
	v_cndmask_b32_e32 v154, v128, v20, vcc
	v_cmp_nlt_f32_e32 vcc, s46, v17
	v_cndmask_b32_e64 v20, v142, v154, s[18:19]
	s_nop 0
	v_cndmask_b32_e32 v136, v128, v21, vcc
	v_cmp_nlt_f32_e32 vcc, s46, v18
	v_cndmask_b32_e64 v18, v134, v150, s[14:15]
	v_cndmask_b32_e64 v21, v143, v136, s[20:21]
	v_cndmask_b32_e32 v135, v128, v22, vcc
	v_cmp_nlt_f32_e32 vcc, s46, v19
	v_cndmask_b32_e64 v19, v31, v153, s[12:13]
	v_cndmask_b32_e64 v31, v137, v151, s[16:17]
	;; [unrolled: 4-line block ×3, first 2 shown]
	v_cndmask_b32_e32 v23, v128, v152, vcc
	v_cmp_le_f32_e32 vcc, s47, v30
	v_cvt_pk_f16_f32 v78, v16, v19
	v_cvt_pk_f16_f32 v81, v22, v80
	v_cndmask_b32_e32 v134, 0, v23, vcc
	v_cvt_f16_f32_e32 v23, v134
	v_cvt_pk_f16_f32 v80, v20, v21
	v_cvt_pk_f16_f32 v79, v18, v31
	v_cmp_lt_i32_e32 vcc, s42, v107
	v_mul_u32_u24_e32 v137, 0x10001, v23
	v_pk_mul_f16 v19, v33, v137
	v_pk_mul_f16 v21, v32, v137
	ds_read_u16 v32, v123
	ds_read_u16 v144, v123 offset:32
	ds_read_u16 v146, v123 offset:64
	;; [unrolled: 1-line block ×23, first 2 shown]
	ds_read_u16 v143, v124
	ds_read_u16 v170, v124 offset:32
	ds_read_u16 v171, v124 offset:64
	ds_read_u16 v172, v124 offset:96
	ds_read_u16 v173, v124 offset:128
	ds_read_u16 v174, v124 offset:160
	ds_read_u16 v175, v124 offset:192
	ds_read_u16 v176, v124 offset:224
	ds_read_u16 v177, v123 offset:8704
	ds_read_u16 v178, v123 offset:8736
	ds_read_u16 v179, v123 offset:8768
	ds_read_u16 v180, v123 offset:8800
	ds_read_u16 v181, v123 offset:8832
	ds_read_u16 v182, v123 offset:8864
	ds_read_u16 v183, v123 offset:8896
	ds_read_u16 v184, v123 offset:8928
	ds_read_u16 v185, v123 offset:8976
	ds_read_u16 v186, v123 offset:9008
	ds_read_u16 v187, v123 offset:9040
	ds_read_u16 v188, v123 offset:9072
	ds_read_u16 v189, v123 offset:9104
	ds_read_u16 v190, v123 offset:9136
	ds_read_u16 v191, v123 offset:9168
	ds_read_u16 v192, v123 offset:9200
	ds_read_u16 v193, v123 offset:9248
	ds_read_u16 v194, v123 offset:9280
	ds_read_u16 v195, v123 offset:9312
	ds_read_u16 v196, v123 offset:9344
	ds_read_u16 v197, v123 offset:9376
	ds_read_u16 v198, v123 offset:9408
	ds_read_u16 v199, v123 offset:9440
	ds_read_u16 v200, v123 offset:9472
	ds_read_u16 v201, v124 offset:8704
	ds_read_u16 v202, v124 offset:8736
	ds_read_u16 v203, v124 offset:8768
	ds_read_u16 v204, v124 offset:8800
	ds_read_u16 v205, v124 offset:8832
	ds_read_u16 v206, v124 offset:8864
	ds_read_u16 v207, v124 offset:8896
	ds_read_u16 v208, v124 offset:8928
	v_pk_mul_f16 v23, v29, v137
	v_pk_mul_f16 v28, v28, v137
	s_waitcnt lgkmcnt(14)
	v_perm_b32 v33, v143, v33, s48
	v_perm_b32 v32, v142, v32, s48
	;; [unrolled: 1-line block ×4, first 2 shown]
	v_pk_mul_f16 v31, v25, v137
	v_pk_mul_f16 v152, v24, v137
	v_cvt_f32_f16_e32 v18, v19
	v_cvt_f32_f16_sdwa v19, v19 dst_sel:DWORD dst_unused:UNUSED_PAD src0_sel:WORD_1
	v_cvt_f32_f16_e32 v20, v21
	v_cvt_f32_f16_sdwa v21, v21 dst_sel:DWORD dst_unused:UNUSED_PAD src0_sel:WORD_1
	;; [unrolled: 2-line block ×4, first 2 shown]
	v_mfma_f32_16x16x16_f16 v[18:21], v[32:33], v[78:79], v[18:21]
	s_waitcnt lgkmcnt(7)
	v_perm_b32 v143, v201, v193, s48
	v_perm_b32 v142, v185, v177, s48
	s_waitcnt lgkmcnt(6)
	v_perm_b32 v33, v202, v194, s48
	v_mfma_f32_16x16x16_f16 v[22:25], v[144:145], v[78:79], v[22:25]
	v_perm_b32 v32, v186, v178, s48
	s_nop 0
	v_cvt_f16_f32_e32 v18, v18
	v_cvt_f16_f32_e32 v19, v19
	;; [unrolled: 1-line block ×4, first 2 shown]
	s_nop 1
	v_cvt_f16_f32_e32 v22, v22
	v_cvt_f16_f32_e32 v23, v23
	;; [unrolled: 1-line block ×4, first 2 shown]
	v_cvt_f32_f16_e32 v18, v18
	v_cvt_f32_f16_e32 v19, v19
	;; [unrolled: 1-line block ×8, first 2 shown]
	v_mfma_f32_16x16x16_f16 v[18:21], v[142:143], v[80:81], v[18:21]
	v_cvt_f32_f16_e32 v30, v31
	v_cvt_f32_f16_sdwa v31, v31 dst_sel:DWORD dst_unused:UNUSED_PAD src0_sel:WORD_1
	v_pk_mul_f16 v27, v27, v137
	v_mfma_f32_16x16x16_f16 v[142:145], v[32:33], v[80:81], v[22:25]
	v_cvt_f32_f16_e32 v32, v152
	v_cvt_f32_f16_sdwa v33, v152 dst_sel:DWORD dst_unused:UNUSED_PAD src0_sel:WORD_1
	v_pk_mul_f16 v29, v26, v137
	v_perm_b32 v23, v172, v165, s48
	v_perm_b32 v22, v160, v155, s48
	;; [unrolled: 1-line block ×4, first 2 shown]
	v_mfma_f32_16x16x16_f16 v[22:25], v[22:23], v[78:79], v[30:33]
	v_cvt_f32_f16_e32 v26, v27
	s_waitcnt lgkmcnt(4)
	s_nop 0
	v_perm_b32 v31, v204, v196, s48
	v_perm_b32 v30, v188, v180, s48
	s_nop 2
	v_cvt_f16_f32_e32 v22, v22
	v_cvt_f16_f32_e32 v23, v23
	;; [unrolled: 1-line block ×4, first 2 shown]
	v_cvt_f32_f16_sdwa v27, v27 dst_sel:DWORD dst_unused:UNUSED_PAD src0_sel:WORD_1
	v_cvt_f32_f16_e32 v28, v29
	v_cvt_f32_f16_sdwa v29, v29 dst_sel:DWORD dst_unused:UNUSED_PAD src0_sel:WORD_1
	v_cvt_f32_f16_e32 v22, v22
	v_cvt_f32_f16_e32 v23, v23
	;; [unrolled: 1-line block ×4, first 2 shown]
	v_pk_mul_f16 v91, v91, v137
	v_mfma_f32_16x16x16_f16 v[26:29], v[146:147], v[78:79], v[26:29]
	v_pk_mul_f16 v146, v90, v137
	v_perm_b32 v90, v161, v156, s48
	v_perm_b32 v149, v203, v195, s48
	v_mfma_f32_16x16x16_f16 v[30:33], v[30:31], v[80:81], v[22:25]
	v_perm_b32 v148, v187, v179, s48
	s_nop 2
	v_cvt_f16_f32_e32 v26, v26
	v_cvt_f16_f32_e32 v27, v27
	v_cvt_f32_f16_e32 v22, v91
	v_cvt_f32_f16_sdwa v23, v91 dst_sel:DWORD dst_unused:UNUSED_PAD src0_sel:WORD_1
	v_perm_b32 v91, v173, v166, s48
	v_cvt_f32_f16_e32 v24, v146
	v_cvt_f32_f16_sdwa v25, v146 dst_sel:DWORD dst_unused:UNUSED_PAD src0_sel:WORD_1
	v_cvt_f16_f32_e32 v28, v28
	v_cvt_f16_f32_e32 v29, v29
	v_mfma_f32_16x16x16_f16 v[22:25], v[90:91], v[78:79], v[22:25]
	v_cvt_f32_f16_e32 v26, v26
	v_cvt_f32_f16_e32 v27, v27
	;; [unrolled: 1-line block ×4, first 2 shown]
	s_nop 3
	v_cvt_f16_f32_e32 v22, v22
	v_cvt_f16_f32_e32 v23, v23
	;; [unrolled: 1-line block ×4, first 2 shown]
	s_waitcnt lgkmcnt(3)
	v_perm_b32 v91, v205, v197, s48
	v_perm_b32 v90, v189, v181, s48
	v_cvt_f32_f16_e32 v22, v22
	v_cvt_f32_f16_e32 v23, v23
	;; [unrolled: 1-line block ×4, first 2 shown]
	v_mfma_f32_16x16x16_f16 v[26:29], v[148:149], v[80:81], v[26:29]
	v_pk_mul_f16 v89, v89, v137
	v_pk_mul_f16 v149, v88, v137
	v_perm_b32 v147, v174, v167, s48
	v_perm_b32 v146, v162, v157, s48
	v_mfma_f32_16x16x16_f16 v[22:25], v[90:91], v[80:81], v[22:25]
	v_cvt_f32_f16_e32 v88, v89
	v_cvt_f32_f16_sdwa v89, v89 dst_sel:DWORD dst_unused:UNUSED_PAD src0_sel:WORD_1
	v_cvt_f32_f16_e32 v90, v149
	v_cvt_f32_f16_sdwa v91, v149 dst_sel:DWORD dst_unused:UNUSED_PAD src0_sel:WORD_1
	v_add_f32_e32 v148, v153, v16
	v_cndmask_b32_e64 v16, v16, v148, s[12:13]
	v_mfma_f32_16x16x16_f16 v[88:91], v[146:147], v[78:79], v[88:91]
	s_waitcnt lgkmcnt(2)
	v_perm_b32 v147, v206, v198, s48
	v_perm_b32 v146, v190, v182, s48
	v_pk_mul_f16 v87, v87, v137
	v_add_f32_e32 v148, v16, v150
	s_nop 2
	v_cvt_f16_f32_e32 v88, v88
	v_cvt_f16_f32_e32 v89, v89
	;; [unrolled: 1-line block ×4, first 2 shown]
	v_cvt_f32_f16_e32 v88, v88
	v_cvt_f32_f16_e32 v89, v89
	;; [unrolled: 1-line block ×4, first 2 shown]
	v_pk_mul_f16 v149, v86, v137
	v_perm_b32 v86, v163, v158, s48
	v_mfma_f32_16x16x16_f16 v[88:91], v[146:147], v[80:81], v[88:91]
	v_cvt_f32_f16_e32 v146, v87
	v_cvt_f32_f16_sdwa v147, v87 dst_sel:DWORD dst_unused:UNUSED_PAD src0_sel:WORD_1
	v_perm_b32 v87, v175, v168, s48
	v_cndmask_b32_e64 v16, v16, v148, s[14:15]
	v_cvt_f32_f16_e32 v148, v149
	v_cvt_f32_f16_sdwa v149, v149 dst_sel:DWORD dst_unused:UNUSED_PAD src0_sel:WORD_1
	v_add_f32_e32 v150, v16, v151
	v_cndmask_b32_e64 v16, v16, v150, s[16:17]
	v_mfma_f32_16x16x16_f16 v[146:149], v[86:87], v[78:79], v[146:149]
	v_add_f32_e32 v150, v154, v16
	v_cndmask_b32_e64 v16, v16, v150, s[18:19]
	v_add_f32_e32 v150, v136, v16
	v_pk_mul_f16 v85, v85, v137
	s_nop 3
	v_cvt_f16_f32_e32 v86, v146
	v_cvt_f16_f32_e32 v87, v147
	;; [unrolled: 1-line block ×4, first 2 shown]
	v_cvt_f32_f16_e32 v146, v86
	v_cvt_f32_f16_e32 v147, v87
	s_waitcnt lgkmcnt(1)
	v_perm_b32 v87, v207, v199, s48
	v_perm_b32 v86, v191, v183, s48
	v_cvt_f32_f16_e32 v148, v148
	v_cvt_f32_f16_e32 v149, v149
	v_pk_mul_f16 v151, v84, v137
	v_perm_b32 v137, v176, v169, s48
	v_perm_b32 v136, v164, v159, s48
	v_mfma_f32_16x16x16_f16 v[146:149], v[86:87], v[80:81], v[146:149]
	v_cvt_f32_f16_e32 v84, v85
	v_cvt_f32_f16_sdwa v85, v85 dst_sel:DWORD dst_unused:UNUSED_PAD src0_sel:WORD_1
	v_cvt_f32_f16_e32 v86, v151
	v_cvt_f32_f16_sdwa v87, v151 dst_sel:DWORD dst_unused:UNUSED_PAD src0_sel:WORD_1
	v_cndmask_b32_e64 v16, v16, v150, s[20:21]
	v_add_f32_e32 v135, v135, v16
	v_mfma_f32_16x16x16_f16 v[84:87], v[136:137], v[78:79], v[84:87]
	s_waitcnt lgkmcnt(0)
	v_perm_b32 v137, v208, v200, s48
	v_perm_b32 v136, v192, v184, s48
	v_cndmask_b32_e64 v16, v16, v135, s[22:23]
	v_add_f32_e32 v17, v17, v16
	s_nop 2
	v_cvt_f16_f32_e32 v78, v84
	v_cvt_f16_f32_e32 v79, v85
	;; [unrolled: 1-line block ×4, first 2 shown]
	v_cvt_f32_f16_e32 v84, v78
	v_cvt_f32_f16_e32 v85, v79
	;; [unrolled: 1-line block ×4, first 2 shown]
	v_cndmask_b32_e64 v78, v16, v17, s[24:25]
	v_fmac_f32_e32 v78, v129, v134
	v_mfma_f32_16x16x16_f16 v[84:87], v[136:137], v[80:81], v[84:87]
	v_cvt_pk_f16_f32 v89, v88, v89
	v_cvt_pk_f16_f32 v88, v90, v91
	;; [unrolled: 1-line block ×4, first 2 shown]
	s_nop 3
	v_cvt_pk_f16_f32 v85, v84, v85
	v_cvt_pk_f16_f32 v84, v86, v87
	;; [unrolled: 1-line block ×12, first 2 shown]
	s_barrier
	s_cbranch_vccz .LBB24_368
; %bb.365:                              ;   in Loop: Header=BB24_356 Depth=1
	v_mov_b32_e32 v129, v78
	v_mov_b32_e32 v30, v37
	s_branch .LBB24_356
.LBB24_366:
                                        ; implicit-def: $sgpr4_sgpr5
                                        ; kill: killed $sgpr4_sgpr5
	s_load_dwordx2 s[88:89], s[0:1], 0x5c
	s_branch .LBB24_7
.LBB24_367:
	v_mov_b32_e32 v37, 0xfeffffff
	v_mov_b32_e32 v78, 0
	;; [unrolled: 1-line block ×18, first 2 shown]
.LBB24_368:
	s_lshl_b32 s10, s42, 6
	v_readlane_b32 s0, v240, 4
	s_sub_i32 s18, s0, s10
	s_cmp_lg_u64 s[2:3], 0
	s_cselect_b64 s[12:13], -1, 0
	s_ashr_i32 s11, s10, 31
	s_cmp_eq_u64 s[2:3], 0
	v_readlane_b32 s1, v240, 5
	s_cbranch_scc1 .LBB24_386
; %bb.369:
	s_lshl_b64 s[0:1], s[10:11], 1
	s_add_u32 s0, s2, s0
	s_addc_u32 s1, s3, s1
	v_mov_b32_e32 v39, 0
	v_cmp_gt_i32_e32 vcc, s18, v34
	v_lshl_add_u64 v[16:17], s[0:1], 0, v[38:39]
	v_mov_b32_e32 v19, 0
	s_and_saveexec_b64 s[0:1], vcc
	s_cbranch_execz .LBB24_371
; %bb.370:
	v_mul_hi_u32 v18, s88, v95
	v_add_u32_e32 v18, v95, v18
	v_lshrrev_b32_e32 v18, s89, v18
	v_mul_lo_u32 v18, v18, s72
	v_sub_u32_e32 v18, v95, v18
	v_mad_i64_i32 v[18:19], s[2:3], v18, s52, 0
	v_lshl_add_u64 v[18:19], v[18:19], 1, v[16:17]
	global_load_ushort v19, v[18:19], off
.LBB24_371:
	s_or_b64 exec, exec, s[0:1]
	s_movk_i32 s0, 0x90
	v_mad_u32_u24 v18, v130, s0, 0
	v_lshl_add_u32 v20, v34, 1, v18
	s_waitcnt vmcnt(0)
	ds_write_b16 v20, v19 offset:17408
	s_and_saveexec_b64 s[0:1], vcc
	s_cbranch_execz .LBB24_373
; %bb.372:
	v_mul_hi_u32 v19, s88, v96
	v_add_u32_e32 v19, v96, v19
	v_lshrrev_b32_e32 v19, s89, v19
	v_mul_lo_u32 v19, v19, s72
	v_sub_u32_e32 v19, v96, v19
	v_mad_i64_i32 v[20:21], s[2:3], v19, s52, 0
	v_lshl_add_u64 v[20:21], v[20:21], 1, v[16:17]
	global_load_ushort v39, v[20:21], off
.LBB24_373:
	s_or_b64 exec, exec, s[0:1]
	v_add_u32_e32 v19, 0x240, v18
	v_lshl_add_u32 v18, v34, 1, v19
	s_waitcnt vmcnt(0)
	ds_write_b16 v18, v39 offset:17408
	v_mov_b32_e32 v18, 0
	v_mov_b32_e32 v20, 0
	s_and_saveexec_b64 s[0:1], vcc
	s_cbranch_execz .LBB24_375
; %bb.374:
	v_mul_hi_u32 v20, s88, v97
	v_add_u32_e32 v20, v97, v20
	v_lshrrev_b32_e32 v20, s89, v20
	v_mul_lo_u32 v20, v20, s72
	v_sub_u32_e32 v20, v97, v20
	v_mad_i64_i32 v[20:21], s[2:3], v20, s52, 0
	v_lshl_add_u64 v[20:21], v[20:21], 1, v[16:17]
	global_load_ushort v20, v[20:21], off
.LBB24_375:
	s_or_b64 exec, exec, s[0:1]
	v_add_u32_e32 v19, 0x240, v19
	v_lshl_add_u32 v21, v34, 1, v19
	s_waitcnt vmcnt(0)
	ds_write_b16 v21, v20 offset:17408
	s_and_saveexec_b64 s[0:1], vcc
	s_cbranch_execz .LBB24_377
; %bb.376:
	v_mul_hi_u32 v18, s88, v99
	v_add_u32_e32 v18, v99, v18
	v_lshrrev_b32_e32 v18, s89, v18
	v_mul_lo_u32 v18, v18, s72
	v_sub_u32_e32 v18, v99, v18
	v_mad_i64_i32 v[20:21], s[2:3], v18, s52, 0
	v_lshl_add_u64 v[20:21], v[20:21], 1, v[16:17]
	global_load_ushort v18, v[20:21], off
.LBB24_377:
	s_or_b64 exec, exec, s[0:1]
	v_add_u32_e32 v19, 0x240, v19
	v_lshl_add_u32 v20, v34, 1, v19
	s_waitcnt vmcnt(0)
	ds_write_b16 v20, v18 offset:17408
	v_mov_b32_e32 v18, 0
	v_mov_b32_e32 v20, 0
	s_and_saveexec_b64 s[0:1], vcc
	s_cbranch_execz .LBB24_379
; %bb.378:
	v_mul_hi_u32 v20, s88, v100
	v_add_u32_e32 v20, v100, v20
	v_lshrrev_b32_e32 v20, s89, v20
	v_mul_lo_u32 v20, v20, s72
	v_sub_u32_e32 v20, v100, v20
	v_mad_i64_i32 v[20:21], s[2:3], v20, s52, 0
	v_lshl_add_u64 v[20:21], v[20:21], 1, v[16:17]
	global_load_ushort v20, v[20:21], off
.LBB24_379:
	s_or_b64 exec, exec, s[0:1]
	v_add_u32_e32 v19, 0x240, v19
	;; [unrolled: 36-line block ×3, first 2 shown]
	v_lshl_add_u32 v19, v34, 1, v19
	s_waitcnt vmcnt(0)
	ds_write_b16 v19, v20 offset:17408
	s_and_saveexec_b64 s[0:1], vcc
	s_cbranch_execz .LBB24_385
; %bb.384:
	v_mul_hi_u32 v18, s88, v104
	v_add_u32_e32 v18, v104, v18
	v_lshrrev_b32_e32 v18, s89, v18
	v_mul_lo_u32 v18, v18, s72
	v_sub_u32_e32 v18, v104, v18
	v_mad_i64_i32 v[20:21], s[2:3], v18, s52, 0
	v_lshl_add_u64 v[16:17], v[20:21], 1, v[16:17]
	global_load_ushort v18, v[16:17], off
.LBB24_385:
	s_or_b64 exec, exec, s[0:1]
	s_waitcnt vmcnt(0)
	ds_write_b16 v19, v18 offset:17984
.LBB24_386:
	s_mul_hi_i32 s3, s10, s86
	s_mul_i32 s2, s10, s86
	s_lshl_b64 s[2:3], s[2:3], 2
	v_lshl_add_u32 v18, v130, 2, v106
	s_add_u32 s2, s41, s2
	v_mul_lo_u32 v20, s86, v18
	s_addc_u32 s3, s43, s3
	v_and_b32_e32 v16, 60, v105
	v_ashrrev_i32_e32 v21, 31, v20
	s_mov_b64 s[0:1], src_private_base
	v_mov_b32_e32 v17, 0
	v_lshlrev_b32_e32 v16, 2, v16
	v_lshl_add_u64 v[22:23], v[20:21], 2, s[2:3]
	v_lshl_add_u64 v[22:23], v[22:23], 0, v[16:17]
	v_mov_b32_e32 v19, s1
	v_cmp_gt_i32_e64 s[6:7], s18, v18
	v_mov_b32_e32 v42, 0
	v_mov_b32_e32 v38, v17
	;; [unrolled: 1-line block ×5, first 2 shown]
	v_cndmask_b32_e64 v23, v19, v23, s[6:7]
	v_cndmask_b32_e64 v22, v42, v22, s[6:7]
	scratch_store_dwordx4 off, v[38:41], off
	flat_load_dwordx4 v[38:41], v[22:23]
	s_lshl_b32 s8, s86, 4
	v_mul_u32_u24_e32 v21, 0x110, v18
	v_add_u32_e32 v20, s8, v20
	v_add3_u32 v22, 0, v21, v16
	v_ashrrev_i32_e32 v21, 31, v20
	v_add_u32_e32 v23, 16, v18
	v_lshl_add_u64 v[30:31], v[20:21], 2, s[2:3]
	v_lshl_add_u64 v[30:31], v[30:31], 0, v[16:17]
	v_cmp_gt_i32_e64 s[4:5], s18, v23
	v_add_u32_e32 v20, s8, v20
	v_ashrrev_i32_e32 v21, 31, v20
	v_cndmask_b32_e64 v31, v19, v31, s[4:5]
	v_cndmask_b32_e64 v30, v42, v30, s[4:5]
	v_add_u32_e32 v23, 32, v18
	v_cmp_gt_i32_e64 s[0:1], s18, v23
	v_add_u32_e32 v23, 48, v18
	s_and_b64 vcc, exec, s[12:13]
	s_waitcnt vmcnt(0) lgkmcnt(0)
	ds_write_b128 v22, v[38:41]
	flat_load_dwordx4 v[38:41], v[30:31]
	v_lshl_add_u64 v[30:31], v[20:21], 2, s[2:3]
	v_lshl_add_u64 v[30:31], v[30:31], 0, v[16:17]
	v_cndmask_b32_e64 v31, v19, v31, s[0:1]
	v_cndmask_b32_e64 v30, v42, v30, s[0:1]
	v_add_u32_e32 v20, s8, v20
	v_ashrrev_i32_e32 v21, 31, v20
	v_lshl_add_u64 v[20:21], v[20:21], 2, s[2:3]
	v_lshl_add_u64 v[20:21], v[20:21], 0, v[16:17]
	v_cmp_gt_i32_e64 s[8:9], s18, v23
	v_and_b32_e32 v17, 16, v131
	s_waitcnt vmcnt(0) lgkmcnt(0)
	ds_write_b128 v22, v[38:41] offset:4352
	flat_load_dwordx4 v[38:41], v[30:31]
	v_cndmask_b32_e64 v21, v19, v21, s[8:9]
	v_cndmask_b32_e64 v20, v42, v20, s[8:9]
	v_add_u32_e32 v19, 0, v102
	s_waitcnt vmcnt(0) lgkmcnt(0)
	ds_write_b128 v22, v[38:41] offset:8704
	flat_load_dwordx4 v[38:41], v[20:21]
	v_mul_u32_u24_e32 v20, 0x110, v17
	v_add3_u32 v19, v19, v83, v20
	v_add_u32_e32 v20, 0x2000, v19
	s_waitcnt vmcnt(0) lgkmcnt(0)
	ds_write_b128 v22, v[38:41] offset:13056
	s_waitcnt lgkmcnt(0)
	s_barrier
	ds_read2_b64 v[38:41], v19 offset1:4
	ds_read2_b64 v[46:49], v20 offset0:64 offset1:68
	s_waitcnt lgkmcnt(1)
	v_mfma_f32_16x16x16_f16 v[42:45], v[38:39], v[12:13], 0
	s_waitcnt lgkmcnt(0)
	v_mfma_f32_16x16x16_f16 v[50:53], v[46:47], v[12:13], 0
	v_mfma_f32_16x16x16_f16 v[38:41], v[40:41], v[14:15], v[42:45]
	;; [unrolled: 1-line block ×3, first 2 shown]
	s_nop 3
	ds_read2_b64 v[42:45], v19 offset0:8 offset1:12
	ds_read2_b64 v[46:49], v20 offset0:72 offset1:76
	s_waitcnt lgkmcnt(1)
	v_mfma_f32_16x16x16_f16 v[38:41], v[42:43], v[8:9], v[38:41]
	s_waitcnt lgkmcnt(0)
	v_mfma_f32_16x16x16_f16 v[12:15], v[46:47], v[8:9], v[12:15]
	v_mfma_f32_16x16x16_f16 v[38:41], v[44:45], v[10:11], v[38:41]
	ds_read2_b64 v[42:45], v20 offset0:80 offset1:84
	v_mfma_f32_16x16x16_f16 v[8:11], v[48:49], v[10:11], v[12:15]
	s_nop 4
	ds_read2_b64 v[12:15], v19 offset0:16 offset1:20
	s_waitcnt lgkmcnt(0)
	v_mfma_f32_16x16x16_f16 v[38:41], v[12:13], v[4:5], v[38:41]
	v_mfma_f32_16x16x16_f16 v[8:11], v[42:43], v[4:5], v[8:11]
	;; [unrolled: 1-line block ×4, first 2 shown]
	s_nop 4
	ds_read2_b64 v[38:41], v20 offset0:88 offset1:92
	ds_read2_b64 v[8:11], v19 offset0:24 offset1:28
	s_waitcnt lgkmcnt(0)
	v_mfma_f32_16x16x16_f16 v[12:15], v[8:9], v[0:1], v[12:15]
	s_barrier
	v_mfma_f32_16x16x16_f16 v[4:7], v[38:39], v[0:1], v[4:7]
	v_and_b32_e32 v38, 0xfc, v94
	v_add_u32_e32 v23, v38, v17
	v_add_u32_e32 v17, 32, v23
	v_mfma_f32_16x16x16_f16 v[8:11], v[10:11], v[2:3], v[12:15]
	v_add_u32_e32 v19, 34, v23
	v_mfma_f32_16x16x16_f16 v[12:15], v[40:41], v[2:3], v[4:7]
	s_cbranch_vccz .LBB24_388
; %bb.387:
	s_movk_i32 s2, 0x90
	v_mad_u32_u24 v2, v98, s2, 0
	v_lshlrev_b32_e32 v0, 1, v23
	s_movk_i32 s2, 0x4400
	v_add_u32_e32 v31, 32, v23
	v_add_u32_e32 v30, 34, v23
	v_add3_u32 v0, v2, v0, s2
	v_lshl_add_u32 v3, v31, 1, v2
	v_lshl_add_u32 v2, v30, 1, v2
	ds_read2_b32 v[0:1], v0 offset1:1
	ds_read_b32 v3, v3 offset:17408
	ds_read_b32 v2, v2 offset:17408
	s_mov_b64 s[2:3], 0
	s_waitcnt lgkmcnt(2)
	v_cvt_f32_f16_e32 v4, v0
	v_cvt_f32_f16_sdwa v5, v0 dst_sel:DWORD dst_unused:UNUSED_PAD src0_sel:WORD_1
	v_cvt_f32_f16_e32 v0, v1
	v_cvt_f32_f16_sdwa v1, v1 dst_sel:DWORD dst_unused:UNUSED_PAD src0_sel:WORD_1
	s_waitcnt lgkmcnt(1)
	v_cvt_f32_f16_e32 v20, v3
	s_waitcnt lgkmcnt(0)
	v_cvt_f32_f16_e32 v6, v2
	v_cvt_f32_f16_sdwa v7, v2 dst_sel:DWORD dst_unused:UNUSED_PAD src0_sel:WORD_1
	v_cvt_f32_f16_sdwa v21, v3 dst_sel:DWORD dst_unused:UNUSED_PAD src0_sel:WORD_1
	v_pk_fma_f32 v[2:3], v[36:37], v[0:1], v[10:11] op_sel_hi:[0,1,1]
	v_pk_fma_f32 v[0:1], v[36:37], v[4:5], v[8:9] op_sel_hi:[0,1,1]
	;; [unrolled: 1-line block ×4, first 2 shown]
	s_branch .LBB24_389
.LBB24_388:
	s_mov_b64 s[2:3], -1
                                        ; implicit-def: $vgpr0_vgpr1_vgpr2_vgpr3
                                        ; implicit-def: $vgpr4_vgpr5_vgpr6_vgpr7
                                        ; implicit-def: $vgpr31
                                        ; implicit-def: $vgpr30
.LBB24_389:
	v_add_u32_e32 v39, 0x1100, v22
	v_add_u32_e32 v21, 0x2200, v22
	s_andn2_b64 vcc, exec, s[2:3]
	v_add_u32_e32 v20, 0x3300, v22
	s_cbranch_vccnz .LBB24_391
; %bb.390:
	s_nop 0
	v_mov_b64_e32 v[4:5], v[12:13]
	v_mov_b64_e32 v[0:1], v[8:9]
	v_mov_b32_e32 v30, v19
	v_mov_b32_e32 v31, v17
	v_mov_b64_e32 v[6:7], v[14:15]
	v_mov_b64_e32 v[2:3], v[10:11]
.LBB24_391:
	s_mul_hi_i32 s11, s10, s74
	s_mul_i32 s10, s10, s74
	s_lshl_b64 s[10:11], s[10:11], 2
	s_mov_b64 s[2:3], src_private_base
	s_add_u32 s10, s33, s10
	v_mul_lo_u32 v8, s74, v18
	s_addc_u32 s11, s40, s11
	v_ashrrev_i32_e32 v9, 31, v8
	s_lshl_b32 s2, s74, 4
	v_lshl_add_u64 v[10:11], v[8:9], 2, s[10:11]
	v_add_u32_e32 v8, s2, v8
	v_ashrrev_i32_e32 v9, 31, v8
	v_lshl_add_u64 v[12:13], v[8:9], 2, s[10:11]
	v_add_u32_e32 v8, s2, v8
	v_ashrrev_i32_e32 v9, 31, v8
	;; [unrolled: 3-line block ×3, first 2 shown]
	v_mov_b32_e32 v17, 0
	v_lshl_add_u64 v[8:9], v[8:9], 2, s[10:11]
	v_lshl_add_u64 v[10:11], v[10:11], 0, v[16:17]
	v_mov_b32_e32 v44, s3
	v_mov_b32_e32 v45, 0
	v_lshl_add_u64 v[12:13], v[12:13], 0, v[16:17]
	v_lshl_add_u64 v[40:41], v[14:15], 0, v[16:17]
	;; [unrolled: 1-line block ×3, first 2 shown]
	v_mov_b32_e32 v16, v17
	v_mov_b32_e32 v18, v17
	v_mov_b32_e32 v19, v17
	v_cndmask_b32_e64 v11, v44, v11, s[6:7]
	v_cndmask_b32_e64 v10, v45, v10, s[6:7]
	scratch_store_dwordx4 off, v[16:19], off
	flat_load_dwordx4 v[8:11], v[10:11]
	v_cndmask_b32_e64 v13, v44, v13, s[4:5]
	v_cndmask_b32_e64 v12, v45, v12, s[4:5]
	v_cmp_gt_u32_e64 s[14:15], s18, v23
	v_or_b32_e32 v18, 1, v23
	v_or_b32_e32 v46, 2, v23
	;; [unrolled: 1-line block ×3, first 2 shown]
	v_add_u32_e32 v51, 33, v23
	v_add_u32_e32 v54, 35, v23
	v_cmp_gt_u32_e64 s[12:13], s18, v18
	v_add_f32_e32 v47, 0x40051340, v2
	v_cmp_gt_u32_e64 s[10:11], s18, v46
	v_add_f32_e32 v49, 0x40051340, v3
	;; [unrolled: 2-line block ×3, first 2 shown]
	s_mov_b32 s4, 0
	s_movk_i32 s5, 0x220
	v_mov_b32_e32 v15, s4
	v_mov_b32_e32 v14, s4
	;; [unrolled: 1-line block ×5, first 2 shown]
	v_mad_u32_u24 v63, v93, s5, 0
	v_add_f32_e32 v52, 0x40051340, v5
	v_cmp_gt_u32_e64 s[16:17], s18, v51
	v_mbcnt_hi_u32_b32 v36, -1, v133
	v_add_f32_e32 v53, 0x40051340, v6
	v_mul_u32_u24_e32 v57, 0x110, v38
	v_or_b32_e32 v38, 3, v94
	v_and_b32_e32 v59, 64, v36
	v_xor_b32_e32 v60, 32, v36
	v_mul_u32_u24_e32 v62, 0x110, v38
	v_add_u32_e32 v38, 64, v59
	v_xor_b32_e32 v61, 16, v36
	v_cmp_lt_i32_e32 vcc, v60, v38
	v_add_f32_e32 v55, 0x40051340, v7
	s_mov_b32 s21, 0x3fb8aa3b
	v_cndmask_b32_e32 v59, v36, v60, vcc
	v_cmp_lt_i32_e32 vcc, v61, v38
	s_mov_b32 s20, 0xc2ce8ed0
	s_mov_b32 s19, 0x42b17218
	v_cndmask_b32_e32 v38, v36, v61, vcc
	v_cmp_gt_u32_e32 vcc, s18, v54
	v_lshlrev_b32_e32 v36, 2, v59
	v_lshlrev_b32_e32 v38, 2, v38
	v_mov_b32_e32 v56, 0x7f800000
	s_mov_b32 s3, 0xc1a00000
	s_mov_b32 s2, 0x5040100
	s_waitcnt vmcnt(0) lgkmcnt(0)
	ds_write_b128 v22, v[8:11]
	flat_load_dwordx4 v[8:11], v[12:13]
	v_add_f32_e32 v12, 0x40051340, v0
	v_max_f32_e32 v13, v37, v37
	v_max_f32_e32 v58, v13, v12
	v_cndmask_b32_e64 v23, v37, v58, s[14:15]
	v_add_f32_e32 v22, 0x40051340, v1
	v_max_f32_e32 v58, v23, v23
	v_max_f32_e32 v22, v58, v22
	v_cndmask_b32_e64 v18, v23, v22, s[12:13]
	v_max_f32_e32 v22, v18, v18
	v_max_f32_e32 v22, v22, v47
	v_cndmask_b32_e64 v18, v18, v22, s[10:11]
	v_cndmask_b32_e64 v23, v44, v41, s[0:1]
	;; [unrolled: 1-line block ×3, first 2 shown]
	v_max_f32_e32 v46, v18, v18
	v_max_f32_e32 v40, v46, v49
	v_cndmask_b32_e64 v18, v18, v40, s[6:7]
	v_max_f32_e32 v40, v18, v18
	v_mov_b32_e32 v13, s4
	v_mov_b32_e32 v12, s4
	v_max_f32_e32 v40, v40, v50
	v_cmp_gt_u32_e64 s[4:5], s18, v31
	v_cmp_gt_u32_e64 s[0:1], s18, v30
	v_add3_u32 v41, v63, v57, v92
	v_cndmask_b32_e64 v18, v18, v40, s[4:5]
	v_max_f32_e32 v31, v18, v18
	v_max_f32_e32 v31, v31, v52
	v_cndmask_b32_e64 v18, v18, v31, s[16:17]
	v_max_f32_e32 v31, v18, v18
	v_max_f32_e32 v31, v31, v53
	v_cndmask_b32_e64 v18, v18, v31, s[0:1]
	v_max_f32_e32 v30, v18, v18
	v_max_f32_e32 v30, v30, v55
	v_cndmask_b32_e32 v18, v18, v30, vcc
	ds_bpermute_b32 v30, v36, v18
	v_max_f32_e32 v18, v18, v18
	v_add3_u32 v46, v63, v62, v92
	s_waitcnt vmcnt(0) lgkmcnt(0)
	ds_write_b128 v39, v[8:11]
	flat_load_dwordx4 v[8:11], v[22:23]
	v_max_f32_e32 v22, v30, v30
	v_max_f32_e32 v18, v18, v22
	ds_bpermute_b32 v30, v38, v18
	v_cndmask_b32_e64 v22, v45, v42, s[8:9]
	v_cndmask_b32_e64 v23, v44, v43, s[8:9]
	s_waitcnt lgkmcnt(0)
	v_max_f32_e32 v30, v30, v30
	v_max_f32_e32 v39, v18, v30
	v_sub_f32_e32 v0, v0, v39
	v_sub_f32_e32 v4, v4, v39
	;; [unrolled: 1-line block ×5, first 2 shown]
	v_mul_f32_e32 v30, 0x3fb8aa3b, v0
	v_mul_f32_e32 v42, 0x3fb8aa3b, v4
	;; [unrolled: 1-line block ×5, first 2 shown]
	v_fma_f32 v48, v0, s21, -v30
	v_rndne_f32_e32 v49, v30
	v_fma_f32 v57, v4, s21, -v42
	v_rndne_f32_e32 v58, v42
	v_rndne_f32_e32 v60, v43
	;; [unrolled: 1-line block ×4, first 2 shown]
	v_fmac_f32_e32 v48, 0x32a5705f, v0
	v_sub_f32_e32 v30, v30, v49
	v_fmac_f32_e32 v57, 0x32a5705f, v4
	v_sub_f32_e32 v42, v42, v58
	v_fma_f32 v59, v5, s21, -v43
	v_fma_f32 v61, v6, s21, -v44
	;; [unrolled: 1-line block ×3, first 2 shown]
	v_sub_f32_e32 v67, v43, v60
	v_sub_f32_e32 v68, v44, v62
	;; [unrolled: 1-line block ×3, first 2 shown]
	v_add_f32_e32 v30, v30, v48
	v_add_f32_e32 v48, v42, v57
	v_sub_f32_e32 v1, v1, v39
	v_sub_f32_e32 v2, v2, v39
	v_mul_f32_e32 v31, 0x3fb8aa3b, v1
	v_sub_f32_e32 v3, v3, v39
	v_sub_f32_e32 v18, v37, v39
	v_mul_f32_e32 v37, 0x3fb8aa3b, v2
	v_fma_f32 v50, v1, s21, -v31
	v_rndne_f32_e32 v51, v31
	v_mul_f32_e32 v40, 0x3fb8aa3b, v3
	v_fma_f32 v52, v2, s21, -v37
	v_rndne_f32_e32 v53, v37
	v_fmac_f32_e32 v50, 0x32a5705f, v1
	v_sub_f32_e32 v31, v31, v51
	v_fma_f32 v54, v3, s21, -v40
	v_rndne_f32_e32 v55, v40
	v_cvt_i32_f32_e32 v49, v49
	v_fmac_f32_e32 v52, 0x32a5705f, v2
	v_sub_f32_e32 v37, v37, v53
	v_add_f32_e32 v31, v31, v50
	v_cvt_i32_f32_e32 v51, v51
	v_fmac_f32_e32 v54, 0x32a5705f, v3
	v_sub_f32_e32 v40, v40, v55
	v_add_f32_e32 v37, v37, v52
	v_cvt_i32_f32_e32 v53, v53
	v_add_f32_e32 v40, v40, v54
	v_cvt_i32_f32_e32 v55, v55
	v_fmac_f32_e32 v59, 0x32a5705f, v5
	v_mul_f32_e32 v47, 0x3fb8aa3b, v18
	v_cvt_i32_f32_e32 v58, v58
	v_fmac_f32_e32 v61, 0x32a5705f, v6
	v_cmp_ngt_f32_e64 s[8:9], s20, v0
	v_fma_f32 v65, v18, s21, -v47
	v_rndne_f32_e32 v66, v47
	v_cvt_i32_f32_e32 v60, v60
	v_fmac_f32_e32 v63, 0x32a5705f, v7
	v_cvt_i32_f32_e32 v62, v62
	v_fmac_f32_e32 v65, 0x32a5705f, v18
	v_sub_f32_e32 v47, v47, v66
	v_cvt_i32_f32_e32 v64, v64
	v_cvt_i32_f32_e32 v66, v66
	s_waitcnt vmcnt(0)
	ds_write_b128 v21, v[8:11]
	flat_load_dwordx4 v[42:45], v[22:23]
	v_exp_f32_e32 v21, v30
	v_exp_f32_e32 v22, v31
	;; [unrolled: 1-line block ×4, first 2 shown]
	v_add_f32_e32 v8, v67, v59
	v_exp_f32_e32 v31, v48
	v_ldexp_f32 v21, v21, v49
	v_add_f32_e32 v9, v68, v61
	v_exp_f32_e32 v8, v8
	v_ldexp_f32 v22, v22, v51
	v_cndmask_b32_e64 v21, 0, v21, s[8:9]
	v_cmp_ngt_f32_e64 s[8:9], s20, v1
	v_add_f32_e32 v10, v69, v63
	v_exp_f32_e32 v9, v9
	v_ldexp_f32 v23, v23, v53
	v_cndmask_b32_e64 v22, 0, v22, s[8:9]
	v_cmp_ngt_f32_e64 s[8:9], s20, v2
	;; [unrolled: 5-line block ×3, first 2 shown]
	v_exp_f32_e32 v11, v11
	v_ldexp_f32 v31, v31, v58
	v_cndmask_b32_e64 v30, 0, v30, s[8:9]
	v_cmp_ngt_f32_e64 s[8:9], s20, v4
	v_ldexp_f32 v8, v8, v60
	v_ldexp_f32 v9, v9, v62
	v_cndmask_b32_e64 v31, 0, v31, s[8:9]
	v_cmp_ngt_f32_e64 s[8:9], s20, v5
	v_ldexp_f32 v10, v10, v64
	v_ldexp_f32 v11, v11, v66
	v_cndmask_b32_e64 v8, 0, v8, s[8:9]
	v_cmp_ngt_f32_e64 s[8:9], s20, v6
	s_waitcnt vmcnt(0) lgkmcnt(0)
	ds_write_b128 v20, v[42:45]
	v_cndmask_b32_e64 v9, 0, v9, s[8:9]
	v_cmp_ngt_f32_e64 s[8:9], s20, v7
	s_waitcnt lgkmcnt(0)
	s_barrier
	v_cndmask_b32_e64 v10, 0, v10, s[8:9]
	v_cmp_ngt_f32_e64 s[8:9], s20, v18
	s_nop 1
	v_cndmask_b32_e64 v11, 0, v11, s[8:9]
	v_cmp_nlt_f32_e64 s[8:9], s19, v0
	s_nop 1
	v_cndmask_b32_e64 v0, v56, v21, s[8:9]
	v_cmp_nlt_f32_e64 s[8:9], s19, v1
	v_cndmask_b32_e64 v0, 0, v0, s[14:15]
	s_nop 0
	v_cndmask_b32_e64 v48, v56, v22, s[8:9]
	v_cmp_nlt_f32_e64 s[8:9], s19, v2
	s_nop 1
	v_cndmask_b32_e64 v49, v56, v23, s[8:9]
	v_cmp_nlt_f32_e64 s[8:9], s19, v3
	v_cndmask_b32_e64 v3, v13, v48, s[12:13]
	s_nop 0
	v_cndmask_b32_e64 v50, v56, v30, s[8:9]
	v_cmp_nlt_f32_e64 s[8:9], s19, v4
	v_cvt_pk_f16_f32 v30, v0, v3
	s_nop 0
	v_cndmask_b32_e64 v51, v56, v31, s[8:9]
	v_cmp_nlt_f32_e64 s[8:9], s19, v5
	v_cndmask_b32_e64 v2, v14, v51, s[4:5]
	s_nop 0
	v_cndmask_b32_e64 v52, v56, v8, s[8:9]
	v_cmp_nlt_f32_e64 s[8:9], s19, v6
	v_cndmask_b32_e64 v6, v12, v49, s[10:11]
	v_cndmask_b32_e64 v1, v17, v52, s[16:17]
	;; [unrolled: 1-line block ×3, first 2 shown]
	v_cmp_nlt_f32_e64 s[8:9], s19, v7
	v_cndmask_b32_e64 v7, v15, v50, s[6:7]
	v_cndmask_b32_e64 v4, v16, v53, s[0:1]
	;; [unrolled: 1-line block ×3, first 2 shown]
	v_cmp_nlt_f32_e64 s[8:9], s19, v18
	v_cndmask_b32_e32 v14, v19, v37, vcc
	v_cvt_pk_f16_f32 v31, v6, v7
	v_cndmask_b32_e64 v5, v56, v11, s[8:9]
	v_cmp_le_f32_e64 s[8:9], s3, v18
	v_cvt_pk_f16_f32 v47, v4, v14
	s_nop 0
	v_cndmask_b32_e64 v40, 0, v5, s[8:9]
	v_cvt_f16_f32_e32 v5, v40
	v_mul_u32_u24_e32 v54, 0x10001, v5
	v_pk_mul_f16 v3, v33, v54
	v_pk_mul_f16 v5, v32, v54
	;; [unrolled: 1-line block ×3, first 2 shown]
	v_cvt_f32_f16_e32 v6, v3
	v_cvt_f32_f16_sdwa v7, v3 dst_sel:DWORD dst_unused:UNUSED_PAD src0_sel:WORD_1
	v_cvt_f32_f16_e32 v8, v5
	v_cvt_f32_f16_sdwa v9, v5 dst_sel:DWORD dst_unused:UNUSED_PAD src0_sel:WORD_1
	ds_read_u16 v3, v41
	ds_read_u16 v16, v41 offset:32
	ds_read_u16 v17, v41 offset:64
	;; [unrolled: 1-line block ×23, first 2 shown]
	ds_read_u16 v11, v46
	ds_read_u16 v61, v46 offset:32
	ds_read_u16 v62, v46 offset:64
	;; [unrolled: 1-line block ×23, first 2 shown]
	s_waitcnt lgkmcnt(14)
	v_perm_b32 v11, v11, v10, s2
	v_perm_b32 v10, v5, v3, s2
	ds_read_u16 v3, v46 offset:8704
	ds_read_u16 v93, v46 offset:8736
	;; [unrolled: 1-line block ×8, first 2 shown]
	v_mfma_f32_16x16x16_f16 v[6:9], v[10:11], v[30:31], v[6:9]
	s_waitcnt lgkmcnt(7)
	v_perm_b32 v13, v3, v13, s2
	v_pk_mul_f16 v28, v28, v54
	v_cvt_pk_f16_f32 v46, v2, v1
	s_nop 3
	v_cvt_f16_f32_e32 v3, v6
	v_cvt_f16_f32_e32 v5, v7
	;; [unrolled: 1-line block ×4, first 2 shown]
	v_cvt_f32_f16_e32 v6, v3
	ds_read_u16 v3, v41 offset:8976
	ds_read_u16 v100, v41 offset:9008
	;; [unrolled: 1-line block ×8, first 2 shown]
	s_waitcnt lgkmcnt(7)
	v_perm_b32 v12, v3, v12, s2
	v_cvt_f32_f16_e32 v7, v5
	v_cvt_f32_f16_e32 v8, v8
	;; [unrolled: 1-line block ×3, first 2 shown]
	v_perm_b32 v11, v61, v23, s2
	v_perm_b32 v10, v19, v16, s2
	v_mfma_f32_16x16x16_f16 v[2:5], v[12:13], v[46:47], v[6:9]
	v_pk_mul_f16 v13, v26, v54
	v_perm_b32 v14, v20, v17, s2
	s_nop 0
	v_cvt_f32_f16_e32 v6, v15
	v_cvt_f32_f16_sdwa v7, v15 dst_sel:DWORD dst_unused:UNUSED_PAD src0_sel:WORD_1
	v_cvt_f32_f16_e32 v8, v28
	v_cvt_f32_f16_sdwa v9, v28 dst_sel:DWORD dst_unused:UNUSED_PAD src0_sel:WORD_1
	v_perm_b32 v15, v62, v55, s2
	v_cvt_f32_f16_e32 v12, v13
	v_mfma_f32_16x16x16_f16 v[6:9], v[10:11], v[30:31], v[6:9]
	v_perm_b32 v11, v93, v75, s2
	s_waitcnt lgkmcnt(6)
	v_perm_b32 v10, v100, v68, s2
	v_cvt_f32_f16_sdwa v13, v13 dst_sel:DWORD dst_unused:UNUSED_PAD src0_sel:WORD_1
	v_pk_mul_f16 v17, v24, v54
	s_nop 2
	v_cvt_f16_f32_e32 v1, v6
	v_cvt_f16_f32_e32 v7, v7
	;; [unrolled: 1-line block ×4, first 2 shown]
	v_cvt_f32_f16_e32 v6, v1
	v_cvt_f32_f16_e32 v7, v7
	;; [unrolled: 1-line block ×4, first 2 shown]
	v_pk_mul_f16 v1, v27, v54
	v_perm_b32 v19, v63, v56, s2
	v_mfma_f32_16x16x16_f16 v[6:9], v[10:11], v[46:47], v[6:9]
	v_cvt_f32_f16_e32 v10, v1
	v_cvt_f32_f16_sdwa v11, v1 dst_sel:DWORD dst_unused:UNUSED_PAD src0_sel:WORD_1
	v_perm_b32 v18, v22, v18, s2
	v_cvt_f32_f16_e32 v16, v17
	v_mfma_f32_16x16x16_f16 v[10:13], v[14:15], v[30:31], v[10:13]
	v_perm_b32 v15, v94, v76, s2
	s_waitcnt lgkmcnt(5)
	v_perm_b32 v14, v101, v69, s2
	v_cvt_f32_f16_sdwa v17, v17 dst_sel:DWORD dst_unused:UNUSED_PAD src0_sel:WORD_1
	v_pk_mul_f16 v24, v90, v54
	s_nop 2
	v_cvt_f16_f32_e32 v1, v10
	v_cvt_f16_f32_e32 v11, v11
	;; [unrolled: 1-line block ×4, first 2 shown]
	v_cvt_f32_f16_e32 v10, v1
	v_cvt_f32_f16_e32 v11, v11
	;; [unrolled: 1-line block ×4, first 2 shown]
	v_pk_mul_f16 v1, v25, v54
	v_perm_b32 v23, v64, v57, s2
	v_mfma_f32_16x16x16_f16 v[10:13], v[14:15], v[46:47], v[10:13]
	v_cvt_f32_f16_e32 v14, v1
	v_cvt_f32_f16_sdwa v15, v1 dst_sel:DWORD dst_unused:UNUSED_PAD src0_sel:WORD_1
	v_perm_b32 v22, v42, v21, s2
	v_cvt_f32_f16_e32 v20, v24
	v_mfma_f32_16x16x16_f16 v[14:17], v[18:19], v[30:31], v[14:17]
	v_perm_b32 v19, v95, v77, s2
	s_waitcnt lgkmcnt(4)
	v_perm_b32 v18, v102, v70, s2
	v_cvt_f32_f16_sdwa v21, v24 dst_sel:DWORD dst_unused:UNUSED_PAD src0_sel:WORD_1
	s_waitcnt lgkmcnt(0)
	s_nop 2
	v_cvt_f16_f32_e32 v1, v14
	v_cvt_f16_f32_e32 v15, v15
	;; [unrolled: 1-line block ×4, first 2 shown]
	v_cvt_f32_f16_e32 v14, v1
	v_cvt_f32_f16_e32 v15, v15
	v_cvt_f32_f16_e32 v16, v16
	v_cvt_f32_f16_e32 v17, v17
	v_pk_mul_f16 v1, v91, v54
	s_barrier
	v_mfma_f32_16x16x16_f16 v[14:17], v[18:19], v[46:47], v[14:17]
	v_cvt_f32_f16_e32 v18, v1
	v_cvt_f32_f16_sdwa v19, v1 dst_sel:DWORD dst_unused:UNUSED_PAD src0_sel:WORD_1
	v_add_f32_e32 v1, v48, v0
	v_cndmask_b32_e64 v24, v0, v1, s[12:13]
	v_mfma_f32_16x16x16_f16 v[18:21], v[22:23], v[30:31], v[18:21]
	v_add_f32_e32 v25, v24, v49
	v_cndmask_b32_e64 v26, v24, v25, s[10:11]
	v_pk_mul_f16 v23, v89, v54
	v_pk_mul_f16 v25, v88, v54
	s_nop 3
	v_cvt_f16_f32_e32 v0, v18
	v_cvt_f16_f32_e32 v1, v19
	;; [unrolled: 1-line block ×4, first 2 shown]
	v_cvt_f32_f16_e32 v18, v0
	v_cvt_f32_f16_e32 v19, v1
	v_perm_b32 v1, v96, v79, s2
	v_perm_b32 v0, v103, v71, s2
	v_cvt_f32_f16_e32 v20, v20
	v_cvt_f32_f16_e32 v21, v21
	v_cvt_f32_f16_e32 v22, v23
	v_cvt_f32_f16_sdwa v23, v23 dst_sel:DWORD dst_unused:UNUSED_PAD src0_sel:WORD_1
	v_mfma_f32_16x16x16_f16 v[18:21], v[0:1], v[46:47], v[18:21]
	v_perm_b32 v1, v65, v58, s2
	v_perm_b32 v0, v43, v29, s2
	v_cvt_f32_f16_e32 v24, v25
	v_cvt_f32_f16_sdwa v25, v25 dst_sel:DWORD dst_unused:UNUSED_PAD src0_sel:WORD_1
	v_add_f32_e32 v27, v26, v50
	v_cndmask_b32_e64 v26, v26, v27, s[6:7]
	v_mfma_f32_16x16x16_f16 v[22:25], v[0:1], v[30:31], v[22:25]
	v_add_f32_e32 v27, v51, v26
	v_cndmask_b32_e64 v42, v26, v27, s[4:5]
	v_pk_mul_f16 v27, v87, v54
	v_pk_mul_f16 v29, v86, v54
	s_nop 3
	v_cvt_f16_f32_e32 v0, v22
	v_cvt_f16_f32_e32 v1, v23
	;; [unrolled: 1-line block ×4, first 2 shown]
	v_cvt_f32_f16_e32 v22, v0
	v_cvt_f32_f16_e32 v23, v1
	v_perm_b32 v1, v97, v80, s2
	v_perm_b32 v0, v104, v72, s2
	v_cvt_f32_f16_e32 v24, v24
	v_cvt_f32_f16_e32 v25, v25
	;; [unrolled: 1-line block ×3, first 2 shown]
	v_cvt_f32_f16_sdwa v27, v27 dst_sel:DWORD dst_unused:UNUSED_PAD src0_sel:WORD_1
	v_mfma_f32_16x16x16_f16 v[22:25], v[0:1], v[46:47], v[22:25]
	v_perm_b32 v1, v66, v59, s2
	v_perm_b32 v0, v44, v32, s2
	v_cvt_f32_f16_e32 v28, v29
	v_cvt_f32_f16_sdwa v29, v29 dst_sel:DWORD dst_unused:UNUSED_PAD src0_sel:WORD_1
	v_add_f32_e32 v32, v52, v42
	v_cndmask_b32_e64 v32, v42, v32, s[16:17]
	v_mfma_f32_16x16x16_f16 v[26:29], v[0:1], v[30:31], v[26:29]
	v_add_f32_e32 v42, v53, v32
	v_pk_mul_f16 v43, v85, v54
	v_pk_mul_f16 v48, v84, v54
	v_cndmask_b32_e64 v32, v32, v42, s[0:1]
	s_nop 3
	v_cvt_f16_f32_e32 v0, v26
	v_cvt_f16_f32_e32 v1, v27
	;; [unrolled: 1-line block ×4, first 2 shown]
	v_cvt_f32_f16_e32 v26, v0
	v_cvt_f32_f16_e32 v27, v1
	v_perm_b32 v1, v98, v81, s2
	v_perm_b32 v0, v105, v73, s2
	v_cvt_f32_f16_e32 v28, v28
	v_cvt_f32_f16_e32 v29, v29
	;; [unrolled: 1-line block ×3, first 2 shown]
	v_cvt_f32_f16_sdwa v43, v43 dst_sel:DWORD dst_unused:UNUSED_PAD src0_sel:WORD_1
	v_mfma_f32_16x16x16_f16 v[26:29], v[0:1], v[46:47], v[26:29]
	v_perm_b32 v1, v67, v60, s2
	v_perm_b32 v0, v45, v33, s2
	v_cvt_f32_f16_e32 v44, v48
	v_cvt_f32_f16_sdwa v45, v48 dst_sel:DWORD dst_unused:UNUSED_PAD src0_sel:WORD_1
	v_add_f32_e32 v33, v37, v32
	v_cndmask_b32_e32 v37, v32, v33, vcc
	v_mfma_f32_16x16x16_f16 v[30:33], v[0:1], v[30:31], v[42:45]
	v_fmac_f32_e32 v37, v78, v40
	ds_bpermute_b32 v36, v36, v37
	s_movk_i32 s4, 0x110
	v_cmp_gt_u32_e64 s[0:1], 16, v34
	s_nop 3
	v_cvt_f16_f32_e32 v0, v30
	v_cvt_f16_f32_e32 v1, v31
	;; [unrolled: 1-line block ×4, first 2 shown]
	v_cvt_f32_f16_e32 v30, v0
	v_cvt_f32_f16_e32 v31, v1
	v_perm_b32 v1, v99, v92, s2
	v_perm_b32 v0, v41, v74, s2
	v_cvt_f32_f16_e32 v32, v32
	v_cvt_f32_f16_e32 v33, v33
	s_waitcnt lgkmcnt(0)
	s_nop 0
	v_mfma_f32_16x16x16_f16 v[30:33], v[0:1], v[46:47], v[30:33]
	v_add_f32_e32 v0, v37, v36
	ds_bpermute_b32 v1, v38, v0
	s_and_saveexec_b64 s[2:3], s[0:1]
	s_cbranch_execz .LBB24_393
; %bb.392:
	s_waitcnt lgkmcnt(0)
	v_add_f32_e32 v0, v0, v1
	v_or_b32_e32 v1, v131, v34
	v_mad_u32_u24 v1, v1, s4, 0
	ds_write2_b32 v1, v39, v0 offset0:64 offset1:65
.LBB24_393:
	s_or_b64 exec, exec, s[2:3]
	v_and_b32_e32 v0, 1, v130
	v_cmp_eq_u32_e32 vcc, 0, v0
	v_cmp_eq_u32_e64 s[4:5], 1, v0
	s_waitcnt lgkmcnt(0)
	s_barrier
	s_and_saveexec_b64 s[2:3], s[4:5]
	s_xor_b64 s[2:3], exec, s[2:3]
	s_cbranch_execz .LBB24_395
; %bb.394:
	s_barrier
                                        ; implicit-def: $vgpr132
                                        ; implicit-def: $vgpr38
.LBB24_395:
	s_andn2_saveexec_b64 s[2:3], s[2:3]
	s_cbranch_execz .LBB24_401
; %bb.396:
	v_and_or_b32 v1, v34, 31, v131
	s_movk_i32 s4, 0x110
	v_mad_u32_u24 v0, v1, s4, 0
	ds_read_b64 v[40:41], v0 offset:256
	s_mov_b32 s4, 0x3fb8aa3b
	s_mov_b32 s6, 0x42b17218
	s_waitcnt lgkmcnt(0)
	s_barrier
	ds_bpermute_b32 v0, v38, v40
	v_max_f32_e32 v36, v40, v40
	s_waitcnt lgkmcnt(0)
	v_max_f32_e32 v0, v0, v0
	v_max_f32_e32 v0, v36, v0
	v_sub_f32_e32 v36, v40, v0
	v_mul_f32_e32 v37, 0x3fb8aa3b, v36
	v_fma_f32 v39, v36, s4, -v37
	v_rndne_f32_e32 v40, v37
	v_fmamk_f32 v39, v36, 0x32a5705f, v39
	v_sub_f32_e32 v37, v37, v40
	v_add_f32_e32 v37, v37, v39
	v_cvt_i32_f32_e32 v40, v40
	v_exp_f32_e32 v37, v37
	s_mov_b32 s4, 0xc2ce8ed0
	v_cmp_ngt_f32_e64 s[4:5], s4, v36
	v_mov_b32_e32 v39, 0x7f800000
	v_ldexp_f32 v37, v37, v40
	v_cndmask_b32_e64 v37, 0, v37, s[4:5]
	v_cmp_nlt_f32_e64 s[4:5], s6, v36
	s_nop 1
	v_cndmask_b32_e64 v36, v39, v37, s[4:5]
	v_mul_f32_e32 v37, v41, v36
	ds_bpermute_b32 v37, v38, v37
	v_cmp_gt_u32_e64 s[4:5], 32, v34
	s_waitcnt lgkmcnt(0)
	v_fmac_f32_e32 v37, v41, v36
	s_and_saveexec_b64 s[6:7], s[4:5]
; %bb.397:
	v_mul_u32_u24_e32 v1, 0x110, v1
	v_add_u32_e32 v1, 0, v1
	ds_write_b64 v1, v[36:37] offset:256
; %bb.398:
	s_or_b64 exec, exec, s[6:7]
	s_and_saveexec_b64 s[4:5], s[0:1]
	s_cbranch_execz .LBB24_400
; %bb.399:
	s_add_i32 s0, s49, s54
	v_readlane_b32 s8, v240, 24
	s_lshl_b32 s0, s0, 5
	s_mov_b32 s1, 0
	v_readlane_b32 s14, v240, 30
	v_readlane_b32 s15, v240, 31
	;; [unrolled: 1-line block ×4, first 2 shown]
	s_lshl_b64 s[0:1], s[0:1], 3
	s_mov_b64 s[14:15], s[22:23]
	s_add_u32 s0, s14, s0
	v_or_b32_e32 v1, v132, v34
	s_addc_u32 s1, s15, s1
	v_lshlrev_b32_e32 v36, 3, v1
	v_mov_b32_e32 v1, v37
	v_readlane_b32 s9, v240, 25
	v_readlane_b32 s10, v240, 26
	;; [unrolled: 1-line block ×11, first 2 shown]
	global_store_dwordx2 v36, v[0:1], s[0:1]
.LBB24_400:
	s_or_b64 exec, exec, s[4:5]
.LBB24_401:
	s_or_b64 exec, exec, s[2:3]
	v_cvt_pk_f16_f32 v1, v2, v3
	v_cvt_pk_f16_f32 v3, v6, v7
	;; [unrolled: 1-line block ×3, first 2 shown]
	v_or_b32_e32 v16, v131, v82
	v_mul_u32_u24_e32 v16, 0x110, v16
	v_cvt_pk_f16_f32 v0, v4, v5
	s_movk_i32 s4, 0x110
	s_mov_b32 s3, 0
	v_add3_u32 v16, 0, v16, v83
	v_cvt_pk_f16_f32 v2, v8, v9
	v_cvt_pk_f16_f32 v4, v12, v13
	;; [unrolled: 1-line block ×12, first 2 shown]
	ds_write2_b32 v16, v1, v0 offset1:1
	ds_write2_b32 v16, v3, v2 offset0:8 offset1:9
	ds_write2_b32 v16, v5, v4 offset0:16 offset1:17
	;; [unrolled: 1-line block ×7, first 2 shown]
	s_waitcnt lgkmcnt(0)
	s_barrier
	s_and_saveexec_b64 s[0:1], vcc
	s_cbranch_execz .LBB24_403
; %bb.402:
	v_readlane_b32 s8, v240, 24
	s_lshl_b32 s2, s54, 11
	v_readlane_b32 s14, v240, 30
	v_readlane_b32 s15, v240, 31
	;; [unrolled: 1-line block ×4, first 2 shown]
	s_lshl_b64 s[6:7], s[2:3], 3
	s_mov_b64 s[14:15], s[22:23]
	s_add_u32 s5, s14, s6
	s_addc_u32 s6, s15, s7
	s_lshl_b32 s2, s49, 6
	s_lshl_b64 s[2:3], s[2:3], 3
	s_add_u32 s2, s5, s2
	v_bfe_u32 v1, v130, 1, 4
	s_movk_i32 s5, 0x3e0
	v_and_or_b32 v4, v130, s5, v1
	v_mad_u32_u24 v2, v4, s4, v35
	ds_read2st64_b32 v[2:3], v2 offset1:17
	v_mad_u32_u24 v4, v4, s4, 0
	ds_read2st64_b32 v[4:5], v4 offset0:1 offset1:18
	v_lshrrev_b32_e32 v0, 1, v130
	s_movk_i32 s5, 0x7e0
	s_waitcnt lgkmcnt(1)
	v_cvt_f32_f16_e32 v6, v2
	v_cvt_f32_f16_sdwa v7, v2 dst_sel:DWORD dst_unused:UNUSED_PAD src0_sel:WORD_1
	v_cvt_f32_f16_e32 v2, v3
	v_cvt_f32_f16_sdwa v3, v3 dst_sel:DWORD dst_unused:UNUSED_PAD src0_sel:WORD_1
	v_lshlrev_b32_e32 v8, 5, v130
	s_waitcnt lgkmcnt(0)
	v_pk_fma_f32 v[6:7], v[4:5], v[6:7], 0 op_sel_hi:[0,1,0]
	v_mov_b32_e32 v4, v5
	v_pk_fma_f32 v[2:3], v[4:5], v[2:3], v[6:7] op_sel_hi:[0,1,1]
	v_add_u32_e32 v6, 2, v0
	v_lshlrev_b32_e32 v4, 1, v6
	v_and_b32_e32 v5, 15, v6
	v_and_or_b32 v7, v4, s5, v5
	v_mad_u32_u24 v4, v7, s4, v35
	ds_read2st64_b32 v[4:5], v4 offset1:17
	s_addc_u32 s3, s6, s3
	v_add_lshl_u32 v8, v8, v34, 3
	global_store_dwordx2 v8, v[2:3], s[2:3]
	v_mad_u32_u24 v2, v7, s4, 0
	ds_read2st64_b32 v[2:3], v2 offset0:1 offset1:18
	v_lshlrev_b32_e32 v8, 6, v6
	s_waitcnt lgkmcnt(1)
	v_cvt_f32_f16_e32 v6, v4
	v_cvt_f32_f16_sdwa v7, v4 dst_sel:DWORD dst_unused:UNUSED_PAD src0_sel:WORD_1
	v_cvt_f32_f16_e32 v4, v5
	v_cvt_f32_f16_sdwa v5, v5 dst_sel:DWORD dst_unused:UNUSED_PAD src0_sel:WORD_1
	v_add_lshl_u32 v8, v8, v34, 3
	s_waitcnt lgkmcnt(0)
	v_pk_fma_f32 v[6:7], v[2:3], v[6:7], 0 op_sel_hi:[0,1,0]
	v_mov_b32_e32 v2, v3
	v_pk_fma_f32 v[2:3], v[2:3], v[4:5], v[6:7] op_sel_hi:[0,1,1]
	v_add_u32_e32 v6, 4, v0
	v_lshlrev_b32_e32 v4, 1, v6
	v_and_b32_e32 v5, 15, v6
	v_and_or_b32 v7, v4, s5, v5
	v_mad_u32_u24 v4, v7, s4, v35
	ds_read2st64_b32 v[4:5], v4 offset1:17
	global_store_dwordx2 v8, v[2:3], s[2:3]
	v_mad_u32_u24 v2, v7, s4, 0
	ds_read2st64_b32 v[2:3], v2 offset0:1 offset1:18
	v_lshlrev_b32_e32 v8, 6, v6
	s_waitcnt lgkmcnt(1)
	v_cvt_f32_f16_e32 v6, v4
	v_cvt_f32_f16_sdwa v7, v4 dst_sel:DWORD dst_unused:UNUSED_PAD src0_sel:WORD_1
	v_cvt_f32_f16_e32 v4, v5
	v_cvt_f32_f16_sdwa v5, v5 dst_sel:DWORD dst_unused:UNUSED_PAD src0_sel:WORD_1
	v_add_lshl_u32 v8, v8, v34, 3
	s_waitcnt lgkmcnt(0)
	v_pk_fma_f32 v[6:7], v[2:3], v[6:7], 0 op_sel_hi:[0,1,0]
	v_mov_b32_e32 v2, v3
	v_pk_fma_f32 v[2:3], v[2:3], v[4:5], v[6:7] op_sel_hi:[0,1,1]
	v_add_u32_e32 v6, 6, v0
	v_lshlrev_b32_e32 v4, 1, v6
	v_and_b32_e32 v5, 15, v6
	v_and_or_b32 v7, v4, s5, v5
	v_mad_u32_u24 v4, v7, s4, v35
	ds_read2st64_b32 v[4:5], v4 offset1:17
	;; [unrolled: 20-line block ×6, first 2 shown]
	global_store_dwordx2 v8, v[2:3], s[2:3]
	v_mad_u32_u24 v2, v7, s4, 0
	ds_read2st64_b32 v[2:3], v2 offset0:1 offset1:18
	v_lshlrev_b32_e32 v8, 6, v6
	s_waitcnt lgkmcnt(1)
	v_cvt_f32_f16_e32 v6, v4
	v_cvt_f32_f16_sdwa v7, v4 dst_sel:DWORD dst_unused:UNUSED_PAD src0_sel:WORD_1
	v_cvt_f32_f16_e32 v4, v5
	v_cvt_f32_f16_sdwa v5, v5 dst_sel:DWORD dst_unused:UNUSED_PAD src0_sel:WORD_1
	v_add_lshl_u32 v8, v8, v34, 3
	s_waitcnt lgkmcnt(0)
	v_pk_fma_f32 v[6:7], v[2:3], v[6:7], 0 op_sel_hi:[0,1,0]
	v_mov_b32_e32 v2, v3
	v_pk_fma_f32 v[2:3], v[2:3], v[4:5], v[6:7] op_sel_hi:[0,1,1]
	v_add_u32_e32 v6, 16, v0
	v_lshlrev_b32_e32 v4, 1, v6
	v_and_or_b32 v1, v4, s5, v1
	v_mad_u32_u24 v4, v1, s4, v35
	ds_read2st64_b32 v[4:5], v4 offset1:17
	v_mad_u32_u24 v1, v1, s4, 0
	global_store_dwordx2 v8, v[2:3], s[2:3]
	ds_read2st64_b32 v[2:3], v1 offset0:1 offset1:18
	v_lshlrev_b32_e32 v8, 6, v6
	s_waitcnt lgkmcnt(1)
	v_cvt_f32_f16_e32 v6, v4
	v_cvt_f32_f16_sdwa v7, v4 dst_sel:DWORD dst_unused:UNUSED_PAD src0_sel:WORD_1
	v_cvt_f32_f16_e32 v4, v5
	v_cvt_f32_f16_sdwa v5, v5 dst_sel:DWORD dst_unused:UNUSED_PAD src0_sel:WORD_1
	v_add_lshl_u32 v1, v8, v34, 3
	s_waitcnt lgkmcnt(0)
	v_pk_fma_f32 v[6:7], v[2:3], v[6:7], 0 op_sel_hi:[0,1,0]
	v_mov_b32_e32 v2, v3
	v_pk_fma_f32 v[2:3], v[2:3], v[4:5], v[6:7] op_sel_hi:[0,1,1]
	v_add_u32_e32 v6, 18, v0
	v_lshlrev_b32_e32 v4, 1, v6
	v_and_b32_e32 v5, 15, v6
	v_and_or_b32 v7, v4, s5, v5
	v_mad_u32_u24 v4, v7, s4, v35
	ds_read2st64_b32 v[4:5], v4 offset1:17
	global_store_dwordx2 v1, v[2:3], s[2:3]
	v_mad_u32_u24 v1, v7, s4, 0
	ds_read2st64_b32 v[2:3], v1 offset0:1 offset1:18
	v_lshlrev_b32_e32 v8, 6, v6
	s_waitcnt lgkmcnt(1)
	v_cvt_f32_f16_e32 v6, v4
	v_cvt_f32_f16_sdwa v7, v4 dst_sel:DWORD dst_unused:UNUSED_PAD src0_sel:WORD_1
	v_cvt_f32_f16_e32 v4, v5
	v_cvt_f32_f16_sdwa v5, v5 dst_sel:DWORD dst_unused:UNUSED_PAD src0_sel:WORD_1
	v_add_lshl_u32 v1, v8, v34, 3
	s_waitcnt lgkmcnt(0)
	v_pk_fma_f32 v[6:7], v[2:3], v[6:7], 0 op_sel_hi:[0,1,0]
	v_mov_b32_e32 v2, v3
	v_pk_fma_f32 v[2:3], v[2:3], v[4:5], v[6:7] op_sel_hi:[0,1,1]
	v_add_u32_e32 v6, 20, v0
	v_lshlrev_b32_e32 v4, 1, v6
	v_and_b32_e32 v5, 15, v6
	v_and_or_b32 v7, v4, s5, v5
	v_mad_u32_u24 v4, v7, s4, v35
	ds_read2st64_b32 v[4:5], v4 offset1:17
	global_store_dwordx2 v1, v[2:3], s[2:3]
	v_mad_u32_u24 v1, v7, s4, 0
	;; [unrolled: 20-line block ×7, first 2 shown]
	ds_read2st64_b32 v[2:3], v2 offset0:1 offset1:18
	v_lshlrev_b32_e32 v6, 6, v4
	s_waitcnt lgkmcnt(1)
	v_cvt_f32_f16_e32 v4, v0
	v_cvt_f32_f16_sdwa v5, v0 dst_sel:DWORD dst_unused:UNUSED_PAD src0_sel:WORD_1
	v_cvt_f32_f16_e32 v0, v1
	v_cvt_f32_f16_sdwa v1, v1 dst_sel:DWORD dst_unused:UNUSED_PAD src0_sel:WORD_1
	v_add_lshl_u32 v6, v6, v34, 3
	s_waitcnt lgkmcnt(0)
	v_pk_fma_f32 v[4:5], v[2:3], v[4:5], 0 op_sel_hi:[0,1,0]
	v_mov_b32_e32 v2, v3
	v_pk_fma_f32 v[0:1], v[2:3], v[0:1], v[4:5] op_sel_hi:[0,1,1]
	v_readlane_b32 s9, v240, 25
	v_readlane_b32 s10, v240, 26
	;; [unrolled: 1-line block ×11, first 2 shown]
	global_store_dwordx2 v6, v[0:1], s[2:3]
.LBB24_403:
	s_or_b64 exec, exec, s[0:1]
	s_barrier
	s_endpgm
	.section	.rodata,"a",@progbits
	.p2align	6, 0x0
	.amdhsa_kernel _ZL18flash_attn_ext_f16ILi128ELi128ELi32ELi1ELb0ELb0EEvPKcS1_S1_S1_S1_PKiPfP15HIP_vector_typeIfLj2EEffffjfiS5_IjLj3EEiiiiiiiiiiiliiliiiiil
		.amdhsa_group_segment_fixed_size 0
		.amdhsa_private_segment_fixed_size 32
		.amdhsa_kernarg_size 464
		.amdhsa_user_sgpr_count 2
		.amdhsa_user_sgpr_dispatch_ptr 0
		.amdhsa_user_sgpr_queue_ptr 0
		.amdhsa_user_sgpr_kernarg_segment_ptr 1
		.amdhsa_user_sgpr_dispatch_id 0
		.amdhsa_user_sgpr_kernarg_preload_length 0
		.amdhsa_user_sgpr_kernarg_preload_offset 0
		.amdhsa_user_sgpr_private_segment_size 0
		.amdhsa_uses_dynamic_stack 0
		.amdhsa_enable_private_segment 1
		.amdhsa_system_sgpr_workgroup_id_x 1
		.amdhsa_system_sgpr_workgroup_id_y 0
		.amdhsa_system_sgpr_workgroup_id_z 0
		.amdhsa_system_sgpr_workgroup_info 0
		.amdhsa_system_vgpr_workitem_id 1
		.amdhsa_next_free_vgpr 241
		.amdhsa_next_free_sgpr 100
		.amdhsa_accum_offset 244
		.amdhsa_reserve_vcc 1
		.amdhsa_float_round_mode_32 0
		.amdhsa_float_round_mode_16_64 0
		.amdhsa_float_denorm_mode_32 3
		.amdhsa_float_denorm_mode_16_64 3
		.amdhsa_dx10_clamp 1
		.amdhsa_ieee_mode 1
		.amdhsa_fp16_overflow 0
		.amdhsa_tg_split 0
		.amdhsa_exception_fp_ieee_invalid_op 0
		.amdhsa_exception_fp_denorm_src 0
		.amdhsa_exception_fp_ieee_div_zero 0
		.amdhsa_exception_fp_ieee_overflow 0
		.amdhsa_exception_fp_ieee_underflow 0
		.amdhsa_exception_fp_ieee_inexact 0
		.amdhsa_exception_int_div_zero 0
	.end_amdhsa_kernel
	.section	.text._ZL18flash_attn_ext_f16ILi128ELi128ELi32ELi1ELb0ELb0EEvPKcS1_S1_S1_S1_PKiPfP15HIP_vector_typeIfLj2EEffffjfiS5_IjLj3EEiiiiiiiiiiiliiliiiiil,"axG",@progbits,_ZL18flash_attn_ext_f16ILi128ELi128ELi32ELi1ELb0ELb0EEvPKcS1_S1_S1_S1_PKiPfP15HIP_vector_typeIfLj2EEffffjfiS5_IjLj3EEiiiiiiiiiiiliiliiiiil,comdat
.Lfunc_end24:
	.size	_ZL18flash_attn_ext_f16ILi128ELi128ELi32ELi1ELb0ELb0EEvPKcS1_S1_S1_S1_PKiPfP15HIP_vector_typeIfLj2EEffffjfiS5_IjLj3EEiiiiiiiiiiiliiliiiiil, .Lfunc_end24-_ZL18flash_attn_ext_f16ILi128ELi128ELi32ELi1ELb0ELb0EEvPKcS1_S1_S1_S1_PKiPfP15HIP_vector_typeIfLj2EEffffjfiS5_IjLj3EEiiiiiiiiiiiliiliiiiil
                                        ; -- End function
	.set _ZL18flash_attn_ext_f16ILi128ELi128ELi32ELi1ELb0ELb0EEvPKcS1_S1_S1_S1_PKiPfP15HIP_vector_typeIfLj2EEffffjfiS5_IjLj3EEiiiiiiiiiiiliiliiiiil.num_vgpr, 241
	.set _ZL18flash_attn_ext_f16ILi128ELi128ELi32ELi1ELb0ELb0EEvPKcS1_S1_S1_S1_PKiPfP15HIP_vector_typeIfLj2EEffffjfiS5_IjLj3EEiiiiiiiiiiiliiliiiiil.num_agpr, 0
	.set _ZL18flash_attn_ext_f16ILi128ELi128ELi32ELi1ELb0ELb0EEvPKcS1_S1_S1_S1_PKiPfP15HIP_vector_typeIfLj2EEffffjfiS5_IjLj3EEiiiiiiiiiiiliiliiiiil.numbered_sgpr, 100
	.set _ZL18flash_attn_ext_f16ILi128ELi128ELi32ELi1ELb0ELb0EEvPKcS1_S1_S1_S1_PKiPfP15HIP_vector_typeIfLj2EEffffjfiS5_IjLj3EEiiiiiiiiiiiliiliiiiil.num_named_barrier, 0
	.set _ZL18flash_attn_ext_f16ILi128ELi128ELi32ELi1ELb0ELb0EEvPKcS1_S1_S1_S1_PKiPfP15HIP_vector_typeIfLj2EEffffjfiS5_IjLj3EEiiiiiiiiiiiliiliiiiil.private_seg_size, 32
	.set _ZL18flash_attn_ext_f16ILi128ELi128ELi32ELi1ELb0ELb0EEvPKcS1_S1_S1_S1_PKiPfP15HIP_vector_typeIfLj2EEffffjfiS5_IjLj3EEiiiiiiiiiiiliiliiiiil.uses_vcc, 1
	.set _ZL18flash_attn_ext_f16ILi128ELi128ELi32ELi1ELb0ELb0EEvPKcS1_S1_S1_S1_PKiPfP15HIP_vector_typeIfLj2EEffffjfiS5_IjLj3EEiiiiiiiiiiiliiliiiiil.uses_flat_scratch, 0
	.set _ZL18flash_attn_ext_f16ILi128ELi128ELi32ELi1ELb0ELb0EEvPKcS1_S1_S1_S1_PKiPfP15HIP_vector_typeIfLj2EEffffjfiS5_IjLj3EEiiiiiiiiiiiliiliiiiil.has_dyn_sized_stack, 0
	.set _ZL18flash_attn_ext_f16ILi128ELi128ELi32ELi1ELb0ELb0EEvPKcS1_S1_S1_S1_PKiPfP15HIP_vector_typeIfLj2EEffffjfiS5_IjLj3EEiiiiiiiiiiiliiliiiiil.has_recursion, 0
	.set _ZL18flash_attn_ext_f16ILi128ELi128ELi32ELi1ELb0ELb0EEvPKcS1_S1_S1_S1_PKiPfP15HIP_vector_typeIfLj2EEffffjfiS5_IjLj3EEiiiiiiiiiiiliiliiiiil.has_indirect_call, 0
	.section	.AMDGPU.csdata,"",@progbits
; Kernel info:
; codeLenInByte = 54844
; TotalNumSgprs: 106
; NumVgprs: 241
; NumAgprs: 0
; TotalNumVgprs: 241
; ScratchSize: 32
; MemoryBound: 0
; FloatMode: 240
; IeeeMode: 1
; LDSByteSize: 0 bytes/workgroup (compile time only)
; SGPRBlocks: 13
; VGPRBlocks: 30
; NumSGPRsForWavesPerEU: 106
; NumVGPRsForWavesPerEU: 241
; AccumOffset: 244
; Occupancy: 2
; WaveLimiterHint : 0
; COMPUTE_PGM_RSRC2:SCRATCH_EN: 1
; COMPUTE_PGM_RSRC2:USER_SGPR: 2
; COMPUTE_PGM_RSRC2:TRAP_HANDLER: 0
; COMPUTE_PGM_RSRC2:TGID_X_EN: 1
; COMPUTE_PGM_RSRC2:TGID_Y_EN: 0
; COMPUTE_PGM_RSRC2:TGID_Z_EN: 0
; COMPUTE_PGM_RSRC2:TIDIG_COMP_CNT: 1
; COMPUTE_PGM_RSRC3_GFX90A:ACCUM_OFFSET: 60
; COMPUTE_PGM_RSRC3_GFX90A:TG_SPLIT: 0
	.section	.text._ZL18flash_attn_ext_f16ILi128ELi128ELi32ELi1ELb1ELb0EEvPKcS1_S1_S1_S1_PKiPfP15HIP_vector_typeIfLj2EEffffjfiS5_IjLj3EEiiiiiiiiiiiliiliiiiil,"axG",@progbits,_ZL18flash_attn_ext_f16ILi128ELi128ELi32ELi1ELb1ELb0EEvPKcS1_S1_S1_S1_PKiPfP15HIP_vector_typeIfLj2EEffffjfiS5_IjLj3EEiiiiiiiiiiiliiliiiiil,comdat
	.globl	_ZL18flash_attn_ext_f16ILi128ELi128ELi32ELi1ELb1ELb0EEvPKcS1_S1_S1_S1_PKiPfP15HIP_vector_typeIfLj2EEffffjfiS5_IjLj3EEiiiiiiiiiiiliiliiiiil ; -- Begin function _ZL18flash_attn_ext_f16ILi128ELi128ELi32ELi1ELb1ELb0EEvPKcS1_S1_S1_S1_PKiPfP15HIP_vector_typeIfLj2EEffffjfiS5_IjLj3EEiiiiiiiiiiiliiliiiiil
	.p2align	8
	.type	_ZL18flash_attn_ext_f16ILi128ELi128ELi32ELi1ELb1ELb0EEvPKcS1_S1_S1_S1_PKiPfP15HIP_vector_typeIfLj2EEffffjfiS5_IjLj3EEiiiiiiiiiiiliiliiiiil,@function
_ZL18flash_attn_ext_f16ILi128ELi128ELi32ELi1ELb1ELb0EEvPKcS1_S1_S1_S1_PKiPfP15HIP_vector_typeIfLj2EEffffjfiS5_IjLj3EEiiiiiiiiiiiliiliiiiil: ; @_ZL18flash_attn_ext_f16ILi128ELi128ELi32ELi1ELb1ELb0EEvPKcS1_S1_S1_S1_PKiPfP15HIP_vector_typeIfLj2EEffffjfiS5_IjLj3EEiiiiiiiiiiiliiliiiiil
; %bb.0:
	s_load_dwordx2 s[10:11], s[0:1], 0x80
	s_load_dwordx4 s[72:75], s[0:1], 0x64
	s_mov_b32 s49, s2
                                        ; implicit-def: $vgpr243 : SGPR spill to VGPR lane
	s_load_dword s54, s[0:1], 0xd0
	s_mov_b32 s4, 0
	s_waitcnt lgkmcnt(0)
	s_abs_i32 s2, s11
	v_cvt_f32_u32_e32 v1, s2
	s_sub_i32 s6, 0, s2
	s_abs_i32 s5, s73
	s_xor_b32 s3, s73, s11
	v_rcp_iflag_f32_e32 v1, v1
	s_ashr_i32 s3, s3, 31
	v_mul_f32_e32 v1, 0x4f7ffffe, v1
	v_cvt_u32_f32_e32 v1, v1
	s_nop 0
	v_readfirstlane_b32 s7, v1
	s_mul_i32 s6, s6, s7
	s_mul_hi_u32 s6, s7, s6
	s_add_i32 s7, s7, s6
	s_mul_hi_u32 s6, s5, s7
	s_mul_i32 s7, s6, s2
	s_sub_i32 s5, s5, s7
	s_add_i32 s8, s6, 1
	s_sub_i32 s7, s5, s2
	s_cmp_ge_u32 s5, s2
	s_cselect_b32 s6, s8, s6
	s_cselect_b32 s5, s7, s5
	s_add_i32 s7, s6, 1
	s_cmp_ge_u32 s5, s2
	s_cselect_b32 s2, s7, s6
	s_add_i32 s5, s10, 63
	s_xor_b32 s2, s2, s3
	s_ashr_i32 s6, s5, 31
	s_sub_i32 s3, s2, s3
	s_lshr_b32 s2, s6, 26
	s_add_i32 s5, s5, s2
	s_add_i32 s2, s72, 31
	s_lshr_b32 s2, s2, 5
	s_ashr_i32 s5, s5, 6
	v_writelane_b32 v243, s2, 0
	v_writelane_b32 v243, s5, 1
	s_mul_i32 s2, s2, s5
	v_writelane_b32 v243, s3, 2
	v_writelane_b32 v243, s2, 3
	s_mul_i32 s3, s2, s3
	s_mov_b32 s2, s10
	v_writelane_b32 v243, s2, 4
	s_nop 1
	v_writelane_b32 v243, s3, 5
	s_mul_i32 s2, s3, s11
	s_mul_i32 s8, s2, s74
	v_writelane_b32 v243, s3, 6
	s_ashr_i32 s9, s8, 31
	v_writelane_b32 v243, s2, 7
	s_mul_i32 s2, s9, s49
	s_mul_hi_u32 s3, s8, s49
	s_add_i32 s5, s3, s2
	s_cmp_lg_u64 s[4:5], 0
	s_mul_i32 s4, s8, s49
	s_cbranch_scc0 .LBB25_2
; %bb.1:
	s_add_u32 s2, s54, 0
	s_addc_u32 s3, 0, 0
	s_xor_b64 s[6:7], s[2:3], 0
	v_cvt_f32_u32_e32 v1, s6
	v_cvt_f32_u32_e32 v2, s7
	s_sub_u32 s12, 0, s6
	s_subb_u32 s13, 0, s7
	s_mov_b64 s[2:3], 0
	v_fmamk_f32 v1, v2, 0x4f800000, v1
	v_rcp_f32_e32 v1, v1
	s_nop 0
	v_mul_f32_e32 v1, 0x5f7ffffc, v1
	v_mul_f32_e32 v2, 0x2f800000, v1
	v_trunc_f32_e32 v2, v2
	v_fmamk_f32 v1, v2, 0xcf800000, v1
	v_cvt_u32_f32_e32 v2, v2
	v_cvt_u32_f32_e32 v1, v1
	v_readfirstlane_b32 s14, v2
	v_readfirstlane_b32 s10, v1
	s_mul_i32 s11, s12, s14
	s_mul_hi_u32 s16, s12, s10
	s_mul_i32 s15, s13, s10
	s_add_i32 s11, s16, s11
	s_add_i32 s11, s11, s15
	s_mul_i32 s17, s12, s10
	s_mul_i32 s16, s10, s11
	s_mul_hi_u32 s18, s10, s17
	s_mul_hi_u32 s15, s10, s11
	s_add_u32 s16, s18, s16
	s_addc_u32 s15, 0, s15
	s_mul_hi_u32 s19, s14, s17
	s_mul_i32 s17, s14, s17
	s_add_u32 s16, s16, s17
	s_mul_hi_u32 s18, s14, s11
	s_addc_u32 s15, s15, s19
	s_addc_u32 s16, s18, 0
	s_mul_i32 s11, s14, s11
	s_add_u32 s11, s15, s11
	s_addc_u32 s15, 0, s16
	s_add_u32 s16, s10, s11
	s_cselect_b64 s[10:11], -1, 0
	s_cmp_lg_u64 s[10:11], 0
	s_addc_u32 s14, s14, s15
	s_mul_i32 s10, s12, s14
	s_mul_hi_u32 s11, s12, s16
	s_add_i32 s10, s11, s10
	s_mul_i32 s13, s13, s16
	s_add_i32 s10, s10, s13
	s_mul_i32 s12, s12, s16
	s_mul_hi_u32 s13, s14, s12
	s_mul_i32 s15, s14, s12
	s_mul_i32 s18, s16, s10
	s_mul_hi_u32 s12, s16, s12
	s_mul_hi_u32 s17, s16, s10
	s_add_u32 s12, s12, s18
	s_addc_u32 s17, 0, s17
	s_add_u32 s12, s12, s15
	s_mul_hi_u32 s11, s14, s10
	s_addc_u32 s12, s17, s13
	s_addc_u32 s11, s11, 0
	s_mul_i32 s10, s14, s10
	s_add_u32 s10, s12, s10
	s_addc_u32 s12, 0, s11
	s_add_u32 s15, s16, s10
	s_cselect_b64 s[10:11], -1, 0
	s_cmp_lg_u64 s[10:11], 0
	s_addc_u32 s14, s14, s12
	s_ashr_i32 s10, s5, 31
	s_add_u32 s12, s4, s10
	s_mov_b32 s11, s10
	s_addc_u32 s13, s5, s10
	s_xor_b64 s[12:13], s[12:13], s[10:11]
	s_mul_i32 s16, s12, s14
	s_mul_hi_u32 s17, s12, s15
	s_mul_hi_u32 s5, s12, s14
	s_add_u32 s16, s17, s16
	s_addc_u32 s5, 0, s5
	s_mul_hi_u32 s18, s13, s15
	s_mul_i32 s15, s13, s15
	s_add_u32 s15, s16, s15
	s_mul_hi_u32 s17, s13, s14
	s_addc_u32 s5, s5, s18
	s_addc_u32 s15, s17, 0
	s_mul_i32 s14, s13, s14
	s_add_u32 s5, s5, s14
	s_addc_u32 s18, 0, s15
	s_mul_i32 s14, s6, s18
	s_mul_hi_u32 s15, s6, s5
	s_add_i32 s14, s15, s14
	s_mul_i32 s15, s7, s5
	s_add_i32 s19, s14, s15
	s_sub_i32 s16, s13, s19
	s_mul_i32 s14, s6, s5
	s_sub_u32 s12, s12, s14
	s_cselect_b64 s[14:15], -1, 0
	s_cmp_lg_u64 s[14:15], 0
	s_subb_u32 s20, s16, s7
	s_sub_u32 s21, s12, s6
	s_cselect_b64 s[16:17], -1, 0
	s_cmp_lg_u64 s[16:17], 0
	s_subb_u32 s16, s20, 0
	s_cmp_ge_u32 s16, s7
	s_cselect_b32 s17, -1, 0
	s_cmp_ge_u32 s21, s6
	s_cselect_b32 s20, -1, 0
	s_cmp_eq_u32 s16, s7
	s_cselect_b32 s16, s20, s17
	s_add_u32 s17, s5, 1
	s_addc_u32 s20, s18, 0
	s_add_u32 s21, s5, 2
	s_addc_u32 s22, s18, 0
	s_cmp_lg_u32 s16, 0
	s_cselect_b32 s16, s21, s17
	s_cselect_b32 s17, s22, s20
	s_cmp_lg_u64 s[14:15], 0
	s_subb_u32 s13, s13, s19
	s_cmp_ge_u32 s13, s7
	s_cselect_b32 s14, -1, 0
	s_cmp_ge_u32 s12, s6
	s_cselect_b32 s6, -1, 0
	s_cmp_eq_u32 s13, s7
	s_cselect_b32 s6, s6, s14
	s_cmp_lg_u32 s6, 0
	s_cselect_b32 s7, s17, s18
	s_cselect_b32 s6, s16, s5
	s_xor_b64 s[10:11], s[10:11], 0
	s_xor_b64 s[6:7], s[6:7], s[10:11]
	s_sub_u32 s34, s6, s10
	s_branch .LBB25_3
.LBB25_2:
	s_mov_b64 s[2:3], -1
                                        ; implicit-def: $sgpr34_sgpr35
.LBB25_3:
	s_load_dwordx2 s[6:7], s[0:1], 0x74
	v_cvt_f32_u32_e32 v1, s54
	s_andn2_b64 vcc, exec, s[2:3]
	s_waitcnt lgkmcnt(0)
	v_writelane_b32 v243, s6, 8
	s_nop 1
	v_writelane_b32 v243, s7, 9
	s_cbranch_vccnz .LBB25_5
; %bb.4:
	v_rcp_iflag_f32_e32 v2, v1
	s_sub_i32 s2, 0, s54
	v_mul_f32_e32 v2, 0x4f7ffffe, v2
	v_cvt_u32_f32_e32 v2, v2
	s_nop 0
	v_readfirstlane_b32 s3, v2
	s_mul_i32 s2, s2, s3
	s_mul_hi_u32 s2, s3, s2
	s_add_i32 s3, s3, s2
	s_mul_hi_u32 s2, s4, s3
	s_mul_i32 s5, s2, s54
	s_sub_i32 s4, s4, s5
	s_add_i32 s3, s2, 1
	s_sub_i32 s5, s4, s54
	s_cmp_ge_u32 s4, s54
	s_cselect_b32 s2, s3, s2
	s_cselect_b32 s4, s5, s4
	s_add_i32 s3, s2, 1
	s_cmp_ge_u32 s4, s54
	s_cselect_b32 s34, s3, s2
.LBB25_5:
	s_add_i32 s2, s49, 1
	s_mul_i32 s3, s9, s2
	s_mul_hi_u32 s4, s8, s2
	s_add_i32 s7, s4, s3
	s_mov_b32 s6, 0
	s_cmp_lg_u64 s[6:7], 0
	s_mul_i32 s6, s8, s2
	s_cbranch_scc0 .LBB25_535
; %bb.6:
	s_add_u32 s2, s54, 0
	s_addc_u32 s3, 0, 0
	s_xor_b64 s[4:5], s[2:3], 0
	v_cvt_f32_u32_e32 v2, s4
	v_cvt_f32_u32_e32 v3, s5
	s_sub_u32 s10, 0, s4
	s_subb_u32 s11, 0, s5
	v_fmamk_f32 v2, v3, 0x4f800000, v2
	v_rcp_f32_e32 v2, v2
	s_nop 0
	v_mul_f32_e32 v2, 0x5f7ffffc, v2
	v_mul_f32_e32 v3, 0x2f800000, v2
	v_trunc_f32_e32 v3, v3
	v_fmamk_f32 v2, v3, 0xcf800000, v2
	v_cvt_u32_f32_e32 v3, v3
	v_cvt_u32_f32_e32 v2, v2
	v_readfirstlane_b32 s12, v3
	v_readfirstlane_b32 s8, v2
	s_mul_i32 s9, s10, s12
	s_mul_hi_u32 s14, s10, s8
	s_mul_i32 s13, s11, s8
	s_add_i32 s9, s14, s9
	s_add_i32 s9, s9, s13
	s_mul_i32 s15, s10, s8
	s_mul_i32 s14, s8, s9
	s_mul_hi_u32 s16, s8, s15
	s_mul_hi_u32 s13, s8, s9
	s_add_u32 s14, s16, s14
	s_addc_u32 s13, 0, s13
	s_mul_hi_u32 s17, s12, s15
	s_mul_i32 s15, s12, s15
	s_add_u32 s14, s14, s15
	s_mul_hi_u32 s16, s12, s9
	s_addc_u32 s13, s13, s17
	s_addc_u32 s14, s16, 0
	s_mul_i32 s9, s12, s9
	s_add_u32 s9, s13, s9
	s_addc_u32 s13, 0, s14
	s_add_u32 s14, s8, s9
	s_cselect_b64 s[8:9], -1, 0
	s_cmp_lg_u64 s[8:9], 0
	s_addc_u32 s12, s12, s13
	s_mul_i32 s8, s10, s12
	s_mul_hi_u32 s9, s10, s14
	s_add_i32 s8, s9, s8
	s_mul_i32 s11, s11, s14
	s_add_i32 s8, s8, s11
	s_mul_i32 s10, s10, s14
	s_mul_hi_u32 s11, s12, s10
	s_mul_i32 s13, s12, s10
	s_mul_i32 s16, s14, s8
	s_mul_hi_u32 s10, s14, s10
	s_mul_hi_u32 s15, s14, s8
	s_add_u32 s10, s10, s16
	s_addc_u32 s15, 0, s15
	s_add_u32 s10, s10, s13
	s_mul_hi_u32 s9, s12, s8
	s_addc_u32 s10, s15, s11
	s_addc_u32 s9, s9, 0
	s_mul_i32 s8, s12, s8
	s_add_u32 s8, s10, s8
	s_addc_u32 s10, 0, s9
	s_add_u32 s13, s14, s8
	s_cselect_b64 s[8:9], -1, 0
	s_cmp_lg_u64 s[8:9], 0
	s_addc_u32 s12, s12, s10
	s_ashr_i32 s8, s7, 31
	s_add_u32 s10, s6, s8
	s_mov_b32 s9, s8
	s_addc_u32 s11, s7, s8
	s_xor_b64 s[10:11], s[10:11], s[8:9]
	s_mul_i32 s14, s10, s12
	s_mul_hi_u32 s15, s10, s13
	s_mul_hi_u32 s7, s10, s12
	s_add_u32 s14, s15, s14
	s_addc_u32 s7, 0, s7
	s_mul_hi_u32 s16, s11, s13
	s_mul_i32 s13, s11, s13
	s_add_u32 s13, s14, s13
	s_mul_hi_u32 s15, s11, s12
	s_addc_u32 s7, s7, s16
	s_addc_u32 s13, s15, 0
	s_mul_i32 s12, s11, s12
	s_add_u32 s7, s7, s12
	s_addc_u32 s16, 0, s13
	s_mul_i32 s12, s4, s16
	s_mul_hi_u32 s13, s4, s7
	s_add_i32 s12, s13, s12
	s_mul_i32 s13, s5, s7
	s_add_i32 s17, s12, s13
	s_sub_i32 s14, s11, s17
	s_mul_i32 s12, s4, s7
	s_sub_u32 s10, s10, s12
	s_cselect_b64 s[12:13], -1, 0
	s_cmp_lg_u64 s[12:13], 0
	s_subb_u32 s18, s14, s5
	s_sub_u32 s19, s10, s4
	s_cselect_b64 s[14:15], -1, 0
	s_cmp_lg_u64 s[14:15], 0
	s_subb_u32 s14, s18, 0
	s_cmp_ge_u32 s14, s5
	s_cselect_b32 s15, -1, 0
	s_cmp_ge_u32 s19, s4
	s_cselect_b32 s18, -1, 0
	s_cmp_eq_u32 s14, s5
	s_cselect_b32 s14, s18, s15
	s_add_u32 s15, s7, 1
	s_addc_u32 s18, s16, 0
	s_add_u32 s19, s7, 2
	s_addc_u32 s20, s16, 0
	s_cmp_lg_u32 s14, 0
	s_cselect_b32 s14, s19, s15
	s_cselect_b32 s15, s20, s18
	s_cmp_lg_u64 s[12:13], 0
	s_subb_u32 s11, s11, s17
	s_cmp_ge_u32 s11, s5
	s_cselect_b32 s12, -1, 0
	s_cmp_ge_u32 s10, s4
	s_cselect_b32 s4, -1, 0
	s_cmp_eq_u32 s11, s5
	s_cselect_b32 s4, s4, s12
	s_cmp_lg_u32 s4, 0
	s_cselect_b32 s5, s15, s16
	s_cselect_b32 s4, s14, s7
	s_xor_b64 s[8:9], s[8:9], 0
	s_xor_b64 s[4:5], s[4:5], s[8:9]
	s_sub_u32 s4, s4, s8
	v_writelane_b32 v243, s4, 10
	s_nop 1
	v_writelane_b32 v243, s5, 11
	s_load_dwordx2 s[90:91], s[0:1], 0x5c
	s_cbranch_execnz .LBB25_8
.LBB25_7:
	v_rcp_iflag_f32_e32 v1, v1
	s_sub_i32 s2, 0, s54
	v_mul_f32_e32 v1, 0x4f7ffffe, v1
	v_cvt_u32_f32_e32 v1, v1
	s_nop 0
	v_readfirstlane_b32 s3, v1
	s_mul_i32 s2, s2, s3
	s_mul_hi_u32 s2, s3, s2
	s_add_i32 s3, s3, s2
	s_mul_hi_u32 s2, s6, s3
	s_mul_i32 s4, s2, s54
	s_sub_i32 s4, s6, s4
	s_add_i32 s3, s2, 1
	s_sub_i32 s5, s4, s54
	s_cmp_ge_u32 s4, s54
	s_cselect_b32 s2, s3, s2
	s_cselect_b32 s4, s5, s4
	s_add_i32 s3, s2, 1
	s_cmp_ge_u32 s4, s54
	s_cselect_b32 s2, s3, s2
	v_writelane_b32 v243, s2, 10
	s_nop 1
	v_writelane_b32 v243, s3, 11
.LBB25_8:
	s_load_dwordx16 s[56:71], s[0:1], 0x0
	s_load_dwordx4 s[12:15], s[0:1], 0x40
	s_load_dwordx2 s[84:85], s[0:1], 0x50
	s_load_dwordx2 s[2:3], s[0:1], 0x8c
	s_load_dwordx4 s[4:7], s[0:1], 0x98
	s_load_dwordx2 s[8:9], s[0:1], 0xa8
	s_load_dwordx2 s[16:17], s[0:1], 0xb8
	s_nop 0
	s_load_dwordx2 s[0:1], s[0:1], 0xc8
	s_ashr_i32 s83, s75, 3
	s_waitcnt lgkmcnt(0)
	s_ashr_i32 s88, s2, 2
	s_ashr_i32 s74, s6, 2
	v_writelane_b32 v243, s8, 12
	s_ashr_i32 s76, s17, 1
	v_cvt_f16_f32_e32 v139, s12
	v_writelane_b32 v243, s9, 13
	v_writelane_b32 v243, s0, 14
	v_bfe_u32 v130, v0, 10, 10
	s_mov_b32 s9, 0
	v_writelane_b32 v243, s1, 15
	s_mov_b32 s1, s3
	v_readlane_b32 s8, v243, 1
	s_abs_i32 s33, s8
	v_cvt_f32_u32_e32 v1, s33
	v_writelane_b32 v243, s0, 16
	s_mov_b32 s3, s7
	v_lshlrev_b32_e32 v132, 3, v130
	v_rcp_iflag_f32_e32 v1, v1
	v_writelane_b32 v243, s1, 17
	s_mov_b64 s[0:1], s[4:5]
	v_writelane_b32 v243, s0, 18
	v_mul_f32_e32 v1, 0x4f7ffffe, v1
	v_cvt_u32_f32_e32 v1, v1
	v_writelane_b32 v243, s1, 19
	v_writelane_b32 v243, s2, 20
	;; [unrolled: 1-line block ×3, first 2 shown]
	s_sub_i32 s2, 0, s33
	v_readfirstlane_b32 s3, v1
	s_mul_i32 s2, s2, s3
	s_ashr_i32 s1, s8, 31
	s_mul_hi_u32 s2, s3, s2
	v_writelane_b32 v243, s1, 22
	s_abs_i32 s1, s34
	s_add_i32 s50, s3, s2
	s_mul_hi_u32 s2, s1, s50
	s_mul_i32 s2, s2, s33
	s_sub_i32 s1, s1, s2
	s_ashr_i32 s0, s34, 31
	s_sub_i32 s2, s1, s33
	s_cmp_ge_u32 s1, s33
	s_cselect_b32 s1, s2, s1
	s_sub_i32 s2, s1, s33
	s_cmp_ge_u32 s1, s33
	s_cselect_b32 s1, s2, s1
	s_xor_b32 s1, s1, s0
	s_sub_i32 s42, s1, s0
	v_readlane_b32 s0, v243, 10
	v_readlane_b32 s1, v243, 11
	v_writelane_b32 v243, s56, 23
	s_mov_b32 s6, s0
	s_sub_i32 s0, s0, s34
	v_writelane_b32 v243, s57, 24
	v_writelane_b32 v243, s58, 25
	;; [unrolled: 1-line block ×6, first 2 shown]
	s_add_i32 s4, s0, s42
	v_writelane_b32 v243, s63, 30
	s_min_i32 s94, s8, s4
	v_writelane_b32 v243, s64, 31
	s_cmp_gt_i32 s6, s34
	v_writelane_b32 v243, s65, 32
	s_cselect_b64 s[2:3], -1, 0
	s_cmp_le_i32 s6, s34
	v_writelane_b32 v243, s66, 33
	s_cselect_b64 s[0:1], -1, 0
	s_cmp_gt_i32 s8, s4
	v_writelane_b32 v243, s67, 34
	s_cselect_b64 s[4:5], -1, 0
	v_writelane_b32 v243, s68, 35
	s_or_b64 s[0:1], s[4:5], s[0:1]
	v_writelane_b32 v243, s69, 36
	s_and_b64 vcc, exec, s[0:1]
	v_add_u32_e32 v138, 4, v130
	v_add_u32_e32 v137, 8, v130
	;; [unrolled: 1-line block ×7, first 2 shown]
	v_lshlrev_b32_e32 v131, 4, v130
	v_mbcnt_lo_u32_b32 v133, -1, 0
	v_writelane_b32 v243, s70, 37
	v_writelane_b32 v243, s71, 38
	s_cbranch_vccz .LBB25_11
; %bb.9:
	s_andn2_b64 vcc, exec, s[2:3]
	s_cbranch_vccz .LBB25_452
.LBB25_10:
	s_endpgm
.LBB25_11:
	s_cmp_lg_u64 s[62:63], 0
	v_writelane_b32 v243, s54, 39
	s_cselect_b64 s[0:1], -1, 0
	v_writelane_b32 v243, s0, 40
	s_cmp_eq_u64 s[64:65], 0
	s_mov_b64 s[2:3], s[14:15]
	v_writelane_b32 v243, s1, 41
	s_mul_i32 s0, s72, s73
	v_writelane_b32 v243, s0, 42
	s_cselect_b64 s[0:1], -1, 0
	v_writelane_b32 v243, s0, 43
	v_and_b32_e32 v46, 0x3ff, v0
	v_and_b32_e32 v2, 15, v0
	v_writelane_b32 v243, s1, 44
	s_mov_b32 s1, s13
	v_writelane_b32 v243, s0, 45
	v_lshrrev_b32_e32 v4, 1, v0
	v_lshlrev_b32_e32 v1, 2, v46
	v_writelane_b32 v243, s1, 46
	v_writelane_b32 v243, s2, 47
	v_mul_u32_u24_e32 v3, 0x110, v2
	v_and_b32_e32 v4, 0x78, v4
	v_bfe_u32 v5, v0, 4, 6
	v_writelane_b32 v243, s3, 48
	v_cmp_nle_f32_e64 s[0:1], s13, 0
	v_add3_u32 v141, 0, v3, v4
	v_mul_u32_u24_e32 v3, 0x90, v130
	v_lshlrev_b32_e32 v50, 1, v46
	v_lshl_add_u32 v143, v130, 2, v5
	v_and_b32_e32 v52, 60, v1
	v_writelane_b32 v243, s0, 49
	s_cmp_lg_u64 s[66:67], 0
	v_add_u32_e32 v140, 0, v1
	v_add3_u32 v142, 0, v3, v50
	v_and_b32_e32 v3, 8, v132
	v_mul_u32_u24_e32 v5, 0x110, v143
	v_lshlrev_b32_e32 v1, 2, v52
	v_writelane_b32 v243, s1, 50
	s_cselect_b64 s[0:1], -1, 0
	v_mul_u32_u24_e32 v3, 0x220, v3
	v_add3_u32 v144, 0, v5, v1
	v_lshlrev_b32_e32 v1, 1, v2
	v_writelane_b32 v243, s0, 51
	v_add3_u32 v145, 0, v3, v1
	v_bfe_u32 v1, v0, 10, 1
	v_writelane_b32 v243, s1, 52
	v_cmp_eq_u32_e64 s[2:3], 0, v1
	v_and_b32_e32 v1, 0x400, v0
	s_lshl_b32 s8, s49, 5
	v_writelane_b32 v243, s2, 53
	v_bfe_u32 v3, v130, 1, 4
	s_ashr_i32 s77, s76, 31
	v_writelane_b32 v243, s3, 54
	v_cmp_ne_u32_e64 s[2:3], 0, v1
	v_or_b32_e32 v1, v132, v46
	v_lshlrev_b32_e32 v48, 3, v1
	v_or_b32_e32 v1, v131, v2
	v_mul_u32_u24_e32 v1, 0x110, v1
	v_add3_u32 v146, 0, v1, v4
	v_lshrrev_b32_e32 v1, 10, v0
	v_writelane_b32 v243, s2, 55
	v_bfe_u32 v147, v1, 1, 9
	v_add_u32_e32 v148, 2, v147
	v_writelane_b32 v243, s3, 56
	s_lshl_b64 s[2:3], s[8:9], 3
	s_movk_i32 s8, 0xe0
	v_and_or_b32 v1, v1, s8, v3
	v_lshlrev_b32_e32 v4, 1, v148
	v_and_b32_e32 v5, 15, v148
	s_movk_i32 s8, 0x1e0
	v_add_u32_e32 v149, 4, v147
	v_and_or_b32 v4, v4, s8, v5
	v_lshlrev_b32_e32 v5, 1, v149
	v_and_b32_e32 v6, 15, v149
	v_add_u32_e32 v150, 6, v147
	v_and_or_b32 v5, v5, s8, v6
	v_lshlrev_b32_e32 v6, 1, v150
	v_and_b32_e32 v7, 15, v150
	;; [unrolled: 4-line block ×6, first 2 shown]
	v_add_u32_e32 v155, 16, v147
	v_and_or_b32 v10, v10, s8, v11
	v_lshlrev_b32_e32 v11, 1, v155
	v_add_u32_e32 v156, 18, v147
	v_and_or_b32 v3, v11, s8, v3
	v_lshlrev_b32_e32 v11, 1, v156
	v_and_b32_e32 v12, 15, v156
	v_add_u32_e32 v157, 20, v147
	v_and_or_b32 v11, v11, s8, v12
	v_lshlrev_b32_e32 v12, 1, v157
	v_and_b32_e32 v13, 15, v157
	;; [unrolled: 4-line block ×3, first 2 shown]
	v_add_u32_e32 v159, 24, v147
	s_ashr_i32 s89, s88, 31
	s_ashr_i32 s75, s74, 31
	s_lshl_b32 s12, s88, 4
	s_lshl_b32 s15, s74, 4
	v_writelane_b32 v243, s49, 57
	v_and_or_b32 v13, v13, s8, v14
	v_lshlrev_b32_e32 v14, 1, v159
	v_and_b32_e32 v15, 15, v159
	v_add_u32_e32 v160, 26, v147
	s_add_u32 s2, s70, s2
	v_and_or_b32 v14, v14, s8, v15
	v_lshlrev_b32_e32 v15, 1, v160
	v_and_b32_e32 v16, 15, v160
	v_add_u32_e32 v161, 28, v147
	v_readlane_b32 s21, v243, 7
	s_addc_u32 s3, s71, s3
	v_and_or_b32 v15, v15, s8, v16
	v_lshlrev_b32_e32 v16, 1, v161
	v_and_b32_e32 v17, 15, v161
	s_abs_i32 s22, s21
	v_and_or_b32 v16, v16, s8, v17
	v_cvt_f32_u32_e32 v17, s22
	v_add_u32_e32 v162, 30, v147
	v_readlane_b32 s20, v243, 6
	v_readlane_b32 s19, v243, 3
	v_rcp_iflag_f32_e32 v17, v17
	s_abs_i32 s23, s20
	v_lshlrev_b32_e32 v19, 1, v162
	v_and_b32_e32 v20, 15, v162
	v_mul_f32_e32 v17, 0x4f7ffffe, v17
	s_abs_i32 s24, s19
	v_cvt_f32_u32_e32 v18, s23
	v_and_or_b32 v19, v19, s8, v20
	v_cvt_u32_f32_e32 v17, v17
	v_cvt_f32_u32_e32 v20, s24
	s_mov_b32 s8, s16
	v_writelane_b32 v243, s8, 58
	v_rcp_iflag_f32_e32 v18, v18
	s_abs_i32 s25, s16
	v_writelane_b32 v243, s9, 59
	v_readfirstlane_b32 s8, v17
	v_rcp_iflag_f32_e32 v17, v20
	v_mul_f32_e32 v18, 0x4f7ffffe, v18
	v_cvt_u32_f32_e32 v18, v18
	v_cvt_f32_u32_e32 v21, s25
	v_mul_f32_e32 v17, 0x4f7ffffe, v17
	v_cvt_u32_f32_e32 v17, v17
	v_bfe_u32 v20, v0, 2, 8
	s_movk_i32 s7, 0x110
	v_readfirstlane_b32 s16, v18
	v_rcp_iflag_f32_e32 v18, v21
	v_readfirstlane_b32 s17, v17
	v_and_b32_e32 v17, 0x7f0, v132
	v_and_b32_e32 v21, 60, v20
	v_mad_u32_u24 v163, v17, s7, v141
	v_mad_u32_u24 v172, v21, s7, v145
	s_lshl_b32 s7, s73, 6
	v_writelane_b32 v243, s7, 60
	s_ashr_i32 s7, s21, 31
	v_writelane_b32 v243, s7, 61
	s_sub_i32 s7, 0, s22
	s_mul_i32 s7, s7, s8
	s_mul_hi_u32 s7, s8, s7
	v_writelane_b32 v243, s22, 62
	s_add_i32 s7, s8, s7
	v_writelane_b32 v243, s7, 63
	s_ashr_i32 s7, s20, 31
                                        ; implicit-def: $vgpr242 : SGPR spill to VGPR lane
	v_mul_f32_e32 v18, 0x4f7ffffe, v18
	v_writelane_b32 v242, s7, 0
	s_sub_i32 s7, 0, s23
	s_mul_i32 s7, s7, s16
	s_mul_hi_u32 s7, s16, s7
	v_writelane_b32 v242, s23, 1
	s_add_i32 s7, s16, s7
	v_writelane_b32 v242, s7, 2
	s_ashr_i32 s7, s19, 31
	v_cvt_u32_f32_e32 v18, v18
	v_writelane_b32 v242, s7, 3
	s_sub_i32 s7, 0, s24
	s_mul_i32 s7, s7, s17
	s_mul_hi_u32 s7, s17, s7
	v_writelane_b32 v242, s24, 4
	s_add_i32 s7, s17, s7
	v_readfirstlane_b32 s18, v18
	v_writelane_b32 v242, s7, 5
	s_sub_i32 s7, 0, s25
	s_mul_i32 s7, s7, s18
	s_mul_hi_u32 s7, s18, s7
	v_mov_b32_e32 v49, 0
	v_writelane_b32 v242, s25, 6
	s_add_i32 s7, s18, s7
	v_writelane_b32 v242, s7, 7
	v_lshl_add_u64 v[72:73], s[2:3], 0, v[48:49]
	v_cmp_gt_u32_e64 s[2:3], 16, v46
	v_and_b32_e32 v18, 16, v131
	s_movk_i32 s14, 0x90
	v_writelane_b32 v242, s2, 8
	v_or_b32_e32 v17, v17, v2
	v_mul_u32_u24_e32 v164, 0x110, v18
	v_add_u32_e32 v165, v21, v18
	v_add_u16_e32 v18, v21, v18
	v_writelane_b32 v242, s3, 9
	v_cmp_gt_u32_e64 s[2:3], 32, v46
	v_mul_lo_u32 v54, s88, v143
	v_mad_u32_u24 v17, v17, s14, 0
	v_lshrrev_b16_e32 v18, 1, v18
	v_add_u32_e32 v167, 32, v165
	v_add_u32_e32 v169, 34, v165
	v_mul_lo_u32 v62, s74, v143
	v_writelane_b32 v242, s2, 10
	v_add_u32_e32 v56, s12, v54
	v_lshl_add_u32 v166, v18, 2, v17
	v_lshl_add_u32 v168, v167, 1, v17
	v_lshl_add_u32 v170, v169, 1, v17
	v_add_u32_e32 v64, s15, v62
	v_or_b32_e32 v17, 3, v20
	v_writelane_b32 v242, s3, 11
	s_mov_b32 s2, s76
	v_add_u32_e32 v58, s12, v56
	v_add_u32_e32 v66, s15, v64
	v_mul_u32_u24_e32 v171, 0x110, v17
	v_add_u32_e32 v17, v131, v46
	v_writelane_b32 v242, s2, 12
	v_add_u32_e32 v60, s12, v58
	v_add_u32_e32 v68, s15, v66
	v_mul_u32_u24_e32 v173, 0x110, v17
	v_and_b32_e32 v17, 31, v0
	v_writelane_b32 v242, s3, 13
	s_lshl_b64 s[2:3], s[76:77], 1
	s_mov_b64 s[80:81], src_private_base
	s_mov_b32 s6, 0x10001
	v_ashrrev_i32_e32 v55, 31, v54
	v_ashrrev_i32_e32 v57, 31, v56
	;; [unrolled: 1-line block ×8, first 2 shown]
	v_add_u32_e32 v17, v131, v17
	v_writelane_b32 v242, s2, 14
	v_cmp_lt_u32_e64 s[0:1], 63, v46
	v_cmp_gt_u32_e64 s[54:55], 64, v143
	v_cmp_gt_u32_e64 s[4:5], 48, v143
	;; [unrolled: 1-line block ×5, first 2 shown]
	v_mul_u32_u24_e32 v174, 0x110, v17
	v_mul_u32_u24_e32 v175, 0x110, v1
	;; [unrolled: 1-line block ×17, first 2 shown]
	v_mov_b32_e32 v51, v49
	v_lshlrev_b32_e32 v70, 4, v2
	v_mov_b32_e32 v71, v49
	s_mov_b32 s73, 0x42b17218
	s_mov_b32 s97, 0x3fb8aa3b
	;; [unrolled: 1-line block ×3, first 2 shown]
	s_brev_b32 s78, -2
	s_mov_b32 s96, 0x3f200000
	s_mov_b32 s35, 0xc1a00000
	v_mul_lo_u32 v191, v139, s6
	s_mov_b32 s92, 0x5040100
	v_mov_b32_e32 v236, v49
	v_mov_b32_e32 v237, v49
	;; [unrolled: 1-line block ×4, first 2 shown]
	v_add_u32_e32 v192, 0x240, v142
	v_add_u32_e32 v193, 0x480, v142
	;; [unrolled: 1-line block ×13, first 2 shown]
	v_mul_u32_u24_e32 v205, 0x110, v130
	v_or_b32_e32 v206, 1, v165
	v_or_b32_e32 v207, 2, v165
	;; [unrolled: 1-line block ×3, first 2 shown]
	v_add_u32_e32 v209, 33, v165
	v_add_u32_e32 v210, 35, v165
	v_mov_b32_e32 v211, 0x3e91f4c4
	v_mov_b32_e32 v212, 0x3ca908c9
	;; [unrolled: 1-line block ×5, first 2 shown]
	v_mbcnt_hi_u32_b32 v216, -1, v133
	v_mov_b32_e32 v217, 0
	v_lshl_add_u64 v[74:75], v[62:63], 2, s[60:61]
	v_lshl_add_u64 v[76:77], v[64:65], 2, s[60:61]
	;; [unrolled: 1-line block ×8, first 2 shown]
	v_cmp_gt_u32_e64 s[16:17], 63, v165
	v_cmp_gt_u32_e64 s[18:19], 62, v165
	;; [unrolled: 1-line block ×7, first 2 shown]
	v_writelane_b32 v242, s3, 15
	s_lshl_b64 s[86:87], s[74:75], 8
	s_lshl_b64 s[30:31], s[88:89], 8
	s_mov_b64 s[98:99], 0x80
                                        ; implicit-def: $vgpr1
                                        ; implicit-def: $vgpr1
	;; [unrolled: 1-line block ×4, first 2 shown]
	v_writelane_b32 v242, s50, 16
	s_branch .LBB25_14
.LBB25_12:                              ;   in Loop: Header=BB25_14 Depth=1
	s_or_b64 exec, exec, s[2:3]
	s_barrier
.LBB25_13:                              ;   in Loop: Header=BB25_14 Depth=1
	v_readlane_b32 s8, v243, 1
	v_readlane_b32 s2, v242, 17
	s_add_i32 s2, s2, s8
	s_abs_i32 s6, s2
	s_mul_hi_u32 s7, s6, s50
	s_mul_i32 s7, s7, s33
	v_readlane_b32 s3, v242, 18
	s_sub_i32 s6, s6, s7
	s_ashr_i32 s3, s2, 31
	s_sub_i32 s7, s6, s33
	s_cmp_ge_u32 s6, s33
	s_cselect_b32 s6, s7, s6
	s_sub_i32 s7, s6, s33
	s_cmp_ge_u32 s6, s33
	s_cselect_b32 s6, s7, s6
	s_xor_b32 s6, s6, s3
	s_sub_i32 s3, s3, s6
	s_add_i32 s34, s2, s3
	v_readlane_b32 s2, v243, 10
	s_sub_i32 s6, s2, s34
	s_min_i32 s94, s8, s6
	v_readlane_b32 s3, v243, 11
	s_cmp_gt_i32 s2, s34
	s_cselect_b64 s[2:3], -1, 0
	s_cmp_le_i32 s8, s6
	s_cselect_b64 s[6:7], -1, 0
	s_and_b64 s[6:7], s[6:7], s[2:3]
	s_mov_b32 s42, 0
	s_and_b64 vcc, exec, s[6:7]
	s_cbranch_vccz .LBB25_451
.LBB25_14:                              ; =>This Loop Header: Depth=1
                                        ;     Child Loop BB25_276 Depth 2
                                        ;     Child Loop BB25_61 Depth 2
	s_ashr_i32 s2, s34, 31
	v_readlane_b32 s3, v243, 61
	s_xor_b32 s2, s2, s3
	s_abs_i32 s3, s34
	v_readlane_b32 s6, v243, 63
	s_mul_hi_u32 s6, s3, s6
	v_readlane_b32 s36, v243, 62
	s_mul_i32 s7, s6, s36
	s_sub_i32 s3, s3, s7
	s_add_i32 s7, s6, 1
	s_sub_i32 s8, s3, s36
	s_cmp_ge_u32 s3, s36
	s_cselect_b32 s6, s7, s6
	s_cselect_b32 s3, s8, s3
	s_add_i32 s7, s6, 1
	s_cmp_ge_u32 s3, s36
	s_cselect_b32 s3, s7, s6
	s_xor_b32 s3, s3, s2
	s_sub_i32 s40, s3, s2
	v_readlane_b32 s2, v243, 40
	v_readlane_b32 s3, v243, 41
	s_ashr_i32 s41, s40, 31
	s_andn2_b64 vcc, exec, s[2:3]
	s_mov_b64 s[6:7], 0
	s_cbranch_vccnz .LBB25_16
; %bb.15:                               ;   in Loop: Header=BB25_14 Depth=1
	s_abs_i32 s2, s40
	v_readlane_b32 s3, v242, 7
	s_mul_hi_u32 s3, s2, s3
	v_readlane_b32 s6, v242, 6
	s_mul_i32 s3, s3, s6
	s_sub_i32 s2, s2, s3
	s_sub_i32 s3, s2, s6
	s_cmp_ge_u32 s2, s6
	s_cselect_b32 s2, s3, s2
	s_sub_i32 s3, s2, s6
	s_cmp_ge_u32 s2, s6
	s_cselect_b32 s2, s3, s2
	s_xor_b32 s2, s2, s41
	s_sub_i32 s2, s2, s41
	s_ashr_i32 s3, s2, 31
	v_readlane_b32 s36, v243, 14
	v_readlane_b32 s37, v243, 15
	s_mul_i32 s3, s36, s3
	s_mul_hi_u32 s6, s36, s2
	s_add_i32 s3, s6, s3
	s_mul_i32 s6, s37, s2
	v_readlane_b32 s56, v243, 23
	s_add_i32 s3, s3, s6
	s_mul_i32 s2, s36, s2
	v_readlane_b32 s62, v243, 29
	v_readlane_b32 s63, v243, 30
	s_add_u32 s6, s62, s2
	s_addc_u32 s7, s63, s3
	v_readlane_b32 s57, v243, 24
	v_readlane_b32 s58, v243, 25
	;; [unrolled: 1-line block ×13, first 2 shown]
.LBB25_16:                              ;   in Loop: Header=BB25_14 Depth=1
	v_readlane_b32 s2, v243, 7
	s_mov_b32 s8, s34
	s_mul_i32 s2, s40, s2
	v_writelane_b32 v242, s8, 17
	s_sub_i32 s2, s34, s2
	s_ashr_i32 s3, s2, 31
	v_writelane_b32 v242, s9, 18
	v_mov_b32_e32 v90, 1.0
	v_readlane_b32 s8, v242, 0
	s_xor_b32 s3, s3, s8
	s_abs_i32 s8, s2
	v_readlane_b32 s34, v242, 2
	s_mul_hi_u32 s36, s8, s34
	v_readlane_b32 s34, v242, 1
	s_mul_i32 s37, s36, s34
	s_sub_i32 s8, s8, s37
	s_add_i32 s37, s36, 1
	s_sub_i32 s38, s8, s34
	s_cmp_ge_u32 s8, s34
	s_cselect_b32 s36, s37, s36
	s_cselect_b32 s8, s38, s8
	s_add_i32 s37, s36, 1
	s_cmp_ge_u32 s8, s34
	s_cselect_b32 s8, s37, s36
	s_xor_b32 s8, s8, s3
	s_sub_i32 s43, s8, s3
	v_readlane_b32 s3, v243, 6
	s_mul_i32 s3, s43, s3
	s_sub_i32 s3, s2, s3
	s_ashr_i32 s2, s3, 31
	v_readlane_b32 s8, v242, 3
	s_xor_b32 s2, s2, s8
	s_abs_i32 s8, s3
	v_readlane_b32 s34, v242, 5
	s_mul_hi_u32 s36, s8, s34
	v_readlane_b32 s34, v242, 4
	s_mul_i32 s37, s36, s34
	s_sub_i32 s8, s8, s37
	s_add_i32 s37, s36, 1
	s_sub_i32 s38, s8, s34
	s_cmp_ge_u32 s8, s34
	s_cselect_b32 s36, s37, s36
	s_cselect_b32 s8, s38, s8
	s_add_i32 s37, s36, 1
	s_cmp_ge_u32 s8, s34
	s_cselect_b32 s8, s37, s36
	s_xor_b32 s8, s8, s2
	s_sub_i32 s8, s8, s2
	v_readlane_b32 s2, v243, 2
	v_readlane_b32 s36, v243, 49
	s_mul_i32 s2, s43, s2
	v_readlane_b32 s37, v243, 50
	s_add_i32 s2, s2, s8
	s_andn2_b64 vcc, exec, s[36:37]
	s_cbranch_vccnz .LBB25_18
; %bb.17:                               ;   in Loop: Header=BB25_14 Depth=1
	v_mov_b32_e32 v1, s84
	v_readlane_b32 s36, v243, 45
	v_sub_co_u32_e32 v1, vcc, s2, v1
	s_add_i32 s36, s2, 1
	v_lshlrev_b32_e32 v1, 1, v1
	v_mov_b32_e32 v3, s36
	v_or_b32_e32 v1, 1, v1
	v_cndmask_b32_e32 v1, v1, v3, vcc
	v_readlane_b32 s38, v243, 47
	v_readlane_b32 s39, v243, 48
	v_cvt_f32_i32_e32 v1, v1
	v_mov_b32_e32 v3, s38
	v_mov_b32_e32 v2, s39
	v_cndmask_b32_e32 v2, v2, v3, vcc
	v_cmp_neq_f32_e32 vcc, 1.0, v2
	s_mov_b32 s36, 0x3f2aaaab
	s_movk_i32 s34, 0x204
	v_cndmask_b32_e32 v1, 1.0, v1, vcc
	v_cmp_neq_f32_e32 vcc, 0, v1
	v_readlane_b32 s37, v243, 46
	v_cmp_gt_f32_e64 s[38:39], 0, v1
	v_cndmask_b32_e32 v18, 1.0, v2, vcc
	v_frexp_mant_f32_e64 v2, |v18|
	v_cmp_gt_f32_e32 vcc, s36, v2
	s_mov_b32 s36, 0x3f317218
	v_cmp_class_f32_e64 s[44:45], v18, s34
	v_cndmask_b32_e64 v3, 1.0, 2.0, vcc
	v_mul_f32_e32 v2, v2, v3
	v_add_f32_e32 v5, 1.0, v2
	v_rcp_f32_e32 v10, v5
	v_add_f32_e32 v3, -1.0, v5
	v_sub_f32_e32 v7, v2, v3
	v_add_f32_e32 v3, -1.0, v2
	v_mul_f32_e32 v11, v3, v10
	v_mul_f32_e32 v4, v5, v11
	v_fma_f32 v6, v11, v5, -v4
	v_fmac_f32_e32 v6, v11, v7
	v_add_f32_e32 v2, v4, v6
	v_sub_f32_e32 v5, v3, v2
	v_pk_add_f32 v[8:9], v[2:3], v[4:5] neg_lo:[0,1] neg_hi:[0,1]
	v_mov_b32_e32 v7, v2
	v_pk_add_f32 v[2:3], v[8:9], v[6:7] neg_lo:[0,1] neg_hi:[0,1]
	s_nop 0
	v_add_f32_e32 v2, v2, v3
	v_add_f32_e32 v2, v5, v2
	v_mul_f32_e32 v3, v10, v2
	v_add_f32_e32 v2, v11, v3
	v_sub_f32_e32 v4, v2, v11
	v_sub_f32_e32 v12, v3, v4
	v_mul_f32_e32 v3, v2, v2
	v_fma_f32 v5, v2, v2, -v3
	v_add_f32_e32 v4, v12, v12
	v_fmac_f32_e32 v5, v2, v4
	v_add_f32_e32 v4, v3, v5
	v_fmamk_f32 v6, v4, 0x3e76c4e1, v211
	v_fmaak_f32 v6, v4, v6, 0x3ecccdef
	v_sub_f32_e32 v3, v4, v3
	v_sub_f32_e32 v13, v5, v3
	v_mul_f32_e32 v3, v4, v6
	v_fma_f32 v5, v4, v6, -v3
	v_fmac_f32_e32 v5, v13, v6
	v_add_f32_e32 v6, v3, v5
	v_add_f32_e32 v7, 0x3f2aaaaa, v6
	v_sub_f32_e32 v3, v6, v3
	v_sub_f32_e32 v3, v5, v3
	v_add_f32_e32 v5, 0xbf2aaaaa, v7
	v_add_f32_e32 v3, 0x31739010, v3
	v_sub_f32_e32 v5, v6, v5
	v_pk_mul_f32 v[8:9], v[2:3], v[4:5]
	v_pk_add_f32 v[10:11], v[2:3], v[4:5]
	v_fma_f32 v6, v4, v2, -v8
	v_fmac_f32_e32 v6, v4, v12
	v_mov_b32_e32 v9, v11
	v_fmac_f32_e32 v6, v13, v2
	v_pk_add_f32 v[4:5], v[8:9], v[6:7]
	v_ldexp_f32 v14, v12, 1
	v_sub_f32_e32 v3, v4, v8
	v_sub_f32_e32 v3, v6, v3
	;; [unrolled: 1-line block ×3, first 2 shown]
	v_add_f32_e32 v10, v11, v6
	v_pk_mul_f32 v[6:7], v[4:5], v[4:5] op_sel:[0,1] op_sel_hi:[1,0]
	v_cvt_f64_f32_e64 v[8:9], |v18|
	v_frexp_exp_i32_f64_e32 v7, v[8:9]
	v_subbrev_co_u32_e32 v7, vcc, 0, v7, vcc
	v_cvt_f32_i32_e32 v7, v7
	v_fma_f32 v8, v4, v5, -v6
	v_fmac_f32_e32 v8, v4, v10
	v_fmac_f32_e32 v8, v3, v5
	v_mul_f32_e32 v4, 0x3f317218, v7
	v_fma_f32 v10, v7, s36, -v4
	v_fmac_f32_e32 v10, 0xb102e308, v7
	v_ldexp_f32 v11, v2, 1
	v_add_f32_e32 v5, v6, v8
	v_pk_add_f32 v[2:3], v[4:5], v[10:11]
	v_mov_b32_e32 v12, v5
	v_mov_b32_e32 v13, v3
	v_mov_b32_e32 v7, v11
	v_pk_add_f32 v[6:7], v[12:13], v[6:7] neg_lo:[0,1] neg_hi:[0,1]
	v_mov_b32_e32 v9, v5
	v_pk_add_f32 v[6:7], v[8:9], v[6:7] neg_lo:[0,1] neg_hi:[0,1]
	v_mov_b32_e32 v11, v2
	v_add_f32_e32 v5, v14, v6
	v_add_f32_e32 v5, v5, v7
	v_pk_add_f32 v[6:7], v[2:3], v[4:5] neg_lo:[0,1] neg_hi:[0,1]
	v_pk_add_f32 v[8:9], v[2:3], v[4:5]
	v_mov_b32_e32 v16, v3
	v_mov_b32_e32 v7, v9
	v_pk_add_f32 v[12:13], v[10:11], v[6:7] neg_lo:[0,1] neg_hi:[0,1]
	v_pk_add_f32 v[6:7], v[10:11], v[6:7]
	v_mov_b32_e32 v4, v5
	v_pk_add_f32 v[10:11], v[6:7], v[2:3] op_sel:[1,0] op_sel_hi:[0,1] neg_lo:[0,1] neg_hi:[0,1]
	v_pk_add_f32 v[14:15], v[8:9], v[10:11] op_sel_hi:[1,0] neg_lo:[0,1] neg_hi:[0,1]
	v_mov_b32_e32 v8, v9
	v_mov_b32_e32 v9, v7
	;; [unrolled: 1-line block ×3, first 2 shown]
	v_pk_add_f32 v[8:9], v[8:9], v[16:17] neg_lo:[0,1] neg_hi:[0,1]
	v_mov_b32_e32 v5, v2
	v_pk_add_f32 v[2:3], v[4:5], v[8:9] neg_lo:[0,1] neg_hi:[0,1]
	v_mov_b32_e32 v14, v12
	v_pk_add_f32 v[4:5], v[14:15], v[2:3]
	v_mov_b32_e32 v13, v7
	v_pk_add_f32 v[8:9], v[4:5], v[4:5] op_sel:[0,1] op_sel_hi:[1,0]
	s_mov_b32 s36, 0x7f800000
	v_pk_add_f32 v[6:7], v[6:7], v[8:9] op_sel:[1,0] op_sel_hi:[0,1]
	v_mov_b32_e32 v5, v6
	v_pk_add_f32 v[10:11], v[4:5], v[12:13] neg_lo:[0,1] neg_hi:[0,1]
	v_mov_b32_e32 v3, v8
	v_sub_f32_e32 v4, v4, v10
	v_pk_add_f32 v[2:3], v[2:3], v[10:11] neg_lo:[0,1] neg_hi:[0,1]
	v_sub_f32_e32 v4, v12, v4
	v_add_f32_e32 v2, v2, v4
	v_add_f32_e32 v2, v2, v3
	;; [unrolled: 1-line block ×3, first 2 shown]
	v_sub_f32_e32 v4, v3, v6
	v_sub_f32_e32 v2, v2, v4
	v_mul_f32_e32 v4, v1, v3
	v_fma_f32 v3, v1, v3, -v4
	v_fmac_f32_e32 v3, v1, v2
	v_add_f32_e32 v2, v4, v3
	v_cmp_class_f32_e64 vcc, v4, s34
	v_sub_f32_e32 v5, v2, v4
	v_sub_f32_e32 v3, v3, v5
	v_cndmask_b32_e32 v2, v2, v4, vcc
	v_cmp_eq_f32_e32 vcc, s73, v2
	s_nop 1
	v_cndmask_b32_e32 v4, 0, v213, vcc
	v_sub_f32_e32 v5, v2, v4
	v_mul_f32_e32 v6, 0x3fb8aa3b, v5
	v_fma_f32 v7, v5, s97, -v6
	v_rndne_f32_e32 v8, v6
	v_fmac_f32_e32 v7, 0x32a5705f, v5
	v_sub_f32_e32 v6, v6, v8
	v_add_f32_e32 v6, v6, v7
	v_exp_f32_e32 v6, v6
	v_cvt_i32_f32_e32 v7, v8
	v_cmp_neq_f32_e64 vcc, |v2|, s36
	s_nop 1
	v_cndmask_b32_e32 v2, 0, v3, vcc
	v_ldexp_f32 v3, v6, v7
	v_cmp_ngt_f32_e32 vcc, s80, v5
	v_add_f32_e32 v2, v4, v2
	s_nop 0
	v_cndmask_b32_e32 v3, 0, v3, vcc
	v_cmp_nlt_f32_e32 vcc, s73, v5
	s_nop 1
	v_cndmask_b32_e32 v3, v214, v3, vcc
	v_fma_f32 v2, v3, v2, v3
	v_cmp_class_f32_e64 vcc, v3, s34
	s_nop 1
	v_cndmask_b32_e32 v2, v2, v3, vcc
	v_trunc_f32_e32 v3, v1
	v_cmp_eq_f32_e32 vcc, v3, v1
	v_mul_f32_e32 v3, 0.5, v1
	v_trunc_f32_e32 v4, v3
	v_cmp_neq_f32_e64 s[36:37], v4, v3
	s_and_b64 s[36:37], vcc, s[36:37]
	s_nop 0
	v_cndmask_b32_e64 v3, 1.0, v18, s[36:37]
	v_bfi_b32 v2, s78, v2, v3
	v_cndmask_b32_e32 v3, v215, v2, vcc
	v_cmp_gt_f32_e32 vcc, 0, v18
	s_nop 1
	v_cndmask_b32_e32 v2, v2, v3, vcc
	v_cmp_eq_f32_e32 vcc, 0, v18
	s_xor_b64 s[38:39], s[38:39], vcc
	v_cndmask_b32_e64 v1, v214, 0, s[38:39]
	v_cndmask_b32_e64 v3, 0, v18, s[36:37]
	v_bfi_b32 v1, s78, v1, v3
	s_or_b64 vcc, vcc, s[44:45]
	v_cndmask_b32_e32 v1, v2, v1, vcc
	v_cmp_o_f32_e32 vcc, v18, v18
	s_nop 1
	v_cndmask_b32_e32 v90, v215, v1, vcc
.LBB25_18:                              ;   in Loop: Header=BB25_14 Depth=1
	v_readlane_b32 s34, v243, 3
	s_mul_i32 s8, s8, s34
	s_sub_i32 s3, s3, s8
	s_ashr_i32 s8, s3, 31
	s_abs_i32 s3, s3
	s_mul_hi_u32 s36, s3, s50
	s_mul_i32 s37, s36, s33
	v_readlane_b32 s34, v243, 22
	s_sub_i32 s3, s3, s37
	s_xor_b32 s8, s8, s34
	s_add_i32 s37, s36, 1
	s_sub_i32 s38, s3, s33
	s_cmp_ge_u32 s3, s33
	s_cselect_b32 s36, s37, s36
	s_cselect_b32 s3, s38, s3
	s_add_i32 s37, s36, 1
	s_cmp_ge_u32 s3, s33
	s_cselect_b32 s3, s37, s36
	v_readlane_b32 s36, v243, 51
	s_xor_b32 s3, s3, s8
	v_readlane_b32 s37, v243, 52
	s_andn2_b64 vcc, exec, s[36:37]
	s_sub_i32 s51, s3, s8
	s_cbranch_vccnz .LBB25_20
; %bb.19:                               ;   in Loop: Header=BB25_14 Depth=1
	v_readlane_b32 s3, v243, 0
	s_mul_i32 s3, s40, s3
	s_add_i32 s36, s51, s3
	s_ashr_i32 s37, s36, 31
	v_readlane_b32 s56, v243, 23
	s_lshl_b64 s[36:37], s[36:37], 2
	v_readlane_b32 s66, v243, 33
	v_readlane_b32 s67, v243, 34
	s_add_u32 s36, s66, s36
	s_addc_u32 s37, s67, s37
	global_load_dword v1, v49, s[36:37]
	v_readlane_b32 s57, v243, 24
	v_readlane_b32 s58, v243, 25
	;; [unrolled: 1-line block ×13, first 2 shown]
	s_waitcnt vmcnt(0)
	v_readfirstlane_b32 s3, v1
	s_ashr_i32 s8, s3, 31
	s_lshr_b32 s8, s8, 26
	s_add_i32 s3, s3, s8
	s_ashr_i32 s3, s3, 6
	s_min_i32 s94, s94, s3
	s_branch .LBB25_21
.LBB25_20:                              ;   in Loop: Header=BB25_14 Depth=1
	v_readlane_b32 s56, v243, 23
	v_readlane_b32 s57, v243, 24
	;; [unrolled: 1-line block ×16, first 2 shown]
.LBB25_21:                              ;   in Loop: Header=BB25_14 Depth=1
	v_readlane_b32 s3, v243, 42
	s_mul_i32 s3, s3, s40
	s_add_i32 s3, s2, s3
	s_lshl_b32 s8, s3, 6
	s_lshl_b64 s[36:37], s[8:9], 3
	s_add_u32 s36, s68, s36
	s_addc_u32 s37, s69, s37
	v_writelane_b32 v242, s36, 19
	s_nop 1
	v_writelane_b32 v242, s37, 20
	v_readlane_b32 s36, v243, 12
	v_readlane_b32 s37, v243, 13
	s_mul_i32 s3, s36, s41
	s_mul_hi_u32 s8, s36, s40
	s_add_i32 s3, s8, s3
	s_mul_i32 s8, s37, s40
	s_mul_i32 s63, s36, s40
	v_readlane_b32 s36, v243, 18
	s_add_i32 s62, s3, s8
	v_readlane_b32 s39, v243, 21
	s_add_u32 s3, s60, s63
	s_mul_i32 s60, s43, s39
	s_addc_u32 s8, s61, s62
	s_ashr_i32 s61, s60, 31
	s_add_u32 s93, s3, s60
	v_readlane_b32 s37, v243, 19
	s_addc_u32 s76, s8, s61
	s_ashr_i32 s3, s2, 31
	s_mov_b64 s[44:45], s[36:37]
	s_lshl_b64 s[36:37], s[2:3], 2
	s_add_u32 s3, s64, s36
	s_addc_u32 s8, s65, s37
	v_readlane_b32 s36, v243, 43
	v_readlane_b32 s37, v243, 44
	s_and_b64 s[36:37], s[36:37], exec
	v_readlane_b32 s36, v243, 8
	v_readlane_b32 s37, v243, 9
	s_cselect_b32 s48, 0, s3
	s_mul_i32 s3, s40, s37
	s_cselect_b32 s49, 0, s8
	s_ashr_i32 s8, s3, 31
	s_add_u32 s3, s56, s3
	s_mul_i32 s2, s2, s36
	s_addc_u32 s8, s57, s8
	s_ashr_i32 s36, s2, 31
	s_add_u32 s2, s3, s2
	v_readlane_b32 s38, v243, 20
	s_addc_u32 s3, s8, s36
	s_mul_i32 s8, s44, s41
	s_mul_hi_u32 s36, s44, s40
	s_add_i32 s8, s36, s8
	s_mul_i32 s36, s45, s40
	v_readlane_b32 s38, v243, 16
	s_add_i32 s64, s8, s36
	s_mul_i32 s65, s44, s40
	v_readlane_b32 s39, v243, 17
	s_add_u32 s8, s58, s65
	s_mul_i32 s58, s43, s39
	s_addc_u32 s36, s59, s64
	s_ashr_i32 s59, s58, 31
	s_add_u32 s77, s8, s58
	s_addc_u32 s79, s36, s59
	s_cmp_lg_u32 s42, 0
	s_cbranch_scc0 .LBB25_99
; %bb.22:                               ;   in Loop: Header=BB25_14 Depth=1
	s_lshl_b32 s8, s51, 5
	v_add_u32_e32 v117, s8, v130
	v_cmp_le_i32_e32 vcc, s72, v117
	s_and_saveexec_b64 s[36:37], vcc
	s_xor_b64 s[36:37], exec, s[36:37]
; %bb.23:                               ;   in Loop: Header=BB25_14 Depth=1
	v_add_u32_e32 v1, v140, v205
	ds_write_b32 v1, v49
; %bb.24:                               ;   in Loop: Header=BB25_14 Depth=1
	s_andn2_saveexec_b64 s[36:37], s[36:37]
	s_cbranch_execz .LBB25_26
; %bb.25:                               ;   in Loop: Header=BB25_14 Depth=1
	v_mad_u64_u32 v[2:3], s[38:39], v117, s83, v[46:47]
	v_ashrrev_i32_e32 v3, 31, v2
	v_lshl_add_u64 v[2:3], v[2:3], 3, s[2:3]
	global_load_dwordx2 v[2:3], v[2:3], off
	s_waitcnt vmcnt(0)
	v_cvt_pk_f16_f32 v1, v2, v3
	v_pk_mul_f16 v1, v1, v191
	v_add_u32_e32 v2, v140, v205
	ds_write_b32 v2, v1
.LBB25_26:                              ;   in Loop: Header=BB25_14 Depth=1
	s_or_b64 exec, exec, s[36:37]
	v_add_u32_e32 v119, s8, v138
	v_cmp_le_i32_e32 vcc, s72, v119
	s_and_saveexec_b64 s[36:37], vcc
	s_xor_b64 s[36:37], exec, s[36:37]
; %bb.27:                               ;   in Loop: Header=BB25_14 Depth=1
	v_add_u32_e32 v1, v140, v205
	ds_write_b32 v1, v49 offset:1088
; %bb.28:                               ;   in Loop: Header=BB25_14 Depth=1
	s_andn2_saveexec_b64 s[36:37], s[36:37]
	s_cbranch_execz .LBB25_30
; %bb.29:                               ;   in Loop: Header=BB25_14 Depth=1
	v_mad_u64_u32 v[2:3], s[38:39], v119, s83, v[46:47]
	v_ashrrev_i32_e32 v3, 31, v2
	v_lshl_add_u64 v[2:3], v[2:3], 3, s[2:3]
	global_load_dwordx2 v[2:3], v[2:3], off
	s_waitcnt vmcnt(0)
	v_cvt_pk_f16_f32 v1, v2, v3
	v_pk_mul_f16 v1, v1, v191
	v_add_u32_e32 v2, v140, v205
	ds_write_b32 v2, v1 offset:1088
.LBB25_30:                              ;   in Loop: Header=BB25_14 Depth=1
	s_or_b64 exec, exec, s[36:37]
	v_add_u32_e32 v121, s8, v137
	v_cmp_le_i32_e32 vcc, s72, v121
	s_and_saveexec_b64 s[36:37], vcc
	s_xor_b64 s[36:37], exec, s[36:37]
; %bb.31:                               ;   in Loop: Header=BB25_14 Depth=1
	v_add_u32_e32 v1, v140, v205
	ds_write_b32 v1, v49 offset:2176
; %bb.32:                               ;   in Loop: Header=BB25_14 Depth=1
	s_andn2_saveexec_b64 s[36:37], s[36:37]
	s_cbranch_execz .LBB25_34
; %bb.33:                               ;   in Loop: Header=BB25_14 Depth=1
	v_mad_u64_u32 v[2:3], s[38:39], v121, s83, v[46:47]
	v_ashrrev_i32_e32 v3, 31, v2
	v_lshl_add_u64 v[2:3], v[2:3], 3, s[2:3]
	global_load_dwordx2 v[2:3], v[2:3], off
	s_waitcnt vmcnt(0)
	v_cvt_pk_f16_f32 v1, v2, v3
	v_pk_mul_f16 v1, v1, v191
	v_add_u32_e32 v2, v140, v205
	ds_write_b32 v2, v1 offset:2176
.LBB25_34:                              ;   in Loop: Header=BB25_14 Depth=1
	;; [unrolled: 22-line block ×7, first 2 shown]
	s_or_b64 exec, exec, s[36:37]
	s_waitcnt lgkmcnt(0)
	s_barrier
	ds_read2_b64 v[14:17], v163 offset1:4
	ds_read2_b64 v[10:13], v163 offset0:8 offset1:12
	ds_read2_b64 v[6:9], v163 offset0:16 offset1:20
	;; [unrolled: 1-line block ×3, first 2 shown]
	s_add_i32 s43, s94, -1
	s_cmp_ge_i32 s42, s43
	s_waitcnt lgkmcnt(0)
	s_barrier
	s_cbranch_scc1 .LBB25_100
; %bb.55:                               ;   in Loop: Header=BB25_14 Depth=1
	v_mul_hi_u32 v1, s90, v117
	v_add_u32_e32 v1, v117, v1
	v_lshrrev_b32_e32 v1, s91, v1
	v_mul_lo_u32 v1, v1, s72
	v_readlane_b32 s38, v242, 12
	v_sub_u32_e32 v1, v117, v1
	v_readlane_b32 s39, v242, 13
	s_mov_b32 s40, s38
	v_mad_i64_i32 v[94:95], s[38:39], v1, s40, 0
	v_mul_hi_u32 v1, s90, v119
	v_add_u32_e32 v1, v119, v1
	v_lshrrev_b32_e32 v1, s91, v1
	v_mul_lo_u32 v1, v1, s72
	v_sub_u32_e32 v1, v119, v1
	v_mad_i64_i32 v[96:97], s[38:39], v1, s40, 0
	v_mul_hi_u32 v1, s90, v121
	v_add_u32_e32 v1, v121, v1
	v_lshrrev_b32_e32 v1, s91, v1
	v_mul_lo_u32 v1, v1, s72
	v_sub_u32_e32 v1, v121, v1
	;; [unrolled: 6-line block ×7, first 2 shown]
	v_mad_i64_i32 v[108:109], s[38:39], v1, s40, 0
	v_and_b32_e32 v1, 64, v216
	v_add_u32_e32 v1, 64, v1
	v_xor_b32_e32 v18, 32, v216
	v_cmp_lt_i32_e32 vcc, v18, v1
	s_cmp_lg_u64 s[6:7], 0
	v_lshlrev_b32_e32 v48, 1, v46
	v_cndmask_b32_e32 v18, v216, v18, vcc
	v_lshlrev_b32_e32 v125, 2, v18
	v_xor_b32_e32 v18, 16, v216
	v_cmp_lt_i32_e32 vcc, v18, v1
	s_cselect_b64 s[36:37], -1, 0
	v_lshl_add_u64 v[92:93], s[6:7], 0, v[48:49]
	v_cndmask_b32_e32 v1, v216, v18, vcc
	v_lshlrev_b32_e32 v126, 2, v1
	v_mov_b32_e32 v110, v90
	v_mov_b32_e32 v111, v90
	s_lshl_b32 s38, s42, 6
	v_mov_b32_e32 v113, 0
	v_mov_b32_e32 v221, 0xfeffffff
	;; [unrolled: 1-line block ×18, first 2 shown]
	s_andn2_b64 vcc, exec, s[36:37]
	s_ashr_i32 s39, s38, 31
	s_cbranch_vccnz .LBB25_61
.LBB25_56:                              ;   in Loop: Header=BB25_14 Depth=1
	s_and_saveexec_b64 s[40:41], s[0:1]
	s_xor_b64 s[40:41], exec, s[40:41]
	s_cbranch_execz .LBB25_58
; %bb.57:                               ;   in Loop: Header=BB25_14 Depth=1
	ds_write_b16 v142, v49 offset:17408
	ds_write_b16 v192, v49 offset:17408
	;; [unrolled: 1-line block ×4, first 2 shown]
.LBB25_58:                              ;   in Loop: Header=BB25_14 Depth=1
	s_or_saveexec_b64 s[40:41], s[40:41]
	v_mov_b32_e32 v1, 0
	v_mov_b32_e32 v18, 0
	;; [unrolled: 1-line block ×4, first 2 shown]
	s_xor_b64 exec, exec, s[40:41]
	s_cbranch_execz .LBB25_60
; %bb.59:                               ;   in Loop: Header=BB25_14 Depth=1
	v_lshl_add_u64 v[20:21], s[38:39], 1, v[92:93]
	v_lshl_add_u64 v[18:19], v[94:95], 1, v[20:21]
	global_load_ushort v1, v[18:19], off
	v_lshl_add_u64 v[18:19], v[96:97], 1, v[20:21]
	global_load_ushort v22, v[18:19], off
	;; [unrolled: 2-line block ×4, first 2 shown]
	s_waitcnt vmcnt(3)
	ds_write_b16 v142, v1 offset:17408
	s_waitcnt vmcnt(2)
	ds_write_b16 v192, v22 offset:17408
	;; [unrolled: 2-line block ×4, first 2 shown]
	v_lshl_add_u64 v[18:19], v[102:103], 1, v[20:21]
	global_load_ushort v1, v[18:19], off
	v_lshl_add_u64 v[18:19], v[104:105], 1, v[20:21]
	v_lshl_add_u64 v[22:23], v[106:107], 1, v[20:21]
	;; [unrolled: 1-line block ×3, first 2 shown]
	global_load_ushort v18, v[18:19], off
	s_nop 0
	global_load_ushort v20, v[20:21], off
	s_nop 0
	global_load_ushort v19, v[22:23], off
.LBB25_60:                              ;   in Loop: Header=BB25_14 Depth=1
	s_or_b64 exec, exec, s[40:41]
	s_waitcnt vmcnt(3)
	ds_write_b16 v195, v1 offset:17408
	s_waitcnt vmcnt(2)
	ds_write_b16 v196, v18 offset:17408
	;; [unrolled: 2-line block ×3, first 2 shown]
	ds_write_b16 v198, v20 offset:17408
.LBB25_61:                              ;   Parent Loop BB25_14 Depth=1
                                        ; =>  This Inner Loop Header: Depth=2
	s_mul_hi_i32 s41, s38, s88
	s_mul_i32 s40, s38, s88
	s_lshl_b64 s[40:41], s[40:41], 2
	s_add_u32 s40, s77, s40
	s_addc_u32 s41, s79, s41
	v_lshlrev_b32_e32 v48, 2, v52
	v_lshl_add_u64 v[20:21], v[56:57], 2, s[40:41]
	v_mov_b32_e32 v1, s81
	v_lshl_add_u64 v[20:21], v[20:21], 0, v[48:49]
	v_cndmask_b32_e64 v23, v1, v21, s[4:5]
	v_cndmask_b32_e64 v22, v217, v20, s[4:5]
	v_lshl_add_u64 v[20:21], v[58:59], 2, s[40:41]
	v_lshl_add_u64 v[18:19], v[54:55], 2, s[40:41]
	;; [unrolled: 1-line block ×4, first 2 shown]
	v_cndmask_b32_e64 v25, v1, v21, s[10:11]
	v_cndmask_b32_e64 v24, v217, v20, s[10:11]
	v_lshl_add_u64 v[20:21], v[60:61], 2, s[40:41]
	v_cndmask_b32_e64 v19, v1, v19, s[54:55]
	v_cndmask_b32_e64 v18, v217, v18, s[54:55]
	v_lshl_add_u64 v[20:21], v[20:21], 0, v[48:49]
	scratch_store_dwordx4 off, v[236:239], off
	v_cndmask_b32_e64 v27, v1, v21, s[12:13]
	v_cndmask_b32_e64 v26, v217, v20, s[12:13]
	flat_load_dwordx4 v[18:21], v[18:19]
	v_add_u32_e32 v1, v141, v164
	s_waitcnt vmcnt(0) lgkmcnt(0)
	ds_write_b128 v144, v[18:21]
	flat_load_dwordx4 v[18:21], v[22:23]
	s_waitcnt vmcnt(0) lgkmcnt(0)
	ds_write_b128 v200, v[18:21]
	flat_load_dwordx4 v[18:21], v[24:25]
	;; [unrolled: 3-line block ×3, first 2 shown]
	s_waitcnt vmcnt(0) lgkmcnt(0)
	ds_write_b128 v204, v[18:21]
	s_waitcnt lgkmcnt(0)
	s_barrier
	ds_read2_b64 v[18:21], v1 offset1:4
	s_waitcnt lgkmcnt(0)
	v_mfma_f32_16x16x16_f16 v[22:25], v[18:19], v[14:15], 0
	v_mfma_f32_16x16x16_f16 v[18:21], v[20:21], v[16:17], v[22:25]
	s_nop 6
	ds_read2_b64 v[22:25], v1 offset0:8 offset1:12
	s_waitcnt lgkmcnt(0)
	v_mfma_f32_16x16x16_f16 v[18:21], v[22:23], v[10:11], v[18:21]
	v_mfma_f32_16x16x16_f16 v[18:21], v[24:25], v[12:13], v[18:21]
	ds_read2_b64 v[22:25], v1 offset0:16 offset1:20
	s_waitcnt lgkmcnt(0)
	v_mfma_f32_16x16x16_f16 v[18:21], v[22:23], v[6:7], v[18:21]
	v_mfma_f32_16x16x16_f16 v[18:21], v[24:25], v[8:9], v[18:21]
	ds_read2_b64 v[22:25], v1 offset0:24 offset1:28
	v_add_u32_e32 v1, 0x2000, v1
	s_waitcnt lgkmcnt(0)
	v_mfma_f32_16x16x16_f16 v[18:21], v[22:23], v[2:3], v[18:21]
	v_mfma_f32_16x16x16_f16 v[18:21], v[24:25], v[4:5], v[18:21]
	ds_read2_b64 v[22:25], v1 offset0:64 offset1:68
	s_waitcnt lgkmcnt(0)
	v_mfma_f32_16x16x16_f16 v[26:29], v[22:23], v[14:15], 0
	s_nop 4
	v_cmp_nlt_f32_e64 s[40:41], |v18|, s96
	v_mfma_f32_16x16x16_f16 v[22:25], v[24:25], v[16:17], v[26:29]
	s_nop 2
	ds_read2_b64 v[26:29], v1 offset0:72 offset1:76
	s_waitcnt lgkmcnt(0)
	v_mfma_f32_16x16x16_f16 v[22:25], v[26:27], v[10:11], v[22:25]
	v_mfma_f32_16x16x16_f16 v[22:25], v[28:29], v[12:13], v[22:25]
	ds_read2_b64 v[26:29], v1 offset0:80 offset1:84
	s_waitcnt lgkmcnt(0)
	v_mfma_f32_16x16x16_f16 v[22:25], v[26:27], v[6:7], v[22:25]
	v_mfma_f32_16x16x16_f16 v[22:25], v[28:29], v[8:9], v[22:25]
	ds_read2_b64 v[26:29], v1 offset0:88 offset1:92
	s_waitcnt lgkmcnt(0)
	s_barrier
	v_mfma_f32_16x16x16_f16 v[22:25], v[26:27], v[2:3], v[22:25]
                                        ; implicit-def: $vgpr1
	v_mfma_f32_16x16x16_f16 v[22:25], v[28:29], v[4:5], v[22:25]
	s_and_saveexec_b64 s[44:45], s[40:41]
	s_xor_b64 s[40:41], exec, s[44:45]
	s_cbranch_execz .LBB25_63
; %bb.62:                               ;   in Loop: Header=BB25_61 Depth=2
	v_add_f32_e64 v1, |v18|, |v18|
	v_mul_f32_e32 v26, 0x3fb8aa3b, v1
	v_rndne_f32_e32 v27, v26
	v_sub_f32_e32 v28, v26, v27
	v_fma_f32 v26, v1, s97, -v26
	v_fmac_f32_e32 v26, 0x32a5705f, v1
	v_add_f32_e32 v26, v28, v26
	v_cvt_i32_f32_e32 v27, v27
	v_exp_f32_e32 v26, v26
	v_cmp_ngt_f32_e32 vcc, s80, v1
	v_ldexp_f32 v26, v26, v27
	s_nop 0
	v_cndmask_b32_e32 v26, 0, v26, vcc
	v_cmp_nlt_f32_e32 vcc, s73, v1
	s_nop 1
	v_cndmask_b32_e32 v1, v214, v26, vcc
	v_add_f32_e32 v1, 1.0, v1
	v_rcp_f32_e32 v1, v1
	s_nop 0
	v_fma_f32 v1, v1, -2.0, 1.0
.LBB25_63:                              ;   in Loop: Header=BB25_61 Depth=2
	s_andn2_saveexec_b64 s[40:41], s[40:41]
; %bb.64:                               ;   in Loop: Header=BB25_61 Depth=2
	v_mul_f32_e32 v1, v18, v18
	v_fmamk_f32 v26, v1, 0xbbbac73d, v212
	v_fmaak_f32 v26, v1, v26, 0xbd5c1c4e
	v_fmaak_f32 v26, v1, v26, 0x3e088382
	;; [unrolled: 1-line block ×3, first 2 shown]
	v_mul_f32_e64 v26, |v18|, v26
	v_fma_f32 v1, v1, v26, |v18|
; %bb.65:                               ;   in Loop: Header=BB25_61 Depth=2
	s_or_b64 exec, exec, s[40:41]
	v_cmp_nlt_f32_e64 s[40:41], |v19|, s96
                                        ; implicit-def: $vgpr26
	s_and_saveexec_b64 s[44:45], s[40:41]
	s_xor_b64 s[40:41], exec, s[44:45]
	s_cbranch_execz .LBB25_67
; %bb.66:                               ;   in Loop: Header=BB25_61 Depth=2
	v_add_f32_e64 v26, |v19|, |v19|
	v_mul_f32_e32 v27, 0x3fb8aa3b, v26
	v_rndne_f32_e32 v28, v27
	v_sub_f32_e32 v29, v27, v28
	v_fma_f32 v27, v26, s97, -v27
	v_fmac_f32_e32 v27, 0x32a5705f, v26
	v_add_f32_e32 v27, v29, v27
	v_cvt_i32_f32_e32 v28, v28
	v_exp_f32_e32 v27, v27
	v_cmp_ngt_f32_e32 vcc, s80, v26
	v_ldexp_f32 v27, v27, v28
	s_nop 0
	v_cndmask_b32_e32 v27, 0, v27, vcc
	v_cmp_nlt_f32_e32 vcc, s73, v26
	s_nop 1
	v_cndmask_b32_e32 v26, v214, v27, vcc
	v_add_f32_e32 v26, 1.0, v26
	v_rcp_f32_e32 v26, v26
	s_nop 0
	v_fma_f32 v26, v26, -2.0, 1.0
.LBB25_67:                              ;   in Loop: Header=BB25_61 Depth=2
	s_andn2_saveexec_b64 s[40:41], s[40:41]
; %bb.68:                               ;   in Loop: Header=BB25_61 Depth=2
	v_mul_f32_e32 v26, v19, v19
	v_fmamk_f32 v27, v26, 0xbbbac73d, v212
	v_fmaak_f32 v27, v26, v27, 0xbd5c1c4e
	v_fmaak_f32 v27, v26, v27, 0x3e088382
	;; [unrolled: 1-line block ×3, first 2 shown]
	v_mul_f32_e64 v27, |v19|, v27
	v_fma_f32 v26, v26, v27, |v19|
; %bb.69:                               ;   in Loop: Header=BB25_61 Depth=2
	s_or_b64 exec, exec, s[40:41]
	v_cmp_nlt_f32_e64 s[40:41], |v20|, s96
                                        ; implicit-def: $vgpr27
	s_and_saveexec_b64 s[44:45], s[40:41]
	s_xor_b64 s[40:41], exec, s[44:45]
	s_cbranch_execz .LBB25_71
; %bb.70:                               ;   in Loop: Header=BB25_61 Depth=2
	v_add_f32_e64 v27, |v20|, |v20|
	v_mul_f32_e32 v28, 0x3fb8aa3b, v27
	v_rndne_f32_e32 v29, v28
	v_sub_f32_e32 v30, v28, v29
	v_fma_f32 v28, v27, s97, -v28
	v_fmac_f32_e32 v28, 0x32a5705f, v27
	v_add_f32_e32 v28, v30, v28
	v_cvt_i32_f32_e32 v29, v29
	v_exp_f32_e32 v28, v28
	v_cmp_ngt_f32_e32 vcc, s80, v27
	v_ldexp_f32 v28, v28, v29
	s_nop 0
	v_cndmask_b32_e32 v28, 0, v28, vcc
	v_cmp_nlt_f32_e32 vcc, s73, v27
	s_nop 1
	v_cndmask_b32_e32 v27, v214, v28, vcc
	v_add_f32_e32 v27, 1.0, v27
	v_rcp_f32_e32 v27, v27
	s_nop 0
	v_fma_f32 v27, v27, -2.0, 1.0
.LBB25_71:                              ;   in Loop: Header=BB25_61 Depth=2
	s_andn2_saveexec_b64 s[40:41], s[40:41]
; %bb.72:                               ;   in Loop: Header=BB25_61 Depth=2
	v_mul_f32_e32 v27, v20, v20
	v_fmamk_f32 v28, v27, 0xbbbac73d, v212
	v_fmaak_f32 v28, v27, v28, 0xbd5c1c4e
	v_fmaak_f32 v28, v27, v28, 0x3e088382
	;; [unrolled: 1-line block ×3, first 2 shown]
	v_mul_f32_e64 v28, |v20|, v28
	v_fma_f32 v27, v27, v28, |v20|
; %bb.73:                               ;   in Loop: Header=BB25_61 Depth=2
	s_or_b64 exec, exec, s[40:41]
	v_cmp_nlt_f32_e64 s[40:41], |v21|, s96
                                        ; implicit-def: $vgpr28
	s_and_saveexec_b64 s[44:45], s[40:41]
	s_xor_b64 s[40:41], exec, s[44:45]
	s_cbranch_execz .LBB25_75
; %bb.74:                               ;   in Loop: Header=BB25_61 Depth=2
	v_add_f32_e64 v28, |v21|, |v21|
	v_mul_f32_e32 v29, 0x3fb8aa3b, v28
	v_rndne_f32_e32 v30, v29
	v_sub_f32_e32 v31, v29, v30
	v_fma_f32 v29, v28, s97, -v29
	v_fmac_f32_e32 v29, 0x32a5705f, v28
	v_add_f32_e32 v29, v31, v29
	v_cvt_i32_f32_e32 v30, v30
	v_exp_f32_e32 v29, v29
	v_cmp_ngt_f32_e32 vcc, s80, v28
	v_ldexp_f32 v29, v29, v30
	s_nop 0
	v_cndmask_b32_e32 v29, 0, v29, vcc
	v_cmp_nlt_f32_e32 vcc, s73, v28
	s_nop 1
	v_cndmask_b32_e32 v28, v214, v29, vcc
	v_add_f32_e32 v28, 1.0, v28
	v_rcp_f32_e32 v28, v28
	s_nop 0
	v_fma_f32 v28, v28, -2.0, 1.0
.LBB25_75:                              ;   in Loop: Header=BB25_61 Depth=2
	s_andn2_saveexec_b64 s[40:41], s[40:41]
; %bb.76:                               ;   in Loop: Header=BB25_61 Depth=2
	v_mul_f32_e32 v28, v21, v21
	v_fmamk_f32 v29, v28, 0xbbbac73d, v212
	v_fmaak_f32 v29, v28, v29, 0xbd5c1c4e
	v_fmaak_f32 v29, v28, v29, 0x3e088382
	;; [unrolled: 1-line block ×3, first 2 shown]
	v_mul_f32_e64 v29, |v21|, v29
	v_fma_f32 v28, v28, v29, |v21|
; %bb.77:                               ;   in Loop: Header=BB25_61 Depth=2
	s_or_b64 exec, exec, s[40:41]
	v_cmp_nlt_f32_e64 s[40:41], |v22|, s96
                                        ; implicit-def: $vgpr29
	s_and_saveexec_b64 s[44:45], s[40:41]
	s_xor_b64 s[40:41], exec, s[44:45]
	s_cbranch_execz .LBB25_79
; %bb.78:                               ;   in Loop: Header=BB25_61 Depth=2
	v_add_f32_e64 v29, |v22|, |v22|
	v_mul_f32_e32 v30, 0x3fb8aa3b, v29
	v_rndne_f32_e32 v31, v30
	v_sub_f32_e32 v32, v30, v31
	v_fma_f32 v30, v29, s97, -v30
	v_fmac_f32_e32 v30, 0x32a5705f, v29
	v_add_f32_e32 v30, v32, v30
	v_cvt_i32_f32_e32 v31, v31
	v_exp_f32_e32 v30, v30
	v_cmp_ngt_f32_e32 vcc, s80, v29
	v_ldexp_f32 v30, v30, v31
	s_nop 0
	v_cndmask_b32_e32 v30, 0, v30, vcc
	v_cmp_nlt_f32_e32 vcc, s73, v29
	s_nop 1
	v_cndmask_b32_e32 v29, v214, v30, vcc
	v_add_f32_e32 v29, 1.0, v29
	v_rcp_f32_e32 v29, v29
	s_nop 0
	v_fma_f32 v29, v29, -2.0, 1.0
.LBB25_79:                              ;   in Loop: Header=BB25_61 Depth=2
	s_andn2_saveexec_b64 s[40:41], s[40:41]
; %bb.80:                               ;   in Loop: Header=BB25_61 Depth=2
	v_mul_f32_e32 v29, v22, v22
	v_fmamk_f32 v30, v29, 0xbbbac73d, v212
	v_fmaak_f32 v30, v29, v30, 0xbd5c1c4e
	v_fmaak_f32 v30, v29, v30, 0x3e088382
	;; [unrolled: 1-line block ×3, first 2 shown]
	v_mul_f32_e64 v30, |v22|, v30
	v_fma_f32 v29, v29, v30, |v22|
; %bb.81:                               ;   in Loop: Header=BB25_61 Depth=2
	s_or_b64 exec, exec, s[40:41]
	v_cmp_nlt_f32_e64 s[40:41], |v23|, s96
                                        ; implicit-def: $vgpr31
	s_and_saveexec_b64 s[44:45], s[40:41]
	s_xor_b64 s[40:41], exec, s[44:45]
	s_cbranch_execz .LBB25_83
; %bb.82:                               ;   in Loop: Header=BB25_61 Depth=2
	v_add_f32_e64 v30, |v23|, |v23|
	v_mul_f32_e32 v31, 0x3fb8aa3b, v30
	v_rndne_f32_e32 v32, v31
	v_sub_f32_e32 v33, v31, v32
	v_fma_f32 v31, v30, s97, -v31
	v_fmac_f32_e32 v31, 0x32a5705f, v30
	v_add_f32_e32 v31, v33, v31
	v_cvt_i32_f32_e32 v32, v32
	v_exp_f32_e32 v31, v31
	v_cmp_ngt_f32_e32 vcc, s80, v30
	v_ldexp_f32 v31, v31, v32
	s_nop 0
	v_cndmask_b32_e32 v31, 0, v31, vcc
	v_cmp_nlt_f32_e32 vcc, s73, v30
	s_nop 1
	v_cndmask_b32_e32 v30, v214, v31, vcc
	v_add_f32_e32 v30, 1.0, v30
	v_rcp_f32_e32 v30, v30
	s_nop 0
	v_fma_f32 v31, v30, -2.0, 1.0
.LBB25_83:                              ;   in Loop: Header=BB25_61 Depth=2
	s_andn2_saveexec_b64 s[40:41], s[40:41]
; %bb.84:                               ;   in Loop: Header=BB25_61 Depth=2
	v_mul_f32_e32 v30, v23, v23
	v_fmamk_f32 v31, v30, 0xbbbac73d, v212
	v_fmaak_f32 v31, v30, v31, 0xbd5c1c4e
	v_fmaak_f32 v31, v30, v31, 0x3e088382
	;; [unrolled: 1-line block ×3, first 2 shown]
	v_mul_f32_e64 v31, |v23|, v31
	v_fma_f32 v31, v30, v31, |v23|
; %bb.85:                               ;   in Loop: Header=BB25_61 Depth=2
	s_or_b64 exec, exec, s[40:41]
	v_cmp_nlt_f32_e64 s[40:41], |v24|, s96
                                        ; implicit-def: $vgpr32
	s_and_saveexec_b64 s[44:45], s[40:41]
	s_xor_b64 s[40:41], exec, s[44:45]
	s_cbranch_execz .LBB25_87
; %bb.86:                               ;   in Loop: Header=BB25_61 Depth=2
	v_add_f32_e64 v30, |v24|, |v24|
	v_mul_f32_e32 v32, 0x3fb8aa3b, v30
	v_rndne_f32_e32 v33, v32
	v_sub_f32_e32 v34, v32, v33
	v_fma_f32 v32, v30, s97, -v32
	v_fmac_f32_e32 v32, 0x32a5705f, v30
	v_add_f32_e32 v32, v34, v32
	v_cvt_i32_f32_e32 v33, v33
	v_exp_f32_e32 v32, v32
	v_cmp_ngt_f32_e32 vcc, s80, v30
	v_ldexp_f32 v32, v32, v33
	s_nop 0
	v_cndmask_b32_e32 v32, 0, v32, vcc
	v_cmp_nlt_f32_e32 vcc, s73, v30
	s_nop 1
	v_cndmask_b32_e32 v30, v214, v32, vcc
	v_add_f32_e32 v30, 1.0, v30
	v_rcp_f32_e32 v30, v30
	s_nop 0
	v_fma_f32 v32, v30, -2.0, 1.0
.LBB25_87:                              ;   in Loop: Header=BB25_61 Depth=2
	s_andn2_saveexec_b64 s[40:41], s[40:41]
; %bb.88:                               ;   in Loop: Header=BB25_61 Depth=2
	v_mul_f32_e32 v30, v24, v24
	v_fmamk_f32 v32, v30, 0xbbbac73d, v212
	v_fmaak_f32 v32, v30, v32, 0xbd5c1c4e
	v_fmaak_f32 v32, v30, v32, 0x3e088382
	;; [unrolled: 1-line block ×3, first 2 shown]
	v_mul_f32_e64 v32, |v24|, v32
	v_fma_f32 v32, v30, v32, |v24|
; %bb.89:                               ;   in Loop: Header=BB25_61 Depth=2
	s_or_b64 exec, exec, s[40:41]
	v_cmp_nlt_f32_e64 s[40:41], |v25|, s96
                                        ; implicit-def: $vgpr33
	s_and_saveexec_b64 s[44:45], s[40:41]
	s_xor_b64 s[40:41], exec, s[44:45]
	s_cbranch_execz .LBB25_91
; %bb.90:                               ;   in Loop: Header=BB25_61 Depth=2
	v_add_f32_e64 v30, |v25|, |v25|
	v_mul_f32_e32 v33, 0x3fb8aa3b, v30
	v_rndne_f32_e32 v34, v33
	v_sub_f32_e32 v35, v33, v34
	v_fma_f32 v33, v30, s97, -v33
	v_fmac_f32_e32 v33, 0x32a5705f, v30
	v_add_f32_e32 v33, v35, v33
	v_cvt_i32_f32_e32 v34, v34
	v_exp_f32_e32 v33, v33
	v_cmp_ngt_f32_e32 vcc, s80, v30
	v_ldexp_f32 v33, v33, v34
	s_nop 0
	v_cndmask_b32_e32 v33, 0, v33, vcc
	v_cmp_nlt_f32_e32 vcc, s73, v30
	s_nop 1
	v_cndmask_b32_e32 v30, v214, v33, vcc
	v_add_f32_e32 v30, 1.0, v30
	v_rcp_f32_e32 v30, v30
	s_nop 0
	v_fma_f32 v33, v30, -2.0, 1.0
.LBB25_91:                              ;   in Loop: Header=BB25_61 Depth=2
	s_andn2_saveexec_b64 s[40:41], s[40:41]
; %bb.92:                               ;   in Loop: Header=BB25_61 Depth=2
	v_mul_f32_e32 v30, v25, v25
	v_fmamk_f32 v33, v30, 0xbbbac73d, v212
	v_fmaak_f32 v33, v30, v33, 0xbd5c1c4e
	v_fmaak_f32 v33, v30, v33, 0x3e088382
	;; [unrolled: 1-line block ×3, first 2 shown]
	v_mul_f32_e64 v33, |v25|, v33
	v_fma_f32 v33, v30, v33, |v25|
; %bb.93:                               ;   in Loop: Header=BB25_61 Depth=2
	s_or_b64 exec, exec, s[40:41]
	v_bfi_b32 v1, s78, v1, v18
	v_mul_f32_e32 v34, s85, v1
	v_bfi_b32 v1, s78, v26, v19
	v_bfi_b32 v22, s78, v29, v22
	v_mul_f32_e32 v35, s85, v1
	v_bfi_b32 v1, s78, v27, v20
	v_mul_f32_e32 v30, s85, v22
	;; [unrolled: 2-line block ×6, first 2 shown]
	v_mul_f32_e32 v33, s85, v1
	s_and_b64 vcc, exec, s[36:37]
	s_cbranch_vccz .LBB25_98
; %bb.94:                               ;   in Loop: Header=BB25_61 Depth=2
	v_add_u32_e32 v1, 0x4400, v166
	ds_read2_b32 v[18:19], v1 offset1:1
	ds_read_b32 v1, v168 offset:17408
	ds_read_b32 v22, v170 offset:17408
	v_mov_b32_e32 v91, v90
	s_waitcnt lgkmcnt(2)
	v_cvt_f32_f16_e32 v20, v18
	v_cvt_f32_f16_sdwa v21, v18 dst_sel:DWORD dst_unused:UNUSED_PAD src0_sel:WORD_1
	v_cvt_f32_f16_e32 v18, v19
	v_cvt_f32_f16_sdwa v19, v19 dst_sel:DWORD dst_unused:UNUSED_PAD src0_sel:WORD_1
	s_waitcnt lgkmcnt(1)
	v_cvt_f32_f16_sdwa v25, v1 dst_sel:DWORD dst_unused:UNUSED_PAD src0_sel:WORD_1
	s_waitcnt lgkmcnt(0)
	v_cvt_f32_f16_sdwa v27, v22 dst_sel:DWORD dst_unused:UNUSED_PAD src0_sel:WORD_1
	v_cvt_f32_f16_e32 v26, v22
	v_cvt_f32_f16_e32 v24, v1
	v_pk_fma_f32 v[22:23], v[90:91], v[18:19], v[36:37]
	v_pk_fma_f32 v[20:21], v[110:111], v[20:21], v[34:35]
	;; [unrolled: 1-line block ×4, first 2 shown]
	s_cbranch_execnz .LBB25_96
.LBB25_95:                              ;   in Loop: Header=BB25_61 Depth=2
	v_mov_b64_e32 v[26:27], v[30:31]
	v_mov_b64_e32 v[20:21], v[34:35]
	;; [unrolled: 1-line block ×4, first 2 shown]
.LBB25_96:                              ;   in Loop: Header=BB25_61 Depth=2
	v_add_f32_e32 v1, 0x40051340, v20
	v_max_f32_e32 v18, v221, v221
	v_max_f32_e32 v1, v18, v1
	v_cndmask_b32_e64 v1, v221, v1, s[14:15]
	v_add_f32_e32 v18, 0x40051340, v21
	v_max_f32_e32 v19, v1, v1
	v_max_f32_e32 v18, v19, v18
	v_cndmask_b32_e64 v1, v1, v18, s[16:17]
	;; [unrolled: 4-line block ×8, first 2 shown]
	ds_bpermute_b32 v18, v125, v1
	v_max_f32_e32 v1, v1, v1
	s_mul_hi_i32 s41, s38, s74
	s_mul_i32 s40, s38, s74
	s_lshl_b64 s[40:41], s[40:41], 2
	s_waitcnt lgkmcnt(0)
	v_max_f32_e32 v18, v18, v18
	v_max_f32_e32 v1, v1, v18
	ds_bpermute_b32 v18, v126, v1
	s_add_u32 s40, s93, s40
	s_addc_u32 s41, s76, s41
	v_lshl_add_u64 v[30:31], v[62:63], 2, s[40:41]
	v_lshl_add_u64 v[30:31], v[30:31], 0, v[48:49]
	s_waitcnt lgkmcnt(0)
	v_max_f32_e32 v18, v18, v18
	v_max_f32_e32 v116, v1, v18
	v_sub_f32_e32 v1, v20, v116
	v_mul_f32_e32 v18, 0x3fb8aa3b, v1
	v_fma_f32 v19, v1, s97, -v18
	v_rndne_f32_e32 v20, v18
	v_fmac_f32_e32 v19, 0x32a5705f, v1
	v_sub_f32_e32 v18, v18, v20
	v_add_f32_e32 v18, v18, v19
	v_exp_f32_e32 v18, v18
	v_cvt_i32_f32_e32 v19, v20
	v_cmp_ngt_f32_e32 vcc, s80, v1
	v_cndmask_b32_e64 v30, v217, v30, s[54:55]
	scratch_store_dwordx4 off, v[236:239], off
	v_ldexp_f32 v18, v18, v19
	v_cndmask_b32_e32 v18, 0, v18, vcc
	v_cmp_nlt_f32_e32 vcc, s73, v1
	s_add_i32 s42, s42, 1
	s_add_i32 s38, s38, 64
	v_cndmask_b32_e32 v1, v214, v18, vcc
	v_cndmask_b32_e64 v20, 0, v1, s[14:15]
	v_sub_f32_e32 v1, v21, v116
	v_mul_f32_e32 v18, 0x3fb8aa3b, v1
	v_fma_f32 v19, v1, s97, -v18
	v_rndne_f32_e32 v21, v18
	v_fmac_f32_e32 v19, 0x32a5705f, v1
	v_sub_f32_e32 v18, v18, v21
	v_add_f32_e32 v18, v18, v19
	v_exp_f32_e32 v18, v18
	v_cvt_i32_f32_e32 v19, v21
	v_cmp_ngt_f32_e32 vcc, s80, v1
	s_cmp_lt_i32 s42, s43
	v_ldexp_f32 v18, v18, v19
	v_cndmask_b32_e32 v18, 0, v18, vcc
	v_cmp_nlt_f32_e32 vcc, s73, v1
	v_mov_b32_e32 v1, s9
	s_nop 0
	v_cndmask_b32_e32 v18, v214, v18, vcc
	v_add_f32_e32 v21, v18, v20
	v_cndmask_b32_e64 v19, v1, v18, s[16:17]
	v_sub_f32_e32 v18, v22, v116
	v_cndmask_b32_e64 v1, v20, v21, s[16:17]
	v_mul_f32_e32 v21, 0x3fb8aa3b, v18
	v_fma_f32 v22, v18, s97, -v21
	v_rndne_f32_e32 v24, v21
	v_fmac_f32_e32 v22, 0x32a5705f, v18
	v_sub_f32_e32 v21, v21, v24
	v_add_f32_e32 v21, v21, v22
	v_exp_f32_e32 v21, v21
	v_cvt_i32_f32_e32 v22, v24
	v_cmp_ngt_f32_e32 vcc, s80, v18
	v_ldexp_f32 v21, v21, v22
	s_nop 0
	v_cndmask_b32_e32 v21, 0, v21, vcc
	v_cmp_nlt_f32_e32 vcc, s73, v18
	v_mov_b32_e32 v18, s9
	s_nop 0
	v_cndmask_b32_e32 v21, v214, v21, vcc
	v_cndmask_b32_e64 v24, v18, v21, s[18:19]
	v_sub_f32_e32 v18, v23, v116
	v_add_f32_e32 v22, v1, v21
	v_mul_f32_e32 v21, 0x3fb8aa3b, v18
	v_cndmask_b32_e64 v1, v1, v22, s[18:19]
	v_fma_f32 v22, v18, s97, -v21
	v_rndne_f32_e32 v23, v21
	v_fmac_f32_e32 v22, 0x32a5705f, v18
	v_sub_f32_e32 v21, v21, v23
	v_add_f32_e32 v21, v21, v22
	v_exp_f32_e32 v21, v21
	v_cvt_i32_f32_e32 v22, v23
	v_cmp_ngt_f32_e32 vcc, s80, v18
	v_ldexp_f32 v21, v21, v22
	s_nop 0
	v_cndmask_b32_e32 v21, 0, v21, vcc
	v_cmp_nlt_f32_e32 vcc, s73, v18
	s_nop 1
	v_cndmask_b32_e32 v18, v214, v21, vcc
	v_mov_b32_e32 v21, s9
	v_add_f32_e32 v22, v1, v18
	v_cndmask_b32_e64 v219, v21, v18, s[20:21]
	v_sub_f32_e32 v18, v26, v116
	v_mul_f32_e32 v21, 0x3fb8aa3b, v18
	v_cndmask_b32_e64 v1, v1, v22, s[20:21]
	v_fma_f32 v22, v18, s97, -v21
	v_rndne_f32_e32 v23, v21
	v_fmac_f32_e32 v22, 0x32a5705f, v18
	v_sub_f32_e32 v21, v21, v23
	v_add_f32_e32 v21, v21, v22
	v_exp_f32_e32 v21, v21
	v_cvt_i32_f32_e32 v22, v23
	v_cmp_ngt_f32_e32 vcc, s80, v18
	v_ldexp_f32 v21, v21, v22
	s_nop 0
	v_cndmask_b32_e32 v21, 0, v21, vcc
	v_cmp_nlt_f32_e32 vcc, s73, v18
	v_mov_b32_e32 v18, s9
	s_nop 0
	v_cndmask_b32_e32 v21, v214, v21, vcc
	v_add_f32_e32 v22, v21, v1
	v_cndmask_b32_e64 v18, v18, v21, s[22:23]
	v_cndmask_b32_e64 v21, v1, v22, s[22:23]
	v_sub_f32_e32 v1, v27, v116
	v_mul_f32_e32 v22, 0x3fb8aa3b, v1
	v_fma_f32 v23, v1, s97, -v22
	v_rndne_f32_e32 v25, v22
	v_fmac_f32_e32 v23, 0x32a5705f, v1
	v_sub_f32_e32 v22, v22, v25
	v_add_f32_e32 v22, v22, v23
	v_exp_f32_e32 v22, v22
	v_cvt_i32_f32_e32 v23, v25
	v_cmp_ngt_f32_e32 vcc, s80, v1
	v_ldexp_f32 v22, v22, v23
	s_nop 0
	v_cndmask_b32_e32 v22, 0, v22, vcc
	v_cmp_nlt_f32_e32 vcc, s73, v1
	v_mov_b32_e32 v1, s9
	s_nop 0
	v_cndmask_b32_e32 v22, v214, v22, vcc
	v_add_f32_e32 v23, v22, v21
	v_cndmask_b32_e64 v1, v1, v22, s[24:25]
	v_sub_f32_e32 v22, v28, v116
	v_cndmask_b32_e64 v21, v21, v23, s[24:25]
	v_mul_f32_e32 v23, 0x3fb8aa3b, v22
	v_fma_f32 v25, v22, s97, -v23
	v_rndne_f32_e32 v26, v23
	v_fmac_f32_e32 v25, 0x32a5705f, v22
	v_sub_f32_e32 v23, v23, v26
	v_add_f32_e32 v23, v23, v25
	v_exp_f32_e32 v23, v23
	v_cvt_i32_f32_e32 v25, v26
	v_cmp_ngt_f32_e32 vcc, s80, v22
	v_ldexp_f32 v23, v23, v25
	s_nop 0
	v_cndmask_b32_e32 v23, 0, v23, vcc
	v_cmp_nlt_f32_e32 vcc, s73, v22
	v_mov_b32_e32 v22, s9
	s_nop 0
	v_cndmask_b32_e32 v23, v214, v23, vcc
	v_add_f32_e32 v25, v23, v21
	v_cndmask_b32_e64 v22, v22, v23, s[26:27]
	v_cndmask_b32_e64 v23, v21, v25, s[26:27]
	v_sub_f32_e32 v21, v29, v116
	v_mul_f32_e32 v25, 0x3fb8aa3b, v21
	v_fma_f32 v26, v21, s97, -v25
	v_rndne_f32_e32 v27, v25
	v_fmac_f32_e32 v26, 0x32a5705f, v21
	v_sub_f32_e32 v25, v25, v27
	v_add_f32_e32 v25, v25, v26
	v_exp_f32_e32 v25, v25
	v_cvt_i32_f32_e32 v26, v27
	v_cmp_ngt_f32_e32 vcc, s80, v21
	v_ldexp_f32 v25, v25, v26
	s_nop 0
	v_cndmask_b32_e32 v25, 0, v25, vcc
	v_cmp_nlt_f32_e32 vcc, s73, v21
	v_mov_b32_e32 v21, s9
	s_nop 0
	v_cndmask_b32_e32 v25, v214, v25, vcc
	v_add_f32_e32 v26, v25, v23
	v_cndmask_b32_e64 v91, v23, v26, s[28:29]
	v_sub_f32_e32 v23, v221, v116
	v_cndmask_b32_e64 v21, v21, v25, s[28:29]
	v_mul_f32_e32 v25, 0x3fb8aa3b, v23
	v_fma_f32 v26, v23, s97, -v25
	v_rndne_f32_e32 v27, v25
	v_fmac_f32_e32 v26, 0x32a5705f, v23
	v_sub_f32_e32 v25, v25, v27
	v_add_f32_e32 v25, v25, v26
	v_exp_f32_e32 v25, v25
	v_cvt_i32_f32_e32 v26, v27
	v_cmp_ngt_f32_e32 vcc, s80, v23
	v_ldexp_f32 v25, v25, v26
	s_nop 0
	v_cndmask_b32_e32 v25, 0, v25, vcc
	v_cmp_nlt_f32_e32 vcc, s73, v23
	s_nop 1
	v_cndmask_b32_e32 v25, v214, v25, vcc
	v_cmp_le_f32_e32 vcc, s35, v23
	s_nop 1
	v_cndmask_b32_e32 v23, 0, v25, vcc
	v_fmac_f32_e32 v91, v220, v23
	v_cvt_f16_f32_e32 v23, v23
	v_mul_u32_u24_e32 v26, 0x10001, v23
	v_pk_mul_f16 v27, v218, v26
	v_pk_mul_f16 v29, v129, v26
	;; [unrolled: 1-line block ×16, first 2 shown]
	v_mov_b32_e32 v26, s81
	v_lshl_add_u64 v[112:113], v[68:69], 2, s[40:41]
	v_cndmask_b32_e64 v31, v26, v31, s[54:55]
	v_lshl_add_u64 v[112:113], v[112:113], 0, v[48:49]
	v_cndmask_b32_e64 v221, v26, v113, s[12:13]
	v_cndmask_b32_e64 v220, v217, v112, s[12:13]
	flat_load_dwordx4 v[112:115], v[30:31]
	v_lshl_add_u64 v[40:41], v[64:65], 2, s[40:41]
	v_lshl_add_u64 v[40:41], v[40:41], 0, v[48:49]
	v_cndmask_b32_e64 v41, v26, v41, s[4:5]
	v_cndmask_b32_e64 v40, v217, v40, s[4:5]
	v_lshl_add_u64 v[44:45], v[66:67], 2, s[40:41]
	v_lshl_add_u64 v[44:45], v[44:45], 0, v[48:49]
	v_cndmask_b32_e64 v45, v26, v45, s[10:11]
	v_cndmask_b32_e64 v44, v217, v44, s[10:11]
	v_add_u32_e32 v48, v145, v171
	v_cvt_f32_f16_e32 v26, v27
	v_cvt_f32_f16_sdwa v27, v27 dst_sel:DWORD dst_unused:UNUSED_PAD src0_sel:WORD_1
	v_cvt_f32_f16_e32 v28, v29
	v_cvt_f32_f16_sdwa v29, v29 dst_sel:DWORD dst_unused:UNUSED_PAD src0_sel:WORD_1
	v_cvt_f32_f16_e32 v218, v33
	s_waitcnt vmcnt(0) lgkmcnt(0)
	ds_write_b128 v144, v[112:115]
	flat_load_dwordx4 v[112:115], v[40:41]
	s_waitcnt vmcnt(0) lgkmcnt(0)
	ds_write_b128 v200, v[112:115]
	flat_load_dwordx4 v[112:115], v[44:45]
	;; [unrolled: 3-line block ×3, first 2 shown]
	v_cvt_f32_f16_e32 v220, v32
	v_cvt_f32_f16_sdwa v221, v32 dst_sel:DWORD dst_unused:UNUSED_PAD src0_sel:WORD_1
	s_waitcnt vmcnt(0) lgkmcnt(0)
	ds_write_b128 v204, v[112:115]
	s_waitcnt lgkmcnt(0)
	s_barrier
	ds_read_u16 v30, v172 offset:272
	ds_read_u16 v31, v172 offset:544
	ds_read_u16 v41, v172
	ds_read_u16 v40, v172 offset:32
	v_cvt_pk_f16_f32 v115, v24, v219
	v_cvt_pk_f16_f32 v114, v20, v19
	;; [unrolled: 1-line block ×3, first 2 shown]
	s_waitcnt lgkmcnt(1)
	v_perm_b32 v30, v30, v41, s92
	ds_read_u16 v44, v48
	ds_read_u16 v41, v48 offset:32
	v_cvt_pk_f16_f32 v112, v18, v1
	v_cvt_f32_f16_sdwa v219, v33 dst_sel:DWORD dst_unused:UNUSED_PAD src0_sel:WORD_1
	s_waitcnt lgkmcnt(1)
	v_perm_b32 v31, v44, v31, s92
	s_nop 1
	v_mfma_f32_16x16x16_f16 v[26:29], v[30:31], v[114:115], v[26:29]
	ds_read_u16 v30, v172 offset:8704
	ds_read_u16 v31, v172 offset:8976
	;; [unrolled: 1-line block ×4, first 2 shown]
	s_nop 3
	v_cvt_f16_f32_e32 v19, v26
	v_cvt_f16_f32_e32 v20, v27
	v_cvt_f16_f32_e32 v24, v28
	v_cvt_f16_f32_e32 v29, v29
	s_waitcnt lgkmcnt(2)
	v_perm_b32 v30, v31, v30, s92
	s_waitcnt lgkmcnt(0)
	v_perm_b32 v31, v45, v44, s92
	v_cvt_f32_f16_e32 v26, v19
	v_cvt_f32_f16_e32 v27, v20
	;; [unrolled: 1-line block ×5, first 2 shown]
	v_cvt_f32_f16_sdwa v25, v25 dst_sel:DWORD dst_unused:UNUSED_PAD src0_sel:WORD_1
	v_mfma_f32_16x16x16_f16 v[18:21], v[30:31], v[112:113], v[26:29]
	ds_read_u16 v1, v172 offset:304
	s_nop 1
	ds_read_u16 v28, v172 offset:576
	v_cvt_f32_f16_e32 v26, v23
	v_cvt_f32_f16_sdwa v27, v23 dst_sel:DWORD dst_unused:UNUSED_PAD src0_sel:WORD_1
	s_waitcnt lgkmcnt(1)
	v_perm_b32 v22, v1, v40, s92
	s_waitcnt lgkmcnt(0)
	v_perm_b32 v23, v41, v28, s92
	s_nop 1
	v_mfma_f32_16x16x16_f16 v[22:25], v[22:23], v[114:115], v[24:27]
	s_nop 2
	ds_read_u16 v26, v172 offset:8736
	ds_read_u16 v27, v172 offset:9008
	;; [unrolled: 1-line block ×4, first 2 shown]
	s_nop 0
	v_cvt_f16_f32_e32 v1, v22
	v_cvt_f16_f32_e32 v23, v23
	;; [unrolled: 1-line block ×4, first 2 shown]
	v_cvt_f32_f16_e32 v22, v1
	ds_read_u16 v1, v172 offset:64
	ds_read_u16 v30, v172 offset:336
	;; [unrolled: 1-line block ×4, first 2 shown]
	s_waitcnt lgkmcnt(6)
	v_perm_b32 v26, v27, v26, s92
	s_waitcnt lgkmcnt(4)
	v_perm_b32 v27, v29, v28, s92
	v_cvt_f32_f16_e32 v23, v23
	v_cvt_f32_f16_e32 v24, v24
	;; [unrolled: 1-line block ×3, first 2 shown]
	s_waitcnt lgkmcnt(2)
	v_perm_b32 v30, v30, v1, s92
	s_waitcnt lgkmcnt(0)
	v_perm_b32 v31, v40, v31, s92
	v_mfma_f32_16x16x16_f16 v[22:25], v[26:27], v[112:113], v[22:25]
	v_cvt_f32_f16_e32 v26, v37
	v_cvt_f32_f16_sdwa v27, v37 dst_sel:DWORD dst_unused:UNUSED_PAD src0_sel:WORD_1
	v_cvt_f32_f16_e32 v28, v36
	v_cvt_f32_f16_sdwa v29, v36 dst_sel:DWORD dst_unused:UNUSED_PAD src0_sel:WORD_1
	s_nop 1
	v_mfma_f32_16x16x16_f16 v[26:29], v[30:31], v[114:115], v[26:29]
	ds_read_u16 v30, v172 offset:8768
	ds_read_u16 v31, v172 offset:9040
	;; [unrolled: 1-line block ×4, first 2 shown]
	s_nop 3
	v_cvt_f16_f32_e32 v1, v26
	v_cvt_f16_f32_e32 v27, v27
	;; [unrolled: 1-line block ×4, first 2 shown]
	s_waitcnt lgkmcnt(2)
	v_perm_b32 v30, v31, v30, s92
	s_waitcnt lgkmcnt(0)
	v_perm_b32 v31, v37, v36, s92
	v_cvt_f32_f16_e32 v26, v1
	v_cvt_f32_f16_e32 v27, v27
	;; [unrolled: 1-line block ×4, first 2 shown]
	s_nop 1
	v_mfma_f32_16x16x16_f16 v[26:29], v[30:31], v[112:113], v[26:29]
	ds_read_u16 v1, v172 offset:96
	ds_read_u16 v30, v172 offset:368
	ds_read_u16 v31, v172 offset:640
	ds_read_u16 v36, v48 offset:96
	s_waitcnt lgkmcnt(2)
	v_perm_b32 v30, v30, v1, s92
	s_waitcnt lgkmcnt(0)
	v_perm_b32 v31, v36, v31, s92
	ds_read_u16 v36, v172 offset:8800
	ds_read_u16 v37, v172 offset:9072
	;; [unrolled: 1-line block ×4, first 2 shown]
	v_mfma_f32_16x16x16_f16 v[30:33], v[30:31], v[114:115], v[218:221]
	s_waitcnt lgkmcnt(2)
	v_perm_b32 v36, v37, v36, s92
	s_waitcnt lgkmcnt(0)
	v_perm_b32 v37, v41, v40, s92
	v_cvt_f32_f16_e32 v218, v35
	s_nop 2
	v_cvt_f16_f32_e32 v1, v30
	v_cvt_f16_f32_e32 v31, v31
	;; [unrolled: 1-line block ×4, first 2 shown]
	v_cvt_f32_f16_e32 v30, v1
	v_cvt_f32_f16_e32 v31, v31
	v_cvt_f32_f16_e32 v32, v32
	v_cvt_f32_f16_e32 v33, v33
	v_cvt_f32_f16_sdwa v219, v35 dst_sel:DWORD dst_unused:UNUSED_PAD src0_sel:WORD_1
	v_cvt_f32_f16_e32 v220, v34
	v_mfma_f32_16x16x16_f16 v[30:33], v[36:37], v[112:113], v[30:33]
	ds_read_u16 v1, v172 offset:128
	ds_read_u16 v36, v172 offset:400
	;; [unrolled: 1-line block ×4, first 2 shown]
	v_cvt_f32_f16_sdwa v221, v34 dst_sel:DWORD dst_unused:UNUSED_PAD src0_sel:WORD_1
	s_waitcnt lgkmcnt(2)
	v_perm_b32 v34, v36, v1, s92
	s_waitcnt lgkmcnt(0)
	v_perm_b32 v35, v40, v37, s92
	ds_read_u16 v40, v172 offset:8832
	ds_read_u16 v41, v172 offset:9104
	;; [unrolled: 1-line block ×4, first 2 shown]
	v_mfma_f32_16x16x16_f16 v[34:37], v[34:35], v[114:115], v[218:221]
	s_waitcnt lgkmcnt(2)
	v_perm_b32 v40, v41, v40, s92
	s_waitcnt lgkmcnt(0)
	v_perm_b32 v41, v45, v44, s92
	v_cvt_f32_f16_e32 v218, v39
	s_nop 2
	v_cvt_f16_f32_e32 v1, v34
	v_cvt_f16_f32_e32 v35, v35
	;; [unrolled: 1-line block ×4, first 2 shown]
	v_cvt_f32_f16_e32 v34, v1
	v_cvt_f32_f16_e32 v35, v35
	;; [unrolled: 1-line block ×4, first 2 shown]
	v_cvt_f32_f16_sdwa v219, v39 dst_sel:DWORD dst_unused:UNUSED_PAD src0_sel:WORD_1
	v_cvt_f32_f16_e32 v220, v38
	v_mfma_f32_16x16x16_f16 v[34:37], v[40:41], v[112:113], v[34:37]
	ds_read_u16 v1, v172 offset:160
	ds_read_u16 v40, v172 offset:432
	;; [unrolled: 1-line block ×4, first 2 shown]
	v_cvt_f32_f16_sdwa v221, v38 dst_sel:DWORD dst_unused:UNUSED_PAD src0_sel:WORD_1
	s_waitcnt lgkmcnt(2)
	v_perm_b32 v38, v40, v1, s92
	s_waitcnt lgkmcnt(0)
	v_perm_b32 v39, v44, v41, s92
	s_nop 1
	v_mfma_f32_16x16x16_f16 v[38:41], v[38:39], v[114:115], v[218:221]
	ds_read_u16 v44, v172 offset:8864
	ds_read_u16 v45, v172 offset:9136
	;; [unrolled: 1-line block ×4, first 2 shown]
	v_cvt_f32_f16_sdwa v219, v43 dst_sel:DWORD dst_unused:UNUSED_PAD src0_sel:WORD_1
	v_cvt_f32_f16_e32 v220, v42
	s_nop 1
	v_cvt_f16_f32_e32 v1, v38
	v_cvt_f16_f32_e32 v39, v39
	;; [unrolled: 1-line block ×4, first 2 shown]
	s_waitcnt lgkmcnt(2)
	v_perm_b32 v44, v45, v44, s92
	s_waitcnt lgkmcnt(0)
	v_perm_b32 v45, v218, v129, s92
	v_cvt_f32_f16_e32 v38, v1
	v_cvt_f32_f16_e32 v39, v39
	;; [unrolled: 1-line block ×5, first 2 shown]
	v_cvt_f32_f16_sdwa v221, v42 dst_sel:DWORD dst_unused:UNUSED_PAD src0_sel:WORD_1
	v_mfma_f32_16x16x16_f16 v[38:41], v[44:45], v[112:113], v[38:41]
	ds_read_u16 v1, v172 offset:192
	ds_read_u16 v44, v172 offset:464
	;; [unrolled: 1-line block ×4, first 2 shown]
	s_waitcnt lgkmcnt(2)
	v_perm_b32 v42, v44, v1, s92
	s_nop 1
	v_cvt_pk_f16_f32 v39, v38, v39
	s_waitcnt lgkmcnt(0)
	v_perm_b32 v43, v129, v45, s92
	v_cvt_pk_f16_f32 v38, v40, v41
	v_cvt_pk_f16_f32 v41, v34, v35
	v_mfma_f32_16x16x16_f16 v[42:45], v[42:43], v[114:115], v[218:221]
	ds_read_u16 v129, v172 offset:8896
	s_nop 1
	ds_read_u16 v218, v172 offset:9168
	ds_read_u16 v219, v172 offset:9440
	;; [unrolled: 1-line block ×3, first 2 shown]
	v_cvt_f32_f16_sdwa v221, v127 dst_sel:DWORD dst_unused:UNUSED_PAD src0_sel:WORD_1
	v_cvt_pk_f16_f32 v40, v36, v37
	v_cvt_f16_f32_e32 v1, v42
	v_cvt_f16_f32_e32 v43, v43
	v_cvt_f16_f32_e32 v44, v44
	v_cvt_f16_f32_e32 v45, v45
	v_cvt_f32_f16_e32 v42, v1
	s_waitcnt lgkmcnt(2)
	v_perm_b32 v218, v218, v129, s92
	s_waitcnt lgkmcnt(0)
	v_perm_b32 v219, v220, v219, s92
	ds_read_u16 v1, v172 offset:224
	ds_read_u16 v129, v172 offset:496
	;; [unrolled: 1-line block ×4, first 2 shown]
	v_cvt_f32_f16_e32 v43, v43
	v_cvt_f32_f16_e32 v44, v44
	;; [unrolled: 1-line block ×4, first 2 shown]
	s_nop 0
	v_mfma_f32_16x16x16_f16 v[42:45], v[218:219], v[112:113], v[42:45]
	v_cvt_f32_f16_e32 v218, v128
	v_cvt_f32_f16_sdwa v219, v128 dst_sel:DWORD dst_unused:UNUSED_PAD src0_sel:WORD_1
	s_waitcnt lgkmcnt(2)
	v_perm_b32 v128, v129, v1, s92
	s_waitcnt lgkmcnt(0)
	v_perm_b32 v129, v223, v222, s92
	s_nop 1
	v_cvt_pk_f16_f32 v43, v42, v43
	v_cvt_pk_f16_f32 v42, v44, v45
	v_mfma_f32_16x16x16_f16 v[218:221], v[128:129], v[114:115], v[218:221]
	ds_read_u16 v128, v172 offset:8928
	ds_read_u16 v129, v172 offset:9200
	;; [unrolled: 1-line block ×4, first 2 shown]
	v_cvt_pk_f16_f32 v45, v30, v31
	v_cvt_pk_f16_f32 v44, v32, v33
	s_nop 1
	v_cvt_f16_f32_e32 v114, v219
	v_cvt_f16_f32_e32 v115, v220
	;; [unrolled: 1-line block ×4, first 2 shown]
	v_cvt_f32_f16_e32 v219, v114
	v_cvt_f32_f16_e32 v220, v115
	s_waitcnt lgkmcnt(2)
	v_perm_b32 v114, v129, v128, s92
	s_waitcnt lgkmcnt(0)
	v_perm_b32 v115, v48, v222, s92
	v_cvt_f32_f16_e32 v218, v1
	v_cvt_f32_f16_e32 v221, v127
	v_cvt_pk_f16_f32 v128, v22, v23
	v_cvt_pk_f16_f32 v127, v24, v25
	v_mfma_f32_16x16x16_f16 v[112:115], v[114:115], v[112:113], v[218:221]
	v_cvt_pk_f16_f32 v129, v20, v21
	s_nop 1
	v_cvt_pk_f16_f32 v218, v18, v19
	s_barrier
	s_nop 2
	v_cvt_pk_f16_f32 v113, v112, v113
	v_cvt_pk_f16_f32 v112, v114, v115
	;; [unrolled: 1-line block ×4, first 2 shown]
	s_cbranch_scc0 .LBB25_101
; %bb.97:                               ;   in Loop: Header=BB25_61 Depth=2
	v_mov_b32_e32 v220, v91
	v_mov_b32_e32 v221, v116
	s_andn2_b64 vcc, exec, s[36:37]
	s_ashr_i32 s39, s38, 31
	s_cbranch_vccz .LBB25_56
	s_branch .LBB25_61
.LBB25_98:                              ;   in Loop: Header=BB25_61 Depth=2
                                        ; implicit-def: $vgpr20_vgpr21_vgpr22_vgpr23
                                        ; implicit-def: $vgpr26_vgpr27_vgpr28_vgpr29
	s_branch .LBB25_95
.LBB25_99:                              ;   in Loop: Header=BB25_14 Depth=1
	s_cbranch_execz .LBB25_13
	s_branch .LBB25_237
.LBB25_100:                             ;   in Loop: Header=BB25_14 Depth=1
	v_mov_b32_e32 v116, 0xfeffffff
	v_mov_b32_e32 v91, 0
	;; [unrolled: 1-line block ×18, first 2 shown]
.LBB25_101:                             ;   in Loop: Header=BB25_14 Depth=1
	s_lshl_b32 s44, s42, 6
	v_readlane_b32 s36, v243, 4
	s_sub_i32 s95, s36, s44
	s_cmp_lg_u64 s[6:7], 0
	s_cselect_b64 s[46:47], -1, 0
	s_ashr_i32 s45, s44, 31
	s_cmp_eq_u64 s[6:7], 0
	v_readlane_b32 s37, v243, 5
	s_cbranch_scc1 .LBB25_111
; %bb.102:                              ;   in Loop: Header=BB25_14 Depth=1
	s_lshl_b64 s[36:37], s[44:45], 1
	s_add_u32 s38, s6, s36
	s_addc_u32 s39, s7, s37
	v_cmp_le_i32_e32 vcc, s95, v46
	s_and_saveexec_b64 s[36:37], vcc
	s_xor_b64 s[36:37], exec, s[36:37]
	s_cbranch_execz .LBB25_104
; %bb.103:                              ;   in Loop: Header=BB25_14 Depth=1
	ds_write_b16 v142, v49 offset:17408
	ds_write_b16 v192, v49 offset:17408
                                        ; implicit-def: $vgpr117
                                        ; implicit-def: $vgpr119
                                        ; implicit-def: $vgpr121
                                        ; implicit-def: $vgpr123
.LBB25_104:                             ;   in Loop: Header=BB25_14 Depth=1
	s_or_saveexec_b64 s[36:37], s[36:37]
	v_lshlrev_b32_e32 v48, 1, v46
	v_lshl_add_u64 v[18:19], s[38:39], 0, v[48:49]
	v_mov_b32_e32 v1, 0
	v_mov_b32_e32 v20, 0
	s_xor_b64 exec, exec, s[36:37]
	s_cbranch_execz .LBB25_106
; %bb.105:                              ;   in Loop: Header=BB25_14 Depth=1
	v_mul_hi_u32 v1, s90, v117
	v_add_u32_e32 v1, v117, v1
	v_lshrrev_b32_e32 v1, s91, v1
	v_mul_lo_u32 v1, v1, s72
	v_readlane_b32 s38, v242, 12
	v_sub_u32_e32 v1, v117, v1
	v_readlane_b32 s39, v242, 13
	s_mov_b32 s40, s38
	v_mad_i64_i32 v[20:21], s[38:39], v1, s40, 0
	v_lshl_add_u64 v[20:21], v[20:21], 1, v[18:19]
	global_load_ushort v1, v[20:21], off
	v_mul_hi_u32 v20, s90, v119
	v_add_u32_e32 v20, v119, v20
	v_lshrrev_b32_e32 v20, s91, v20
	v_mul_lo_u32 v20, v20, s72
	v_sub_u32_e32 v20, v119, v20
	v_mad_i64_i32 v[20:21], s[38:39], v20, s40, 0
	v_lshl_add_u64 v[20:21], v[20:21], 1, v[18:19]
	global_load_ushort v20, v[20:21], off
	s_waitcnt vmcnt(1)
	ds_write_b16 v142, v1 offset:17408
	s_waitcnt vmcnt(0)
	ds_write_b16 v192, v20 offset:17408
	v_mul_hi_u32 v1, s90, v121
	v_add_u32_e32 v1, v121, v1
	v_lshrrev_b32_e32 v1, s91, v1
	v_mul_lo_u32 v1, v1, s72
	v_sub_u32_e32 v1, v121, v1
	v_mad_i64_i32 v[20:21], s[38:39], v1, s40, 0
	v_lshl_add_u64 v[20:21], v[20:21], 1, v[18:19]
	global_load_ushort v1, v[20:21], off
	v_mul_hi_u32 v20, s90, v123
	v_add_u32_e32 v20, v123, v20
	v_lshrrev_b32_e32 v20, s91, v20
	v_mul_lo_u32 v20, v20, s72
	v_sub_u32_e32 v20, v123, v20
	v_mad_i64_i32 v[20:21], s[38:39], v20, s40, 0
	v_lshl_add_u64 v[20:21], v[20:21], 1, v[18:19]
	global_load_ushort v20, v[20:21], off
.LBB25_106:                             ;   in Loop: Header=BB25_14 Depth=1
	s_or_b64 exec, exec, s[36:37]
	s_waitcnt vmcnt(1)
	ds_write_b16 v193, v1 offset:17408
	s_waitcnt vmcnt(0)
	ds_write_b16 v194, v20 offset:17408
	s_and_saveexec_b64 s[36:37], vcc
	s_xor_b64 s[36:37], exec, s[36:37]
	s_cbranch_execz .LBB25_108
; %bb.107:                              ;   in Loop: Header=BB25_14 Depth=1
	ds_write_b16 v195, v49 offset:17408
	ds_write_b16 v196, v49 offset:17408
                                        ; implicit-def: $vgpr118
                                        ; implicit-def: $vgpr18_vgpr19
                                        ; implicit-def: $vgpr120
                                        ; implicit-def: $vgpr122
                                        ; implicit-def: $vgpr124
.LBB25_108:                             ;   in Loop: Header=BB25_14 Depth=1
	s_or_saveexec_b64 s[36:37], s[36:37]
	v_mov_b32_e32 v1, 0
	v_mov_b32_e32 v20, 0
	s_xor_b64 exec, exec, s[36:37]
	s_cbranch_execz .LBB25_110
; %bb.109:                              ;   in Loop: Header=BB25_14 Depth=1
	v_mul_hi_u32 v1, s90, v118
	v_add_u32_e32 v1, v118, v1
	v_lshrrev_b32_e32 v1, s91, v1
	v_mul_lo_u32 v1, v1, s72
	v_readlane_b32 s38, v242, 12
	v_sub_u32_e32 v1, v118, v1
	v_readlane_b32 s39, v242, 13
	s_mov_b32 s40, s38
	v_mad_i64_i32 v[20:21], s[38:39], v1, s40, 0
	v_lshl_add_u64 v[20:21], v[20:21], 1, v[18:19]
	global_load_ushort v1, v[20:21], off
	v_mul_hi_u32 v20, s90, v120
	v_add_u32_e32 v20, v120, v20
	v_lshrrev_b32_e32 v20, s91, v20
	v_mul_lo_u32 v20, v20, s72
	v_sub_u32_e32 v20, v120, v20
	v_mad_i64_i32 v[20:21], s[38:39], v20, s40, 0
	v_lshl_add_u64 v[20:21], v[20:21], 1, v[18:19]
	global_load_ushort v20, v[20:21], off
	s_waitcnt vmcnt(1)
	ds_write_b16 v195, v1 offset:17408
	s_waitcnt vmcnt(0)
	ds_write_b16 v196, v20 offset:17408
	v_mul_hi_u32 v1, s90, v122
	v_add_u32_e32 v1, v122, v1
	v_lshrrev_b32_e32 v1, s91, v1
	v_mul_lo_u32 v1, v1, s72
	v_sub_u32_e32 v1, v122, v1
	v_mad_i64_i32 v[20:21], s[38:39], v1, s40, 0
	v_lshl_add_u64 v[20:21], v[20:21], 1, v[18:19]
	global_load_ushort v1, v[20:21], off
	v_mul_hi_u32 v20, s90, v124
	v_add_u32_e32 v20, v124, v20
	v_lshrrev_b32_e32 v20, s91, v20
	v_mul_lo_u32 v20, v20, s72
	v_sub_u32_e32 v20, v124, v20
	v_mad_i64_i32 v[20:21], s[38:39], v20, s40, 0
	v_lshl_add_u64 v[18:19], v[20:21], 1, v[18:19]
	global_load_ushort v20, v[18:19], off
.LBB25_110:                             ;   in Loop: Header=BB25_14 Depth=1
	s_or_b64 exec, exec, s[36:37]
	s_waitcnt vmcnt(1)
	ds_write_b16 v197, v1 offset:17408
	s_waitcnt vmcnt(0)
	ds_write_b16 v198, v20 offset:17408
.LBB25_111:                             ;   in Loop: Header=BB25_14 Depth=1
	s_mul_hi_i32 s37, s44, s88
	s_mul_i32 s36, s44, s88
	s_lshl_b64 s[36:37], s[36:37], 2
	s_mov_b64 s[56:57], s[48:49]
	s_add_u32 s48, s77, s36
	s_addc_u32 s49, s79, s37
	v_lshlrev_b32_e32 v48, 2, v52
	v_lshl_add_u64 v[20:21], v[56:57], 2, s[48:49]
	v_mov_b32_e32 v1, s81
	v_cmp_gt_i32_e64 s[40:41], s95, v199
	v_lshl_add_u64 v[20:21], v[20:21], 0, v[48:49]
	v_lshl_add_u64 v[18:19], v[54:55], 2, s[48:49]
	v_cndmask_b32_e64 v23, v1, v21, s[40:41]
	v_cndmask_b32_e64 v22, v217, v20, s[40:41]
	v_lshl_add_u64 v[20:21], v[58:59], 2, s[48:49]
	v_cmp_gt_i32_e64 s[36:37], s95, v201
	v_lshl_add_u64 v[20:21], v[20:21], 0, v[48:49]
	v_cmp_gt_i32_e64 s[42:43], s95, v143
	v_lshl_add_u64 v[18:19], v[18:19], 0, v[48:49]
	v_cndmask_b32_e64 v25, v1, v21, s[36:37]
	v_cndmask_b32_e64 v24, v217, v20, s[36:37]
	v_lshl_add_u64 v[20:21], v[60:61], 2, s[48:49]
	v_cndmask_b32_e64 v19, v1, v19, s[42:43]
	v_cndmask_b32_e64 v18, v217, v18, s[42:43]
	v_cmp_gt_i32_e64 s[38:39], s95, v203
	v_lshl_add_u64 v[20:21], v[20:21], 0, v[48:49]
	scratch_store_dwordx4 off, v[236:239], off
	v_cndmask_b32_e64 v27, v1, v21, s[38:39]
	v_cndmask_b32_e64 v26, v217, v20, s[38:39]
	flat_load_dwordx4 v[18:21], v[18:19]
	v_add_u32_e32 v1, v141, v164
	s_mov_b32 s66, s51
	s_waitcnt vmcnt(0) lgkmcnt(0)
	ds_write_b128 v144, v[18:21]
	flat_load_dwordx4 v[18:21], v[22:23]
	s_waitcnt vmcnt(0) lgkmcnt(0)
	ds_write_b128 v200, v[18:21]
	flat_load_dwordx4 v[18:21], v[24:25]
	;; [unrolled: 3-line block ×3, first 2 shown]
	s_waitcnt vmcnt(0) lgkmcnt(0)
	ds_write_b128 v204, v[18:21]
	s_waitcnt lgkmcnt(0)
	s_barrier
	ds_read2_b64 v[18:21], v1 offset1:4
	s_waitcnt lgkmcnt(0)
	v_mfma_f32_16x16x16_f16 v[22:25], v[18:19], v[14:15], 0
	v_mfma_f32_16x16x16_f16 v[18:21], v[20:21], v[16:17], v[22:25]
	s_nop 6
	ds_read2_b64 v[22:25], v1 offset0:8 offset1:12
	s_waitcnt lgkmcnt(0)
	v_mfma_f32_16x16x16_f16 v[18:21], v[22:23], v[10:11], v[18:21]
	v_mfma_f32_16x16x16_f16 v[18:21], v[24:25], v[12:13], v[18:21]
	ds_read2_b64 v[22:25], v1 offset0:16 offset1:20
	s_waitcnt lgkmcnt(0)
	v_mfma_f32_16x16x16_f16 v[18:21], v[22:23], v[6:7], v[18:21]
	v_mfma_f32_16x16x16_f16 v[18:21], v[24:25], v[8:9], v[18:21]
	ds_read2_b64 v[22:25], v1 offset0:24 offset1:28
	v_add_u32_e32 v1, 0x2000, v1
	s_waitcnt lgkmcnt(0)
	v_mfma_f32_16x16x16_f16 v[18:21], v[22:23], v[2:3], v[18:21]
	v_mfma_f32_16x16x16_f16 v[18:21], v[24:25], v[4:5], v[18:21]
	ds_read2_b64 v[22:25], v1 offset0:64 offset1:68
	s_waitcnt lgkmcnt(0)
	v_mfma_f32_16x16x16_f16 v[26:29], v[22:23], v[14:15], 0
	s_nop 4
	v_cmp_nlt_f32_e64 s[48:49], |v18|, s96
	v_mfma_f32_16x16x16_f16 v[14:17], v[24:25], v[16:17], v[26:29]
	ds_read2_b64 v[22:25], v1 offset0:72 offset1:76
	s_waitcnt lgkmcnt(0)
	v_mfma_f32_16x16x16_f16 v[14:17], v[22:23], v[10:11], v[14:17]
	v_mfma_f32_16x16x16_f16 v[10:13], v[24:25], v[12:13], v[14:17]
	s_nop 6
	ds_read2_b64 v[14:17], v1 offset0:80 offset1:84
	s_waitcnt lgkmcnt(0)
	v_mfma_f32_16x16x16_f16 v[10:13], v[14:15], v[6:7], v[10:13]
	v_mfma_f32_16x16x16_f16 v[6:9], v[16:17], v[8:9], v[10:13]
	s_nop 6
	ds_read2_b64 v[10:13], v1 offset0:88 offset1:92
	s_waitcnt lgkmcnt(0)
	v_mfma_f32_16x16x16_f16 v[6:9], v[10:11], v[2:3], v[6:9]
	s_barrier
	v_mfma_f32_16x16x16_f16 v[2:5], v[12:13], v[4:5], v[6:9]
                                        ; implicit-def: $vgpr1
	s_and_saveexec_b64 s[50:51], s[48:49]
	s_xor_b64 s[48:49], exec, s[50:51]
	s_cbranch_execz .LBB25_113
; %bb.112:                              ;   in Loop: Header=BB25_14 Depth=1
	v_add_f32_e64 v1, |v18|, |v18|
	s_nop 1
	v_mul_f32_e32 v6, 0x3fb8aa3b, v1
	v_rndne_f32_e32 v7, v6
	v_sub_f32_e32 v8, v6, v7
	v_fma_f32 v6, v1, s97, -v6
	v_fmac_f32_e32 v6, 0x32a5705f, v1
	v_add_f32_e32 v6, v8, v6
	v_cvt_i32_f32_e32 v7, v7
	v_exp_f32_e32 v6, v6
	v_cmp_ngt_f32_e32 vcc, s80, v1
	v_ldexp_f32 v6, v6, v7
	s_nop 0
	v_cndmask_b32_e32 v6, 0, v6, vcc
	v_cmp_nlt_f32_e32 vcc, s73, v1
	s_nop 1
	v_cndmask_b32_e32 v1, v214, v6, vcc
	v_add_f32_e32 v1, 1.0, v1
	v_rcp_f32_e32 v1, v1
	s_nop 0
	v_fma_f32 v1, v1, -2.0, 1.0
.LBB25_113:                             ;   in Loop: Header=BB25_14 Depth=1
	s_andn2_saveexec_b64 s[48:49], s[48:49]
; %bb.114:                              ;   in Loop: Header=BB25_14 Depth=1
	v_mul_f32_e32 v1, v18, v18
	s_nop 0
	v_fmamk_f32 v6, v1, 0xbbbac73d, v212
	v_fmaak_f32 v6, v1, v6, 0xbd5c1c4e
	v_fmaak_f32 v6, v1, v6, 0x3e088382
	v_fmaak_f32 v6, v1, v6, 0xbeaaaa99
	v_mul_f32_e64 v6, |v18|, v6
	v_fma_f32 v1, v1, v6, |v18|
; %bb.115:                              ;   in Loop: Header=BB25_14 Depth=1
	s_or_b64 exec, exec, s[48:49]
	v_cmp_nlt_f32_e64 s[48:49], |v19|, s96
                                        ; implicit-def: $vgpr6
	s_and_saveexec_b64 s[50:51], s[48:49]
	s_xor_b64 s[48:49], exec, s[50:51]
	s_cbranch_execz .LBB25_117
; %bb.116:                              ;   in Loop: Header=BB25_14 Depth=1
	v_add_f32_e64 v6, |v19|, |v19|
	v_mul_f32_e32 v7, 0x3fb8aa3b, v6
	v_rndne_f32_e32 v8, v7
	v_sub_f32_e32 v9, v7, v8
	v_fma_f32 v7, v6, s97, -v7
	v_fmac_f32_e32 v7, 0x32a5705f, v6
	v_add_f32_e32 v7, v9, v7
	v_cvt_i32_f32_e32 v8, v8
	v_exp_f32_e32 v7, v7
	v_cmp_ngt_f32_e32 vcc, s80, v6
	v_ldexp_f32 v7, v7, v8
	s_nop 0
	v_cndmask_b32_e32 v7, 0, v7, vcc
	v_cmp_nlt_f32_e32 vcc, s73, v6
	s_nop 1
	v_cndmask_b32_e32 v6, v214, v7, vcc
	v_add_f32_e32 v6, 1.0, v6
	v_rcp_f32_e32 v6, v6
	s_nop 0
	v_fma_f32 v6, v6, -2.0, 1.0
.LBB25_117:                             ;   in Loop: Header=BB25_14 Depth=1
	s_andn2_saveexec_b64 s[48:49], s[48:49]
; %bb.118:                              ;   in Loop: Header=BB25_14 Depth=1
	v_mul_f32_e32 v6, v19, v19
	v_fmamk_f32 v7, v6, 0xbbbac73d, v212
	v_fmaak_f32 v7, v6, v7, 0xbd5c1c4e
	v_fmaak_f32 v7, v6, v7, 0x3e088382
	;; [unrolled: 1-line block ×3, first 2 shown]
	v_mul_f32_e64 v7, |v19|, v7
	v_fma_f32 v6, v6, v7, |v19|
; %bb.119:                              ;   in Loop: Header=BB25_14 Depth=1
	s_or_b64 exec, exec, s[48:49]
	v_cmp_nlt_f32_e64 s[48:49], |v20|, s96
                                        ; implicit-def: $vgpr7
	s_and_saveexec_b64 s[50:51], s[48:49]
	s_xor_b64 s[48:49], exec, s[50:51]
	s_cbranch_execz .LBB25_121
; %bb.120:                              ;   in Loop: Header=BB25_14 Depth=1
	v_add_f32_e64 v7, |v20|, |v20|
	v_mul_f32_e32 v8, 0x3fb8aa3b, v7
	v_rndne_f32_e32 v9, v8
	v_sub_f32_e32 v10, v8, v9
	v_fma_f32 v8, v7, s97, -v8
	v_fmac_f32_e32 v8, 0x32a5705f, v7
	v_add_f32_e32 v8, v10, v8
	v_cvt_i32_f32_e32 v9, v9
	v_exp_f32_e32 v8, v8
	v_cmp_ngt_f32_e32 vcc, s80, v7
	v_ldexp_f32 v8, v8, v9
	s_nop 0
	v_cndmask_b32_e32 v8, 0, v8, vcc
	v_cmp_nlt_f32_e32 vcc, s73, v7
	s_nop 1
	v_cndmask_b32_e32 v7, v214, v8, vcc
	v_add_f32_e32 v7, 1.0, v7
	v_rcp_f32_e32 v7, v7
	s_nop 0
	v_fma_f32 v7, v7, -2.0, 1.0
.LBB25_121:                             ;   in Loop: Header=BB25_14 Depth=1
	s_andn2_saveexec_b64 s[48:49], s[48:49]
; %bb.122:                              ;   in Loop: Header=BB25_14 Depth=1
	v_mul_f32_e32 v7, v20, v20
	v_fmamk_f32 v8, v7, 0xbbbac73d, v212
	v_fmaak_f32 v8, v7, v8, 0xbd5c1c4e
	v_fmaak_f32 v8, v7, v8, 0x3e088382
	;; [unrolled: 1-line block ×3, first 2 shown]
	v_mul_f32_e64 v8, |v20|, v8
	v_fma_f32 v7, v7, v8, |v20|
; %bb.123:                              ;   in Loop: Header=BB25_14 Depth=1
	s_or_b64 exec, exec, s[48:49]
	v_cmp_nlt_f32_e64 s[48:49], |v21|, s96
                                        ; implicit-def: $vgpr8
	s_and_saveexec_b64 s[50:51], s[48:49]
	s_xor_b64 s[48:49], exec, s[50:51]
	s_cbranch_execz .LBB25_125
; %bb.124:                              ;   in Loop: Header=BB25_14 Depth=1
	v_add_f32_e64 v8, |v21|, |v21|
	v_mul_f32_e32 v9, 0x3fb8aa3b, v8
	v_rndne_f32_e32 v10, v9
	v_sub_f32_e32 v11, v9, v10
	v_fma_f32 v9, v8, s97, -v9
	v_fmac_f32_e32 v9, 0x32a5705f, v8
	v_add_f32_e32 v9, v11, v9
	v_cvt_i32_f32_e32 v10, v10
	v_exp_f32_e32 v9, v9
	v_cmp_ngt_f32_e32 vcc, s80, v8
	v_ldexp_f32 v9, v9, v10
	s_nop 0
	v_cndmask_b32_e32 v9, 0, v9, vcc
	v_cmp_nlt_f32_e32 vcc, s73, v8
	s_nop 1
	v_cndmask_b32_e32 v8, v214, v9, vcc
	v_add_f32_e32 v8, 1.0, v8
	v_rcp_f32_e32 v8, v8
	s_nop 0
	v_fma_f32 v8, v8, -2.0, 1.0
.LBB25_125:                             ;   in Loop: Header=BB25_14 Depth=1
	s_andn2_saveexec_b64 s[48:49], s[48:49]
; %bb.126:                              ;   in Loop: Header=BB25_14 Depth=1
	v_mul_f32_e32 v8, v21, v21
	v_fmamk_f32 v9, v8, 0xbbbac73d, v212
	v_fmaak_f32 v9, v8, v9, 0xbd5c1c4e
	v_fmaak_f32 v9, v8, v9, 0x3e088382
	;; [unrolled: 1-line block ×3, first 2 shown]
	v_mul_f32_e64 v9, |v21|, v9
	v_fma_f32 v8, v8, v9, |v21|
; %bb.127:                              ;   in Loop: Header=BB25_14 Depth=1
	s_or_b64 exec, exec, s[48:49]
	v_cmp_nlt_f32_e64 s[48:49], |v2|, s96
                                        ; implicit-def: $vgpr9
	s_and_saveexec_b64 s[50:51], s[48:49]
	s_xor_b64 s[48:49], exec, s[50:51]
	s_cbranch_execz .LBB25_129
; %bb.128:                              ;   in Loop: Header=BB25_14 Depth=1
	v_add_f32_e64 v9, |v2|, |v2|
	v_mul_f32_e32 v10, 0x3fb8aa3b, v9
	v_rndne_f32_e32 v11, v10
	v_sub_f32_e32 v12, v10, v11
	v_fma_f32 v10, v9, s97, -v10
	v_fmac_f32_e32 v10, 0x32a5705f, v9
	v_add_f32_e32 v10, v12, v10
	v_cvt_i32_f32_e32 v11, v11
	v_exp_f32_e32 v10, v10
	v_cmp_ngt_f32_e32 vcc, s80, v9
	v_ldexp_f32 v10, v10, v11
	s_nop 0
	v_cndmask_b32_e32 v10, 0, v10, vcc
	v_cmp_nlt_f32_e32 vcc, s73, v9
	s_nop 1
	v_cndmask_b32_e32 v9, v214, v10, vcc
	v_add_f32_e32 v9, 1.0, v9
	v_rcp_f32_e32 v9, v9
	s_nop 0
	v_fma_f32 v9, v9, -2.0, 1.0
.LBB25_129:                             ;   in Loop: Header=BB25_14 Depth=1
	s_andn2_saveexec_b64 s[48:49], s[48:49]
; %bb.130:                              ;   in Loop: Header=BB25_14 Depth=1
	v_mul_f32_e32 v9, v2, v2
	v_fmamk_f32 v10, v9, 0xbbbac73d, v212
	v_fmaak_f32 v10, v9, v10, 0xbd5c1c4e
	v_fmaak_f32 v10, v9, v10, 0x3e088382
	v_fmaak_f32 v10, v9, v10, 0xbeaaaa99
	v_mul_f32_e64 v10, |v2|, v10
	v_fma_f32 v9, v9, v10, |v2|
; %bb.131:                              ;   in Loop: Header=BB25_14 Depth=1
	s_or_b64 exec, exec, s[48:49]
	v_cmp_nlt_f32_e64 s[48:49], |v3|, s96
                                        ; implicit-def: $vgpr11
	s_and_saveexec_b64 s[50:51], s[48:49]
	s_xor_b64 s[48:49], exec, s[50:51]
	s_cbranch_execz .LBB25_133
; %bb.132:                              ;   in Loop: Header=BB25_14 Depth=1
	v_add_f32_e64 v10, |v3|, |v3|
	v_mul_f32_e32 v11, 0x3fb8aa3b, v10
	v_rndne_f32_e32 v12, v11
	v_sub_f32_e32 v13, v11, v12
	v_fma_f32 v11, v10, s97, -v11
	v_fmac_f32_e32 v11, 0x32a5705f, v10
	v_add_f32_e32 v11, v13, v11
	v_cvt_i32_f32_e32 v12, v12
	v_exp_f32_e32 v11, v11
	v_cmp_ngt_f32_e32 vcc, s80, v10
	v_ldexp_f32 v11, v11, v12
	s_nop 0
	v_cndmask_b32_e32 v11, 0, v11, vcc
	v_cmp_nlt_f32_e32 vcc, s73, v10
	s_nop 1
	v_cndmask_b32_e32 v10, v214, v11, vcc
	v_add_f32_e32 v10, 1.0, v10
	v_rcp_f32_e32 v10, v10
	s_nop 0
	v_fma_f32 v11, v10, -2.0, 1.0
.LBB25_133:                             ;   in Loop: Header=BB25_14 Depth=1
	s_andn2_saveexec_b64 s[48:49], s[48:49]
; %bb.134:                              ;   in Loop: Header=BB25_14 Depth=1
	v_mul_f32_e32 v10, v3, v3
	v_fmamk_f32 v11, v10, 0xbbbac73d, v212
	v_fmaak_f32 v11, v10, v11, 0xbd5c1c4e
	v_fmaak_f32 v11, v10, v11, 0x3e088382
	;; [unrolled: 1-line block ×3, first 2 shown]
	v_mul_f32_e64 v11, |v3|, v11
	v_fma_f32 v11, v10, v11, |v3|
; %bb.135:                              ;   in Loop: Header=BB25_14 Depth=1
	s_or_b64 exec, exec, s[48:49]
	v_cmp_nlt_f32_e64 s[48:49], |v4|, s96
                                        ; implicit-def: $vgpr12
	s_and_saveexec_b64 s[50:51], s[48:49]
	s_xor_b64 s[48:49], exec, s[50:51]
	s_cbranch_execz .LBB25_137
; %bb.136:                              ;   in Loop: Header=BB25_14 Depth=1
	v_add_f32_e64 v10, |v4|, |v4|
	v_mul_f32_e32 v12, 0x3fb8aa3b, v10
	v_rndne_f32_e32 v13, v12
	v_sub_f32_e32 v14, v12, v13
	v_fma_f32 v12, v10, s97, -v12
	v_fmac_f32_e32 v12, 0x32a5705f, v10
	v_add_f32_e32 v12, v14, v12
	v_cvt_i32_f32_e32 v13, v13
	v_exp_f32_e32 v12, v12
	v_cmp_ngt_f32_e32 vcc, s80, v10
	v_ldexp_f32 v12, v12, v13
	s_nop 0
	v_cndmask_b32_e32 v12, 0, v12, vcc
	v_cmp_nlt_f32_e32 vcc, s73, v10
	s_nop 1
	v_cndmask_b32_e32 v10, v214, v12, vcc
	v_add_f32_e32 v10, 1.0, v10
	v_rcp_f32_e32 v10, v10
	s_nop 0
	v_fma_f32 v12, v10, -2.0, 1.0
.LBB25_137:                             ;   in Loop: Header=BB25_14 Depth=1
	s_andn2_saveexec_b64 s[48:49], s[48:49]
; %bb.138:                              ;   in Loop: Header=BB25_14 Depth=1
	v_mul_f32_e32 v10, v4, v4
	v_fmamk_f32 v12, v10, 0xbbbac73d, v212
	v_fmaak_f32 v12, v10, v12, 0xbd5c1c4e
	v_fmaak_f32 v12, v10, v12, 0x3e088382
	;; [unrolled: 1-line block ×3, first 2 shown]
	v_mul_f32_e64 v12, |v4|, v12
	v_fma_f32 v12, v10, v12, |v4|
; %bb.139:                              ;   in Loop: Header=BB25_14 Depth=1
	s_or_b64 exec, exec, s[48:49]
	v_cmp_nlt_f32_e64 s[48:49], |v5|, s96
                                        ; implicit-def: $vgpr13
	s_and_saveexec_b64 s[50:51], s[48:49]
	s_xor_b64 s[48:49], exec, s[50:51]
	s_cbranch_execz .LBB25_141
; %bb.140:                              ;   in Loop: Header=BB25_14 Depth=1
	v_add_f32_e64 v10, |v5|, |v5|
	v_mul_f32_e32 v13, 0x3fb8aa3b, v10
	v_rndne_f32_e32 v14, v13
	v_sub_f32_e32 v15, v13, v14
	v_fma_f32 v13, v10, s97, -v13
	v_fmac_f32_e32 v13, 0x32a5705f, v10
	v_add_f32_e32 v13, v15, v13
	v_cvt_i32_f32_e32 v14, v14
	v_exp_f32_e32 v13, v13
	v_cmp_ngt_f32_e32 vcc, s80, v10
	v_ldexp_f32 v13, v13, v14
	s_nop 0
	v_cndmask_b32_e32 v13, 0, v13, vcc
	v_cmp_nlt_f32_e32 vcc, s73, v10
	s_nop 1
	v_cndmask_b32_e32 v10, v214, v13, vcc
	v_add_f32_e32 v10, 1.0, v10
	v_rcp_f32_e32 v10, v10
	s_nop 0
	v_fma_f32 v13, v10, -2.0, 1.0
.LBB25_141:                             ;   in Loop: Header=BB25_14 Depth=1
	s_andn2_saveexec_b64 s[48:49], s[48:49]
; %bb.142:                              ;   in Loop: Header=BB25_14 Depth=1
	v_mul_f32_e32 v10, v5, v5
	v_fmamk_f32 v13, v10, 0xbbbac73d, v212
	v_fmaak_f32 v13, v10, v13, 0xbd5c1c4e
	v_fmaak_f32 v13, v10, v13, 0x3e088382
	;; [unrolled: 1-line block ×3, first 2 shown]
	v_mul_f32_e64 v13, |v5|, v13
	v_fma_f32 v13, v10, v13, |v5|
; %bb.143:                              ;   in Loop: Header=BB25_14 Depth=1
	s_or_b64 exec, exec, s[48:49]
	v_bfi_b32 v1, s78, v1, v18
	v_mul_f32_e32 v14, s85, v1
	v_bfi_b32 v1, s78, v6, v19
	v_bfi_b32 v2, s78, v9, v2
	v_mul_f32_e32 v15, s85, v1
	v_bfi_b32 v1, s78, v7, v20
	v_mul_f32_e32 v10, s85, v2
	;; [unrolled: 2-line block ×6, first 2 shown]
	v_mul_f32_e32 v13, s85, v1
	s_and_b64 vcc, exec, s[46:47]
	s_cbranch_vccz .LBB25_449
; %bb.144:                              ;   in Loop: Header=BB25_14 Depth=1
	v_add_u32_e32 v1, 0x4400, v166
	ds_read2_b32 v[2:3], v1 offset1:1
	ds_read_b32 v1, v168 offset:17408
	ds_read_b32 v4, v170 offset:17408
	s_waitcnt lgkmcnt(2)
	v_cvt_f32_f16_e32 v6, v2
	v_cvt_f32_f16_sdwa v7, v2 dst_sel:DWORD dst_unused:UNUSED_PAD src0_sel:WORD_1
	v_cvt_f32_f16_e32 v2, v3
	v_cvt_f32_f16_sdwa v3, v3 dst_sel:DWORD dst_unused:UNUSED_PAD src0_sel:WORD_1
	s_waitcnt lgkmcnt(1)
	v_cvt_f32_f16_sdwa v19, v1 dst_sel:DWORD dst_unused:UNUSED_PAD src0_sel:WORD_1
	s_waitcnt lgkmcnt(0)
	v_cvt_f32_f16_sdwa v9, v4 dst_sel:DWORD dst_unused:UNUSED_PAD src0_sel:WORD_1
	v_cvt_f32_f16_e32 v8, v4
	v_cvt_f32_f16_e32 v18, v1
	v_pk_fma_f32 v[4:5], v[90:91], v[2:3], v[16:17] op_sel_hi:[0,1,1]
	v_pk_fma_f32 v[2:3], v[90:91], v[6:7], v[14:15] op_sel_hi:[0,1,1]
	;; [unrolled: 1-line block ×4, first 2 shown]
	s_mov_b32 s34, s83
	s_cbranch_execnz .LBB25_146
.LBB25_145:                             ;   in Loop: Header=BB25_14 Depth=1
	v_mov_b64_e32 v[6:7], v[10:11]
	v_mov_b64_e32 v[2:3], v[14:15]
	;; [unrolled: 1-line block ×4, first 2 shown]
.LBB25_146:                             ;   in Loop: Header=BB25_14 Depth=1
	s_mul_hi_i32 s45, s44, s74
	s_mul_i32 s44, s44, s74
	s_lshl_b64 s[44:45], s[44:45], 2
	s_add_u32 s82, s93, s44
	s_addc_u32 s83, s76, s45
	v_lshl_add_u64 v[10:11], v[62:63], 2, s[82:83]
	v_lshl_add_u64 v[10:11], v[10:11], 0, v[48:49]
	v_mov_b32_e32 v17, s81
	v_cndmask_b32_e64 v11, v17, v11, s[42:43]
	v_cndmask_b32_e64 v10, v217, v10, s[42:43]
	scratch_store_dwordx4 off, v[236:239], off
	flat_load_dwordx4 v[10:13], v[10:11]
	v_lshl_add_u64 v[14:15], v[64:65], 2, s[82:83]
	v_lshl_add_u64 v[14:15], v[14:15], 0, v[48:49]
	v_cndmask_b32_e64 v15, v17, v15, s[40:41]
	v_cndmask_b32_e64 v14, v217, v14, s[40:41]
	v_add_f32_e32 v22, 0x40051340, v2
	v_max_f32_e32 v23, v116, v116
	v_and_b32_e32 v25, 64, v216
	v_xor_b32_e32 v28, 32, v216
	v_max_f32_e32 v22, v23, v22
	v_add_u32_e32 v23, 64, v25
	v_xor_b32_e32 v33, 16, v216
	v_cmp_gt_u32_e64 s[52:53], s95, v165
	v_cmp_lt_i32_e32 vcc, v28, v23
	v_add_f32_e32 v24, 0x40051340, v3
	v_cndmask_b32_e64 v34, v116, v22, s[52:53]
	v_cndmask_b32_e32 v22, v216, v28, vcc
	v_cmp_lt_i32_e32 vcc, v33, v23
	v_cmp_gt_u32_e64 s[44:45], s95, v206
	v_add_f32_e32 v26, 0x40051340, v4
	v_cndmask_b32_e32 v23, v216, v33, vcc
	v_max_f32_e32 v33, v34, v34
	v_max_f32_e32 v24, v33, v24
	v_cndmask_b32_e64 v24, v34, v24, s[44:45]
	v_max_f32_e32 v33, v24, v24
	v_max_f32_e32 v26, v33, v26
	v_cmp_gt_u32_e64 s[48:49], s95, v207
	v_add_f32_e32 v27, 0x40051340, v5
	v_cmp_gt_u32_e64 s[50:51], s95, v208
	v_cndmask_b32_e64 v24, v24, v26, s[48:49]
	v_max_f32_e32 v26, v24, v24
	v_max_f32_e32 v26, v26, v27
	v_cndmask_b32_e64 v24, v24, v26, s[50:51]
	v_add_f32_e32 v29, 0x40051340, v6
	v_max_f32_e32 v26, v24, v24
	v_max_f32_e32 v26, v26, v29
	v_cmp_gt_u32_e32 vcc, s95, v167
	v_add_f32_e32 v30, 0x40051340, v7
	v_cmp_gt_u32_e64 s[40:41], s95, v209
	v_cndmask_b32_e32 v24, v24, v26, vcc
	v_max_f32_e32 v26, v24, v24
	v_max_f32_e32 v26, v26, v30
	v_cndmask_b32_e64 v24, v24, v26, s[40:41]
	v_add_f32_e32 v31, 0x40051340, v8
	v_max_f32_e32 v26, v24, v24
	v_max_f32_e32 v26, v26, v31
	v_cmp_gt_u32_e64 s[42:43], s95, v169
	v_add_f32_e32 v32, 0x40051340, v9
	v_cmp_gt_u32_e64 s[46:47], s95, v210
	v_cndmask_b32_e64 v24, v24, v26, s[42:43]
	v_max_f32_e32 v26, v24, v24
	v_max_f32_e32 v26, v26, v32
	v_lshlrev_b32_e32 v25, 2, v22
	v_cndmask_b32_e64 v24, v24, v26, s[46:47]
	ds_bpermute_b32 v29, v25, v24
	v_max_f32_e32 v24, v24, v24
	v_lshlrev_b32_e32 v28, 2, v23
	v_lshl_add_u64 v[22:23], v[66:67], 2, s[82:83]
	v_lshl_add_u64 v[26:27], v[68:69], 2, s[82:83]
	s_waitcnt lgkmcnt(0)
	v_max_f32_e32 v29, v29, v29
	v_max_f32_e32 v24, v24, v29
	ds_bpermute_b32 v29, v28, v24
	v_lshl_add_u64 v[22:23], v[22:23], 0, v[48:49]
	v_lshl_add_u64 v[26:27], v[26:27], 0, v[48:49]
	v_cndmask_b32_e64 v23, v17, v23, s[36:37]
	v_cndmask_b32_e64 v27, v17, v27, s[38:39]
	s_waitcnt lgkmcnt(0)
	v_max_f32_e32 v17, v29, v29
	v_cndmask_b32_e64 v22, v217, v22, s[36:37]
	v_max_f32_e32 v24, v24, v17
	v_sub_f32_e32 v17, v2, v24
	v_sub_f32_e32 v29, v3, v24
	v_sub_f32_e32 v30, v4, v24
	v_sub_f32_e32 v31, v5, v24
	v_sub_f32_e32 v32, v6, v24
	v_mul_f32_e32 v6, 0x3fb8aa3b, v17
	v_sub_f32_e32 v33, v7, v24
	v_mul_f32_e32 v7, 0x3fb8aa3b, v29
	v_sub_f32_e32 v34, v8, v24
	v_sub_f32_e32 v35, v9, v24
	v_mul_f32_e32 v8, 0x3fb8aa3b, v30
	s_waitcnt vmcnt(0)
	ds_write_b128 v144, v[10:13]
	flat_load_dwordx4 v[18:21], v[14:15]
	v_mul_f32_e32 v9, 0x3fb8aa3b, v31
	v_rndne_f32_e32 v92, v7
	v_fma_f32 v93, v30, s97, -v8
	v_rndne_f32_e32 v94, v8
	v_fma_f32 v95, v31, s97, -v9
	v_rndne_f32_e32 v96, v9
	v_fmac_f32_e32 v93, 0x32a5705f, v30
	v_sub_f32_e32 v8, v8, v94
	v_fmac_f32_e32 v95, 0x32a5705f, v31
	v_sub_f32_e32 v9, v9, v96
	v_add_f32_e32 v8, v8, v93
	v_add_f32_e32 v9, v9, v95
	v_mul_f32_e32 v48, 0x3fb8aa3b, v33
	v_cvt_i32_f32_e32 v94, v94
	v_cvt_i32_f32_e32 v96, v96
	v_exp_f32_e32 v8, v8
	v_exp_f32_e32 v9, v9
	v_mul_f32_e32 v37, 0x3fb8aa3b, v32
	v_fma_f32 v99, v33, s97, -v48
	v_rndne_f32_e32 v100, v48
	v_fma_f32 v97, v32, s97, -v37
	v_rndne_f32_e32 v98, v37
	v_fmac_f32_e32 v99, 0x32a5705f, v33
	v_sub_f32_e32 v48, v48, v100
	v_cmp_ngt_f32_e64 s[36:37], s80, v17
	v_cndmask_b32_e64 v26, v217, v26, s[38:39]
	v_fmac_f32_e32 v97, 0x32a5705f, v32
	v_sub_f32_e32 v37, v37, v98
	v_sub_f32_e32 v36, v116, v24
	v_cvt_i32_f32_e32 v98, v98
	v_cvt_i32_f32_e32 v100, v100
	v_mov_b32_e32 v1, s9
	v_mov_b32_e32 v10, s9
	v_mov_b32_e32 v12, s9
	v_mov_b32_e32 v13, s9
	v_mov_b32_e32 v11, s9
	v_mov_b32_e32 v14, s9
	v_mov_b32_e32 v15, s9
	v_add_u32_e32 v16, v145, v171
	s_cmp_lg_u64 s[56:57], 0
	s_waitcnt vmcnt(0) lgkmcnt(0)
	ds_write_b128 v200, v[18:21]
	flat_load_dwordx4 v[2:5], v[22:23]
	v_fma_f32 v21, v17, s97, -v6
	v_rndne_f32_e32 v22, v6
	v_fma_f32 v23, v29, s97, -v7
	v_fmac_f32_e32 v21, 0x32a5705f, v17
	v_sub_f32_e32 v6, v6, v22
	v_fmac_f32_e32 v23, 0x32a5705f, v29
	v_sub_f32_e32 v7, v7, v92
	v_add_f32_e32 v6, v6, v21
	v_cvt_i32_f32_e32 v22, v22
	v_add_f32_e32 v7, v7, v23
	v_exp_f32_e32 v6, v6
	v_cvt_i32_f32_e32 v92, v92
	v_exp_f32_e32 v7, v7
	v_add_f32_e32 v23, v48, v99
	v_ldexp_f32 v6, v6, v22
	v_cndmask_b32_e64 v48, 0, v6, s[36:37]
	v_ldexp_f32 v7, v7, v92
	v_cmp_ngt_f32_e64 s[36:37], s80, v29
	v_add_f32_e32 v21, v37, v97
	v_ldexp_f32 v22, v8, v94
	v_ldexp_f32 v37, v9, v96
	v_cndmask_b32_e64 v92, 0, v7, s[36:37]
	v_mul_f32_e32 v18, 0x3fb8aa3b, v34
	v_mul_f32_e32 v19, 0x3fb8aa3b, v35
	v_fma_f32 v101, v34, s97, -v18
	v_rndne_f32_e32 v102, v18
	v_mul_f32_e32 v20, 0x3fb8aa3b, v36
	v_fma_f32 v103, v35, s97, -v19
	v_rndne_f32_e32 v104, v19
	v_fmac_f32_e32 v101, 0x32a5705f, v34
	v_sub_f32_e32 v18, v18, v102
	v_exp_f32_e32 v21, v21
	v_fma_f32 v105, v36, s97, -v20
	v_rndne_f32_e32 v106, v20
	v_fmac_f32_e32 v103, 0x32a5705f, v35
	v_sub_f32_e32 v19, v19, v104
	v_add_f32_e32 v18, v18, v101
	v_exp_f32_e32 v23, v23
	v_cvt_i32_f32_e32 v102, v102
	v_fmac_f32_e32 v105, 0x32a5705f, v36
	v_sub_f32_e32 v20, v20, v106
	v_add_f32_e32 v19, v19, v103
	v_exp_f32_e32 v18, v18
	v_cmp_ngt_f32_e64 s[36:37], s80, v30
	v_cvt_i32_f32_e32 v104, v104
	v_add_f32_e32 v20, v20, v105
	v_exp_f32_e32 v19, v19
	v_cvt_i32_f32_e32 v106, v106
	v_exp_f32_e32 v20, v20
	v_ldexp_f32 v21, v21, v98
	v_ldexp_f32 v23, v23, v100
	;; [unrolled: 1-line block ×5, first 2 shown]
	s_waitcnt vmcnt(0) lgkmcnt(0)
	ds_write_b128 v202, v[2:5]
	flat_load_dwordx4 v[6:9], v[26:27]
	v_cndmask_b32_e64 v2, 0, v22, s[36:37]
	v_cmp_ngt_f32_e64 s[36:37], s80, v31
	s_waitcnt vmcnt(0) lgkmcnt(0)
	ds_write_b128 v204, v[6:9]
	v_cndmask_b32_e64 v3, 0, v37, s[36:37]
	v_cmp_ngt_f32_e64 s[36:37], s80, v32
	s_waitcnt lgkmcnt(0)
	s_barrier
	v_cndmask_b32_e64 v4, 0, v21, s[36:37]
	v_cmp_ngt_f32_e64 s[36:37], s80, v33
	s_nop 1
	v_cndmask_b32_e64 v5, 0, v23, s[36:37]
	v_cmp_ngt_f32_e64 s[36:37], s80, v34
	s_nop 1
	;; [unrolled: 3-line block ×4, first 2 shown]
	v_cndmask_b32_e64 v20, 0, v20, s[36:37]
	v_cmp_nlt_f32_e64 s[36:37], s73, v17
	s_nop 1
	v_cndmask_b32_e64 v17, v214, v48, s[36:37]
	v_cmp_nlt_f32_e64 s[36:37], s73, v29
	s_nop 1
	v_cndmask_b32_e64 v21, v214, v92, s[36:37]
	v_cmp_nlt_f32_e64 s[36:37], s73, v30
	v_cndmask_b32_e64 v1, v1, v21, s[44:45]
	s_nop 0
	v_cndmask_b32_e64 v29, v214, v2, s[36:37]
	v_cmp_nlt_f32_e64 s[36:37], s73, v31
	v_cndmask_b32_e64 v2, 0, v17, s[52:53]
	v_cvt_pk_f16_f32 v22, v2, v1
	v_cndmask_b32_e64 v30, v214, v3, s[36:37]
	v_cmp_nlt_f32_e64 s[36:37], s73, v32
	v_cndmask_b32_e64 v11, v11, v30, s[50:51]
	s_nop 0
	v_cndmask_b32_e64 v31, v214, v4, s[36:37]
	v_cmp_nlt_f32_e64 s[36:37], s73, v33
	v_cndmask_b32_e64 v4, v10, v29, s[48:49]
	v_cndmask_b32_e32 v10, v12, v31, vcc
	v_cndmask_b32_e64 v32, v214, v5, s[36:37]
	v_cmp_nlt_f32_e64 s[36:37], s73, v34
	v_cndmask_b32_e64 v3, v13, v32, s[40:41]
	v_cvt_pk_f16_f32 v26, v10, v3
	v_cndmask_b32_e64 v18, v214, v18, s[36:37]
	v_cmp_nlt_f32_e64 s[36:37], s73, v35
	v_cvt_pk_f16_f32 v23, v4, v11
	v_cndmask_b32_e64 v12, v14, v18, s[42:43]
	v_cndmask_b32_e64 v19, v214, v19, s[36:37]
	v_cmp_nlt_f32_e64 s[36:37], s73, v36
	v_cndmask_b32_e64 v13, v15, v19, s[46:47]
	v_cvt_pk_f16_f32 v27, v12, v13
	v_cndmask_b32_e64 v5, v214, v20, s[36:37]
	v_cmp_le_f32_e64 s[36:37], s35, v36
	s_nop 1
	v_cndmask_b32_e64 v119, 0, v5, s[36:37]
	v_add_f32_e32 v5, v21, v2
	v_cndmask_b32_e64 v1, v2, v5, s[44:45]
	v_add_f32_e32 v2, v1, v29
	;; [unrolled: 2-line block ×4, first 2 shown]
	v_cndmask_b32_e32 v10, v10, v11, vcc
	v_cvt_f16_f32_e32 v14, v119
	v_add_f32_e32 v11, v32, v10
	v_cndmask_b32_e64 v10, v10, v11, s[40:41]
	v_add_f32_e32 v11, v18, v10
	v_cndmask_b32_e64 v10, v10, v11, s[42:43]
	v_mul_u32_u24_e32 v1, 0x10001, v14
	v_add_f32_e32 v11, v19, v10
	v_pk_mul_f16 v2, v218, v1
	v_pk_mul_f16 v3, v129, v1
	v_pk_mul_f16 v4, v128, v1
	v_pk_mul_f16 v5, v127, v1
	v_pk_mul_f16 v15, v115, v1
	v_pk_mul_f16 v14, v114, v1
	v_pk_mul_f16 v13, v45, v1
	v_pk_mul_f16 v17, v41, v1
	v_cndmask_b32_e64 v30, v10, v11, s[46:47]
	ds_read_u16 v6, v172
	ds_read_u16 v121, v172 offset:32
	ds_read_u16 v114, v172 offset:64
	;; [unrolled: 1-line block ×23, first 2 shown]
	ds_read_u16 v9, v16
	ds_read_u16 v128, v16 offset:32
	ds_read_u16 v129, v16 offset:64
	;; [unrolled: 1-line block ×31, first 2 shown]
	s_waitcnt lgkmcnt(14)
	v_perm_b32 v6, v7, v6, s92
	v_perm_b32 v7, v9, v8, s92
	v_cvt_f32_f16_e32 v122, v2
	v_cvt_f32_f16_sdwa v123, v2 dst_sel:DWORD dst_unused:UNUSED_PAD src0_sel:WORD_1
	v_cvt_f32_f16_e32 v124, v3
	v_cvt_f32_f16_sdwa v125, v3 dst_sel:DWORD dst_unused:UNUSED_PAD src0_sel:WORD_1
	v_pk_mul_f16 v12, v44, v1
	ds_read_u16 v8, v16 offset:8704
	ds_read_u16 v225, v16 offset:8736
	ds_read_u16 v226, v16 offset:8768
	ds_read_u16 v227, v16 offset:8800
	ds_read_u16 v111, v16 offset:8832
	ds_read_u16 v104, v16 offset:8864
	ds_read_u16 v96, v16 offset:8896
	ds_read_u16 v44, v16 offset:8928
	v_perm_b32 v10, v11, v10, s92
	s_waitcnt lgkmcnt(7)
	v_perm_b32 v11, v8, v222, s92
	v_mfma_f32_16x16x16_f16 v[6:9], v[6:7], v[22:23], v[122:125]
	v_cvt_f32_f16_e32 v2, v4
	v_cvt_f32_f16_sdwa v3, v4 dst_sel:DWORD dst_unused:UNUSED_PAD src0_sel:WORD_1
	v_cvt_f32_f16_e32 v4, v5
	v_perm_b32 v122, v126, v121, s92
	v_perm_b32 v123, v128, v127, s92
	v_cvt_f32_f16_sdwa v5, v5 dst_sel:DWORD dst_unused:UNUSED_PAD src0_sel:WORD_1
	s_nop 1
	v_cvt_f16_f32_e32 v6, v6
	v_cvt_f16_f32_e32 v7, v7
	;; [unrolled: 1-line block ×4, first 2 shown]
	v_mfma_f32_16x16x16_f16 v[2:5], v[122:123], v[22:23], v[2:5]
	v_cvt_f32_f16_e32 v6, v6
	v_cvt_f32_f16_e32 v7, v7
	;; [unrolled: 1-line block ×5, first 2 shown]
	s_nop 2
	v_cvt_f16_f32_e32 v2, v2
	v_cvt_f16_f32_e32 v3, v3
	v_cvt_f16_f32_e32 v4, v4
	v_cvt_f16_f32_e32 v5, v5
	v_mfma_f32_16x16x16_f16 v[6:9], v[10:11], v[26:27], v[6:9]
	v_perm_b32 v10, v220, v218, s92
	s_waitcnt lgkmcnt(6)
	v_perm_b32 v11, v225, v223, s92
	v_cvt_f32_f16_e32 v2, v2
	v_cvt_f32_f16_e32 v3, v3
	;; [unrolled: 1-line block ×4, first 2 shown]
	v_cvt_f32_f16_sdwa v123, v15 dst_sel:DWORD dst_unused:UNUSED_PAD src0_sel:WORD_1
	v_cvt_f32_f16_e32 v124, v14
	v_mfma_f32_16x16x16_f16 v[2:5], v[10:11], v[26:27], v[2:5]
	v_perm_b32 v10, v117, v114, s92
	v_perm_b32 v11, v129, v120, s92
	v_cvt_f32_f16_sdwa v125, v14 dst_sel:DWORD dst_unused:UNUSED_PAD src0_sel:WORD_1
	v_fmac_f32_e32 v30, v91, v119
	v_pk_mul_f16 v16, v40, v1
	v_pk_mul_f16 v39, v39, v1
	;; [unrolled: 1-line block ×7, first 2 shown]
	v_cvt_f16_f32_e32 v1, v8
	v_cvt_f16_f32_e32 v112, v9
	v_mfma_f32_16x16x16_f16 v[8:11], v[10:11], v[22:23], v[122:125]
	v_perm_b32 v14, v221, v219, s92
	s_waitcnt lgkmcnt(5)
	v_perm_b32 v15, v226, v224, s92
	v_perm_b32 v1, v112, v1, s92
	v_cvt_f32_f16_e32 v112, v13
	v_cvt_f32_f16_sdwa v113, v13 dst_sel:DWORD dst_unused:UNUSED_PAD src0_sel:WORD_1
	s_nop 1
	v_cvt_f16_f32_e32 v8, v8
	v_cvt_f16_f32_e32 v9, v9
	;; [unrolled: 1-line block ×4, first 2 shown]
	v_cvt_f32_f16_e32 v8, v8
	v_cvt_f32_f16_e32 v9, v9
	;; [unrolled: 1-line block ×5, first 2 shown]
	v_cvt_f16_f32_e32 v117, v6
	v_mfma_f32_16x16x16_f16 v[8:11], v[14:15], v[26:27], v[8:11]
	v_perm_b32 v14, v107, v29, s92
	v_perm_b32 v15, v115, v109, s92
	v_cvt_f32_f16_sdwa v115, v12 dst_sel:DWORD dst_unused:UNUSED_PAD src0_sel:WORD_1
	v_cvt_f16_f32_e32 v29, v4
	v_cvt_f16_f32_e32 v107, v5
	v_mfma_f32_16x16x16_f16 v[12:15], v[14:15], v[22:23], v[112:115]
	s_nop 1
	v_cvt_f16_f32_e32 v10, v10
	v_cvt_f16_f32_e32 v11, v11
	v_cvt_f32_f16_e32 v112, v17
	v_cvt_f32_f16_sdwa v113, v17 dst_sel:DWORD dst_unused:UNUSED_PAD src0_sel:WORD_1
	s_nop 1
	v_cvt_f16_f32_e32 v4, v12
	v_cvt_f16_f32_e32 v5, v13
	v_cvt_f16_f32_e32 v14, v14
	v_cvt_f16_f32_e32 v15, v15
	v_cvt_f32_f16_e32 v12, v4
	v_cvt_f32_f16_e32 v13, v5
	v_perm_b32 v4, v116, v110, s92
	s_waitcnt lgkmcnt(4)
	v_perm_b32 v5, v227, v118, s92
	v_cvt_f32_f16_e32 v14, v14
	v_cvt_f32_f16_e32 v15, v15
	;; [unrolled: 1-line block ×3, first 2 shown]
	v_cvt_f32_f16_sdwa v115, v16 dst_sel:DWORD dst_unused:UNUSED_PAD src0_sel:WORD_1
	v_mfma_f32_16x16x16_f16 v[12:15], v[4:5], v[26:27], v[12:15]
	v_perm_b32 v4, v100, v97, s92
	v_perm_b32 v5, v105, v102, s92
	v_perm_b32 v10, v11, v10, s92
	v_perm_b32 v29, v107, v29, s92
	v_mfma_f32_16x16x16_f16 v[112:115], v[4:5], v[22:23], v[112:115]
	s_nop 2
	v_cvt_f16_f32_e32 v11, v14
	v_cvt_f16_f32_e32 v100, v15
	v_cvt_f32_f16_sdwa v107, v39 dst_sel:DWORD dst_unused:UNUSED_PAD src0_sel:WORD_1
	s_nop 1
	v_cvt_f16_f32_e32 v4, v112
	v_cvt_f16_f32_e32 v5, v113
	;; [unrolled: 1-line block ×4, first 2 shown]
	v_cvt_f32_f16_e32 v112, v4
	v_cvt_f32_f16_e32 v113, v5
	v_perm_b32 v4, v106, v103, s92
	s_waitcnt lgkmcnt(3)
	v_perm_b32 v5, v111, v108, s92
	v_cvt_f32_f16_e32 v114, v16
	v_cvt_f32_f16_e32 v115, v17
	;; [unrolled: 1-line block ×4, first 2 shown]
	v_mfma_f32_16x16x16_f16 v[14:17], v[4:5], v[26:27], v[112:115]
	v_perm_b32 v4, v19, v18, s92
	v_perm_b32 v5, v98, v94, s92
	v_cvt_f32_f16_sdwa v109, v38 dst_sel:DWORD dst_unused:UNUSED_PAD src0_sel:WORD_1
	v_perm_b32 v11, v100, v11, s92
	s_nop 3
	v_cvt_f16_f32_e32 v94, v16
	v_mfma_f32_16x16x16_f16 v[106:109], v[4:5], v[22:23], v[106:109]
	v_cvt_f32_f16_e32 v98, v40
	v_cvt_f32_f16_e32 v100, v42
	v_cvt_f16_f32_e32 v119, v7
	v_cvt_f16_f32_e32 v120, v2
	s_nop 3
	v_cvt_f16_f32_e32 v4, v106
	v_cvt_f16_f32_e32 v5, v107
	;; [unrolled: 1-line block ×4, first 2 shown]
	v_cvt_f32_f16_e32 v106, v4
	v_cvt_f32_f16_e32 v107, v5
	v_perm_b32 v4, v99, v95, s92
	s_waitcnt lgkmcnt(2)
	v_perm_b32 v5, v104, v101, s92
	v_cvt_f32_f16_e32 v108, v18
	v_cvt_f32_f16_e32 v109, v19
	v_cvt_f16_f32_e32 v95, v17
	v_cvt_f32_f16_sdwa v99, v40 dst_sel:DWORD dst_unused:UNUSED_PAD src0_sel:WORD_1
	v_mfma_f32_16x16x16_f16 v[16:19], v[4:5], v[26:27], v[106:109]
	v_perm_b32 v4, v21, v20, s92
	v_perm_b32 v5, v48, v31, s92
	v_cvt_f32_f16_sdwa v101, v42 dst_sel:DWORD dst_unused:UNUSED_PAD src0_sel:WORD_1
	v_perm_b32 v31, v95, v94, s92
	s_nop 3
	v_cvt_f16_f32_e32 v48, v18
	v_mfma_f32_16x16x16_f16 v[98:101], v[4:5], v[22:23], v[98:101]
	v_cvt_f32_f16_e32 v94, v91
	v_cvt_f32_f16_sdwa v95, v91 dst_sel:DWORD dst_unused:UNUSED_PAD src0_sel:WORD_1
	v_cvt_f16_f32_e32 v110, v3
	v_cvt_f16_f32_e32 v116, v8
	s_nop 3
	v_cvt_f16_f32_e32 v4, v98
	v_cvt_f16_f32_e32 v5, v99
	;; [unrolled: 1-line block ×4, first 2 shown]
	v_cvt_f32_f16_e32 v98, v4
	v_cvt_f32_f16_e32 v99, v5
	v_perm_b32 v4, v92, v45, s92
	s_waitcnt lgkmcnt(1)
	v_perm_b32 v5, v96, v93, s92
	v_cvt_f32_f16_e32 v100, v20
	v_cvt_f32_f16_e32 v101, v21
	v_cvt_f16_f32_e32 v96, v19
	v_cvt_f32_f16_e32 v92, v43
	v_mfma_f32_16x16x16_f16 v[18:21], v[4:5], v[26:27], v[98:101]
	v_perm_b32 v4, v33, v32, s92
	v_perm_b32 v5, v37, v35, s92
	v_cvt_f32_f16_sdwa v93, v43 dst_sel:DWORD dst_unused:UNUSED_PAD src0_sel:WORD_1
	v_cvt_f16_f32_e32 v97, v9
	s_nop 3
	v_cvt_f16_f32_e32 v33, v20
	v_cvt_f16_f32_e32 v35, v21
	v_mfma_f32_16x16x16_f16 v[20:23], v[4:5], v[22:23], v[92:95]
	v_cvt_f16_f32_e32 v38, v12
	v_cvt_f16_f32_e32 v39, v13
	;; [unrolled: 1-line block ×5, first 2 shown]
	s_nop 2
	v_cvt_f16_f32_e32 v4, v20
	v_cvt_f16_f32_e32 v5, v21
	;; [unrolled: 1-line block ×4, first 2 shown]
	v_cvt_f32_f16_e32 v20, v4
	v_cvt_f32_f16_e32 v21, v5
	v_perm_b32 v4, v36, v34, s92
	s_waitcnt lgkmcnt(0)
	v_perm_b32 v5, v44, v41, s92
	v_cvt_f32_f16_e32 v22, v22
	v_cvt_f32_f16_e32 v23, v23
	v_cvt_f16_f32_e32 v45, v17
	v_cvt_f16_f32_e32 v34, v18
	v_mfma_f32_16x16x16_f16 v[20:23], v[4:5], v[26:27], v[20:23]
	ds_bpermute_b32 v4, v25, v30
	v_cvt_f16_f32_e32 v36, v19
	v_readlane_b32 s42, v243, 53
	s_cselect_b64 s[36:37], -1, 0
	s_nop 3
	v_cvt_f16_f32_e32 v5, v20
	s_waitcnt lgkmcnt(0)
	v_add_f32_e32 v4, v30, v4
	ds_bpermute_b32 v25, v28, v4
	v_cvt_f16_f32_e32 v22, v22
	v_cvt_f16_f32_e32 v23, v23
	;; [unrolled: 1-line block ×3, first 2 shown]
	v_readlane_b32 s43, v243, 54
	v_perm_b32 v32, v96, v48, s92
	v_perm_b32 v33, v35, v33, s92
	;; [unrolled: 1-line block ×3, first 2 shown]
	s_waitcnt lgkmcnt(0)
	v_add_f32_e32 v25, v4, v25
	s_mov_b64 s[48:49], s[56:57]
	s_and_b64 s[38:39], s[42:43], s[36:37]
	v_perm_b32 v23, v26, v5, s92
	v_perm_b32 v26, v36, v34, s92
	v_perm_b32 v27, v45, v42, s92
	v_perm_b32 v30, v40, v102, s92
	v_perm_b32 v34, v39, v38, s92
	v_perm_b32 v35, v97, v116, s92
	v_perm_b32 v36, v110, v120, s92
	v_perm_b32 v37, v119, v117, s92
	s_barrier
	s_and_saveexec_b64 s[36:37], s[38:39]
	s_cbranch_execz .LBB25_148
; %bb.147:                              ;   in Loop: Header=BB25_14 Depth=1
	v_cvt_pk_f16_f32 v4, v6, v7
	v_cvt_pk_f16_f32 v6, v12, v13
	global_load_dword v13, v49, s[48:49]
	v_cvt_pk_f16_f32 v3, v2, v3
	v_cvt_pk_f16_f32 v7, v14, v15
	v_max_f32_e32 v14, v24, v24
	v_cvt_pk_f16_f32 v5, v8, v9
	v_cvt_pk_f16_f32 v8, v16, v17
	;; [unrolled: 1-line block ×4, first 2 shown]
	s_waitcnt vmcnt(0)
	v_max_f32_e32 v2, v13, v13
	v_max_f32_e32 v2, v14, v2
	v_sub_f32_e32 v14, v24, v2
	v_mul_f32_e32 v15, 0x3fb8aa3b, v14
	v_fma_f32 v16, v14, s97, -v15
	v_rndne_f32_e32 v17, v15
	v_fmac_f32_e32 v16, 0x32a5705f, v14
	v_sub_f32_e32 v15, v15, v17
	v_add_f32_e32 v15, v15, v16
	v_exp_f32_e32 v15, v15
	v_cvt_i32_f32_e32 v16, v17
	v_cmp_ngt_f32_e32 vcc, s80, v14
	v_sub_f32_e32 v13, v13, v2
	v_ldexp_f32 v15, v15, v16
	v_cndmask_b32_e32 v15, 0, v15, vcc
	v_cmp_nlt_f32_e32 vcc, s73, v14
	s_nop 1
	v_cndmask_b32_e32 v15, v214, v15, vcc
	v_cmp_le_f32_e32 vcc, s35, v14
	s_nop 1
	v_cndmask_b32_e32 v14, 0, v15, vcc
	v_cvt_f16_f32_e32 v15, v14
	v_cmp_ngt_f32_e32 vcc, s80, v13
	v_mul_u32_u24_e32 v15, 0x10001, v15
	v_pk_mul_f16 v36, v3, v15
	v_mul_f32_e32 v3, 0x3fb8aa3b, v13
	v_pk_mul_f16 v37, v4, v15
	v_pk_mul_f16 v35, v5, v15
	v_fma_f32 v4, v13, s97, -v3
	v_rndne_f32_e32 v5, v3
	v_fmac_f32_e32 v4, 0x32a5705f, v13
	v_sub_f32_e32 v3, v3, v5
	v_add_f32_e32 v3, v3, v4
	v_exp_f32_e32 v3, v3
	v_cvt_i32_f32_e32 v4, v5
	v_pk_mul_f16 v1, v1, v15
	v_pk_mul_f16 v29, v29, v15
	;; [unrolled: 1-line block ×3, first 2 shown]
	v_ldexp_f32 v3, v3, v4
	v_cndmask_b32_e32 v3, 0, v3, vcc
	v_cmp_nlt_f32_e32 vcc, s73, v13
	v_pk_mul_f16 v34, v6, v15
	v_pk_mul_f16 v11, v11, v15
	v_cndmask_b32_e32 v3, v214, v3, vcc
	v_fmac_f32_e32 v3, v25, v14
	v_pk_mul_f16 v30, v7, v15
	v_pk_mul_f16 v31, v31, v15
	;; [unrolled: 1-line block ×8, first 2 shown]
	v_mov_b64_e32 v[24:25], v[2:3]
.LBB25_148:                             ;   in Loop: Header=BB25_14 Depth=1
	s_or_b64 exec, exec, s[36:37]
	s_mov_b64 s[36:37], exec
	v_readlane_b32 s38, v242, 8
	v_readlane_b32 s39, v242, 9
	s_and_b64 s[38:39], s[36:37], s[38:39]
	s_mov_b32 s83, s34
	v_readlane_b32 s50, v242, 16
	s_mov_b32 s51, s66
	s_mov_b64 exec, s[38:39]
; %bb.149:                              ;   in Loop: Header=BB25_14 Depth=1
	v_add_u32_e32 v2, 0, v173
	ds_write2_b32 v2, v24, v25 offset0:64 offset1:65
; %bb.150:                              ;   in Loop: Header=BB25_14 Depth=1
	s_or_b64 exec, exec, s[36:37]
	s_waitcnt lgkmcnt(0)
	s_barrier
	s_mov_b64 s[36:37], exec
	v_readlane_b32 s38, v243, 55
	v_readlane_b32 s39, v243, 56
	s_and_b64 s[38:39], s[36:37], s[38:39]
	s_xor_b64 s[36:37], s[38:39], s[36:37]
	s_mov_b64 exec, s[38:39]
	s_cbranch_execz .LBB25_152
; %bb.151:                              ;   in Loop: Header=BB25_14 Depth=1
	s_barrier
                                        ; implicit-def: $vgpr28
.LBB25_152:                             ;   in Loop: Header=BB25_14 Depth=1
	s_andn2_saveexec_b64 s[36:37], s[36:37]
	s_cbranch_execz .LBB25_158
; %bb.153:                              ;   in Loop: Header=BB25_14 Depth=1
	v_add_u32_e32 v3, 0, v174
	ds_read_b64 v[6:7], v3 offset:256
	s_waitcnt lgkmcnt(0)
	s_barrier
	ds_bpermute_b32 v2, v28, v6
	v_max_f32_e32 v4, v6, v6
	s_waitcnt lgkmcnt(0)
	v_max_f32_e32 v2, v2, v2
	v_max_f32_e32 v2, v4, v2
	v_sub_f32_e32 v4, v6, v2
	v_mul_f32_e32 v5, 0x3fb8aa3b, v4
	v_fma_f32 v6, v4, s97, -v5
	v_rndne_f32_e32 v8, v5
	v_fmac_f32_e32 v6, 0x32a5705f, v4
	v_sub_f32_e32 v5, v5, v8
	v_add_f32_e32 v5, v5, v6
	v_cvt_i32_f32_e32 v8, v8
	v_exp_f32_e32 v5, v5
	v_cmp_ngt_f32_e32 vcc, s80, v4
	v_ldexp_f32 v5, v5, v8
	s_nop 0
	v_cndmask_b32_e32 v5, 0, v5, vcc
	v_cmp_nlt_f32_e32 vcc, s73, v4
	s_nop 1
	v_cndmask_b32_e32 v4, v214, v5, vcc
	v_mul_f32_e32 v5, v7, v4
	ds_bpermute_b32 v5, v28, v5
	s_waitcnt lgkmcnt(0)
	v_fmac_f32_e32 v5, v7, v4
	s_mov_b64 s[38:39], exec
	v_readlane_b32 s40, v242, 10
	v_readlane_b32 s41, v242, 11
	s_and_b64 s[40:41], s[38:39], s[40:41]
	s_mov_b64 exec, s[40:41]
; %bb.154:                              ;   in Loop: Header=BB25_14 Depth=1
	ds_write_b64 v3, v[4:5] offset:256
; %bb.155:                              ;   in Loop: Header=BB25_14 Depth=1
	s_or_b64 exec, exec, s[38:39]
	s_mov_b64 s[38:39], exec
	v_readlane_b32 s40, v242, 8
	v_readlane_b32 s41, v242, 9
	s_and_b64 s[40:41], s[38:39], s[40:41]
	s_mov_b64 exec, s[40:41]
	s_cbranch_execz .LBB25_157
; %bb.156:                              ;   in Loop: Header=BB25_14 Depth=1
	v_mov_b32_e32 v3, v5
	global_store_dwordx2 v[72:73], v[2:3], off
.LBB25_157:                             ;   in Loop: Header=BB25_14 Depth=1
	s_or_b64 exec, exec, s[38:39]
.LBB25_158:                             ;   in Loop: Header=BB25_14 Depth=1
	s_or_b64 exec, exec, s[36:37]
	ds_write2_b32 v146, v37, v1 offset1:1
	ds_write2_b32 v146, v36, v29 offset0:8 offset1:9
	ds_write2_b32 v146, v35, v10 offset0:16 offset1:17
	;; [unrolled: 1-line block ×7, first 2 shown]
	s_waitcnt lgkmcnt(0)
	s_barrier
	s_and_saveexec_b64 s[36:37], s[42:43]
	s_cbranch_execz .LBB25_236
; %bb.159:                              ;   in Loop: Header=BB25_14 Depth=1
	v_add_u32_e32 v1, s8, v147
	v_cmp_gt_i32_e32 vcc, s72, v1
	v_mov_b32_e32 v2, 0x47
	s_and_saveexec_b64 s[38:39], vcc
	s_cbranch_execz .LBB25_161
; %bb.160:                              ;   in Loop: Header=BB25_14 Depth=1
	v_add_u32_e32 v4, v140, v175
	ds_read2st64_b32 v[4:5], v4 offset1:17
	v_add_u32_e32 v2, 0, v175
	ds_read2st64_b32 v[2:3], v2 offset0:1 offset1:18
	v_readlane_b32 s34, v243, 60
	s_waitcnt lgkmcnt(1)
	v_cvt_f32_f16_e32 v8, v4
	v_cvt_f32_f16_sdwa v9, v4 dst_sel:DWORD dst_unused:UNUSED_PAD src0_sel:WORD_1
	v_cvt_f32_f16_e32 v4, v5
	v_cvt_f32_f16_sdwa v5, v5 dst_sel:DWORD dst_unused:UNUSED_PAD src0_sel:WORD_1
	v_mad_u64_u32 v[6:7], s[40:41], s34, v1, v[46:47]
	v_readlane_b32 s40, v242, 19
	v_ashrrev_i32_e32 v7, 31, v6
	v_readlane_b32 s41, v242, 20
	s_waitcnt lgkmcnt(0)
	v_pk_fma_f32 v[8:9], v[2:3], v[8:9], 0 op_sel_hi:[0,1,0]
	v_mov_b32_e32 v2, v3
	v_lshl_add_u64 v[6:7], v[6:7], 3, s[40:41]
	v_pk_fma_f32 v[2:3], v[2:3], v[4:5], v[8:9] op_sel_hi:[0,1,1]
	global_store_dwordx2 v[6:7], v[2:3], off
	v_mov_b32_e32 v2, 0
.LBB25_161:                             ;   in Loop: Header=BB25_14 Depth=1
	s_or_b64 exec, exec, s[38:39]
	s_movk_i32 s34, 0x47
	v_cmp_gt_i32_e32 vcc, s34, v2
	s_mov_b64 s[38:39], -1
	s_and_saveexec_b64 s[40:41], vcc
; %bb.162:                              ;   in Loop: Header=BB25_14 Depth=1
	v_cmp_eq_u32_e32 vcc, 0, v2
	s_orn2_b64 s[38:39], vcc, exec
; %bb.163:                              ;   in Loop: Header=BB25_14 Depth=1
	s_or_b64 exec, exec, s[40:41]
	s_and_b64 exec, exec, s[38:39]
	s_cbranch_execz .LBB25_236
; %bb.164:                              ;   in Loop: Header=BB25_14 Depth=1
	v_add_u32_e32 v1, s8, v148
	v_cmp_gt_i32_e32 vcc, s72, v1
	v_mov_b32_e32 v2, 0x47
	s_and_saveexec_b64 s[38:39], vcc
	s_cbranch_execz .LBB25_166
; %bb.165:                              ;   in Loop: Header=BB25_14 Depth=1
	v_add_u32_e32 v4, v140, v176
	ds_read2st64_b32 v[4:5], v4 offset1:17
	v_add_u32_e32 v2, 0, v176
	ds_read2st64_b32 v[2:3], v2 offset0:1 offset1:18
	v_readlane_b32 s34, v243, 60
	s_waitcnt lgkmcnt(1)
	v_cvt_f32_f16_e32 v8, v4
	v_cvt_f32_f16_sdwa v9, v4 dst_sel:DWORD dst_unused:UNUSED_PAD src0_sel:WORD_1
	v_cvt_f32_f16_e32 v4, v5
	v_cvt_f32_f16_sdwa v5, v5 dst_sel:DWORD dst_unused:UNUSED_PAD src0_sel:WORD_1
	v_mad_u64_u32 v[6:7], s[40:41], s34, v1, v[46:47]
	v_readlane_b32 s40, v242, 19
	v_ashrrev_i32_e32 v7, 31, v6
	v_readlane_b32 s41, v242, 20
	s_waitcnt lgkmcnt(0)
	v_pk_fma_f32 v[8:9], v[2:3], v[8:9], 0 op_sel_hi:[0,1,0]
	v_mov_b32_e32 v2, v3
	v_lshl_add_u64 v[6:7], v[6:7], 3, s[40:41]
	v_pk_fma_f32 v[2:3], v[2:3], v[4:5], v[8:9] op_sel_hi:[0,1,1]
	global_store_dwordx2 v[6:7], v[2:3], off
	v_mov_b32_e32 v2, 0
.LBB25_166:                             ;   in Loop: Header=BB25_14 Depth=1
	s_or_b64 exec, exec, s[38:39]
	s_movk_i32 s34, 0x47
	v_cmp_gt_i32_e32 vcc, s34, v2
	s_mov_b64 s[38:39], -1
	s_and_saveexec_b64 s[40:41], vcc
; %bb.167:                              ;   in Loop: Header=BB25_14 Depth=1
	v_cmp_eq_u32_e32 vcc, 0, v2
	s_orn2_b64 s[38:39], vcc, exec
; %bb.168:                              ;   in Loop: Header=BB25_14 Depth=1
	s_or_b64 exec, exec, s[40:41]
	s_and_b64 exec, exec, s[38:39]
	;; [unrolled: 41-line block ×15, first 2 shown]
	s_cbranch_execz .LBB25_236
; %bb.234:                              ;   in Loop: Header=BB25_14 Depth=1
	v_add_u32_e32 v1, s8, v162
	v_cmp_gt_i32_e32 vcc, s72, v1
	s_and_b64 exec, exec, vcc
	s_cbranch_execz .LBB25_236
; %bb.235:                              ;   in Loop: Header=BB25_14 Depth=1
	v_add_u32_e32 v4, v140, v190
	ds_read2st64_b32 v[4:5], v4 offset1:17
	v_add_u32_e32 v2, 0, v190
	ds_read2st64_b32 v[2:3], v2 offset0:1 offset1:18
	v_readlane_b32 s8, v243, 60
	s_waitcnt lgkmcnt(1)
	v_cvt_f32_f16_e32 v8, v4
	v_cvt_f32_f16_sdwa v9, v4 dst_sel:DWORD dst_unused:UNUSED_PAD src0_sel:WORD_1
	v_cvt_f32_f16_e32 v4, v5
	v_cvt_f32_f16_sdwa v5, v5 dst_sel:DWORD dst_unused:UNUSED_PAD src0_sel:WORD_1
	v_mad_u64_u32 v[6:7], s[38:39], s8, v1, v[46:47]
	v_readlane_b32 s38, v242, 19
	v_ashrrev_i32_e32 v7, 31, v6
	v_readlane_b32 s39, v242, 20
	s_waitcnt lgkmcnt(0)
	v_pk_fma_f32 v[8:9], v[2:3], v[8:9], 0 op_sel_hi:[0,1,0]
	v_mov_b32_e32 v2, v3
	v_lshl_add_u64 v[6:7], v[6:7], 3, s[38:39]
	v_pk_fma_f32 v[2:3], v[2:3], v[4:5], v[8:9] op_sel_hi:[0,1,1]
	global_store_dwordx2 v[6:7], v[2:3], off
.LBB25_236:                             ;   in Loop: Header=BB25_14 Depth=1
	s_or_b64 exec, exec, s[36:37]
	s_barrier
	s_branch .LBB25_13
.LBB25_237:                             ;   in Loop: Header=BB25_14 Depth=1
	s_lshl_b32 s82, s51, 5
	v_add_u32_e32 v219, s82, v130
	v_cmp_le_i32_e32 vcc, s72, v219
	s_and_saveexec_b64 s[36:37], vcc
	s_xor_b64 s[36:37], exec, s[36:37]
; %bb.238:                              ;   in Loop: Header=BB25_14 Depth=1
	v_add_u32_e32 v1, v140, v205
	ds_write_b32 v1, v49
; %bb.239:                              ;   in Loop: Header=BB25_14 Depth=1
	s_andn2_saveexec_b64 s[36:37], s[36:37]
	s_cbranch_execz .LBB25_241
; %bb.240:                              ;   in Loop: Header=BB25_14 Depth=1
	v_mad_u64_u32 v[2:3], s[38:39], v219, s83, v[46:47]
	v_ashrrev_i32_e32 v3, 31, v2
	v_lshl_add_u64 v[2:3], v[2:3], 3, s[2:3]
	global_load_dwordx2 v[2:3], v[2:3], off
	s_waitcnt vmcnt(0)
	v_cvt_pk_f16_f32 v1, v2, v3
	v_pk_mul_f16 v1, v1, v191
	v_add_u32_e32 v2, v140, v205
	ds_write_b32 v2, v1
.LBB25_241:                             ;   in Loop: Header=BB25_14 Depth=1
	s_or_b64 exec, exec, s[36:37]
	v_add_u32_e32 v221, s82, v138
	v_cmp_le_i32_e32 vcc, s72, v221
	s_and_saveexec_b64 s[36:37], vcc
	s_xor_b64 s[36:37], exec, s[36:37]
; %bb.242:                              ;   in Loop: Header=BB25_14 Depth=1
	v_add_u32_e32 v1, v140, v205
	ds_write_b32 v1, v49 offset:1088
; %bb.243:                              ;   in Loop: Header=BB25_14 Depth=1
	s_andn2_saveexec_b64 s[36:37], s[36:37]
	s_cbranch_execz .LBB25_245
; %bb.244:                              ;   in Loop: Header=BB25_14 Depth=1
	v_mad_u64_u32 v[2:3], s[38:39], v221, s83, v[46:47]
	v_ashrrev_i32_e32 v3, 31, v2
	v_lshl_add_u64 v[2:3], v[2:3], 3, s[2:3]
	global_load_dwordx2 v[2:3], v[2:3], off
	s_waitcnt vmcnt(0)
	v_cvt_pk_f16_f32 v1, v2, v3
	v_pk_mul_f16 v1, v1, v191
	v_add_u32_e32 v2, v140, v205
	ds_write_b32 v2, v1 offset:1088
.LBB25_245:                             ;   in Loop: Header=BB25_14 Depth=1
	s_or_b64 exec, exec, s[36:37]
	v_add_u32_e32 v223, s82, v137
	v_cmp_le_i32_e32 vcc, s72, v223
	s_and_saveexec_b64 s[36:37], vcc
	s_xor_b64 s[36:37], exec, s[36:37]
; %bb.246:                              ;   in Loop: Header=BB25_14 Depth=1
	v_add_u32_e32 v1, v140, v205
	ds_write_b32 v1, v49 offset:2176
; %bb.247:                              ;   in Loop: Header=BB25_14 Depth=1
	s_andn2_saveexec_b64 s[36:37], s[36:37]
	s_cbranch_execz .LBB25_249
; %bb.248:                              ;   in Loop: Header=BB25_14 Depth=1
	v_mad_u64_u32 v[2:3], s[38:39], v223, s83, v[46:47]
	v_ashrrev_i32_e32 v3, 31, v2
	v_lshl_add_u64 v[2:3], v[2:3], 3, s[2:3]
	global_load_dwordx2 v[2:3], v[2:3], off
	s_waitcnt vmcnt(0)
	v_cvt_pk_f16_f32 v1, v2, v3
	v_pk_mul_f16 v1, v1, v191
	v_add_u32_e32 v2, v140, v205
	ds_write_b32 v2, v1 offset:2176
.LBB25_249:                             ;   in Loop: Header=BB25_14 Depth=1
	;; [unrolled: 22-line block ×7, first 2 shown]
	s_or_b64 exec, exec, s[36:37]
	s_waitcnt lgkmcnt(0)
	s_barrier
	ds_read2_b64 v[14:17], v163 offset1:4
	ds_read2_b64 v[10:13], v163 offset0:8 offset1:12
	ds_read2_b64 v[6:9], v163 offset0:16 offset1:20
	;; [unrolled: 1-line block ×3, first 2 shown]
	s_cmp_lt_i32 s94, 2
	s_waitcnt lgkmcnt(0)
	s_barrier
	s_cbranch_scc1 .LBB25_314
; %bb.270:                              ;   in Loop: Header=BB25_14 Depth=1
	v_mul_hi_u32 v18, s90, v221
	v_add_u32_e32 v18, v221, v18
	v_lshrrev_b32_e32 v18, s91, v18
	v_mul_lo_u32 v18, v18, s72
	v_sub_u32_e32 v20, v221, v18
	v_mul_hi_u32 v18, s90, v223
	v_add_u32_e32 v18, v223, v18
	v_lshrrev_b32_e32 v18, s91, v18
	v_mul_lo_u32 v18, v18, s72
	v_sub_u32_e32 v21, v223, v18
	v_mul_hi_u32 v18, s90, v225
	v_add_u32_e32 v18, v225, v18
	v_lshrrev_b32_e32 v18, s91, v18
	v_mul_lo_u32 v18, v18, s72
	v_sub_u32_e32 v22, v225, v18
	v_mul_hi_u32 v18, s90, v220
	v_add_u32_e32 v18, v220, v18
	v_lshrrev_b32_e32 v18, s91, v18
	v_mul_lo_u32 v18, v18, s72
	v_sub_u32_e32 v23, v220, v18
	v_mul_hi_u32 v18, s90, v222
	v_add_u32_e32 v18, v222, v18
	v_lshrrev_b32_e32 v18, s91, v18
	v_mul_lo_u32 v18, v18, s72
	v_sub_u32_e32 v24, v222, v18
	v_mul_hi_u32 v18, s90, v224
	v_add_u32_e32 v18, v224, v18
	v_lshrrev_b32_e32 v18, s91, v18
	v_mul_lo_u32 v18, v18, s72
	v_sub_u32_e32 v25, v224, v18
	v_mul_hi_u32 v18, s90, v226
	v_add_u32_e32 v18, v226, v18
	v_lshrrev_b32_e32 v18, s91, v18
	v_mul_lo_u32 v18, v18, s72
	v_sub_u32_e32 v26, v226, v18
	v_and_b32_e32 v18, 64, v216
	v_add_u32_e32 v18, 64, v18
	v_xor_b32_e32 v19, 32, v216
	v_cmp_lt_i32_e32 vcc, v19, v18
	v_mul_hi_u32 v1, s90, v219
	v_add_u32_e32 v1, v219, v1
	v_cndmask_b32_e32 v19, v216, v19, vcc
	v_lshlrev_b32_e32 v48, 2, v19
	v_xor_b32_e32 v19, 16, v216
	v_lshrrev_b32_e32 v1, s91, v1
	v_cmp_lt_i32_e32 vcc, v19, v18
	v_mul_lo_u32 v1, v1, s72
	v_readlane_b32 s36, v242, 14
	v_cndmask_b32_e32 v18, v216, v19, vcc
	s_add_i32 s8, s94, -1
	v_sub_u32_e32 v1, v219, v1
	v_lshlrev_b32_e32 v227, 2, v18
	v_mov_b64_e32 v[18:19], s[6:7]
	v_readlane_b32 s37, v242, 15
	s_mov_b32 s34, s36
	s_cmp_lg_u64 s[6:7], 0
	v_mad_i64_i32 v[94:95], s[36:37], s34, v1, v[18:19]
	v_mad_i64_i32 v[96:97], s[36:37], s34, v20, v[18:19]
	;; [unrolled: 1-line block ×8, first 2 shown]
	s_cselect_b64 s[2:3], -1, 0
	s_add_u32 s36, s63, s60
	s_addc_u32 s37, s62, s61
	v_lshl_add_u64 v[110:111], v[74:75], 0, s[36:37]
	v_lshl_add_u64 v[112:113], v[76:77], 0, s[36:37]
	;; [unrolled: 1-line block ×4, first 2 shown]
	s_add_u32 s36, s65, s58
	s_addc_u32 s37, s64, s59
	v_mov_b32_e32 v92, v90
	v_mov_b32_e32 v93, v90
	v_lshl_add_u64 v[118:119], v[82:83], 0, s[36:37]
	v_lshl_add_u64 v[120:121], v[84:85], 0, s[36:37]
	;; [unrolled: 1-line block ×4, first 2 shown]
	v_mov_b32_e32 v126, 0
	v_mov_b32_e32 v234, 0xfeffffff
	;; [unrolled: 1-line block ×3, first 2 shown]
	s_mov_b32 s38, s8
	v_mov_b32_e32 v127, 0
	v_mov_b32_e32 v43, 0
	;; [unrolled: 1-line block ×15, first 2 shown]
	s_andn2_b64 vcc, exec, s[2:3]
	s_cbranch_vccnz .LBB25_276
.LBB25_271:                             ;   in Loop: Header=BB25_14 Depth=1
	s_and_saveexec_b64 s[36:37], s[0:1]
	s_xor_b64 s[36:37], exec, s[36:37]
	s_cbranch_execz .LBB25_273
; %bb.272:                              ;   in Loop: Header=BB25_14 Depth=1
	ds_write_b16 v142, v49 offset:17408
	ds_write_b16 v192, v49 offset:17408
	;; [unrolled: 1-line block ×4, first 2 shown]
.LBB25_273:                             ;   in Loop: Header=BB25_14 Depth=1
	s_or_saveexec_b64 s[36:37], s[36:37]
	v_mov_b32_e32 v1, 0
	v_mov_b32_e32 v18, 0
	;; [unrolled: 1-line block ×4, first 2 shown]
	s_xor_b64 exec, exec, s[36:37]
	s_cbranch_execz .LBB25_275
; %bb.274:                              ;   in Loop: Header=BB25_14 Depth=1
	v_lshl_add_u64 v[18:19], v[94:95], 0, v[50:51]
	global_load_ushort v1, v[18:19], off
	v_lshl_add_u64 v[18:19], v[96:97], 0, v[50:51]
	global_load_ushort v20, v[18:19], off
	;; [unrolled: 2-line block ×4, first 2 shown]
	s_waitcnt vmcnt(3)
	ds_write_b16 v142, v1 offset:17408
	s_waitcnt vmcnt(2)
	ds_write_b16 v192, v20 offset:17408
	;; [unrolled: 2-line block ×4, first 2 shown]
	v_lshl_add_u64 v[18:19], v[102:103], 0, v[50:51]
	global_load_ushort v1, v[18:19], off
	v_lshl_add_u64 v[18:19], v[104:105], 0, v[50:51]
	v_lshl_add_u64 v[20:21], v[106:107], 0, v[50:51]
	global_load_ushort v18, v[18:19], off
	s_nop 0
	global_load_ushort v19, v[20:21], off
	v_lshl_add_u64 v[20:21], v[108:109], 0, v[50:51]
	global_load_ushort v20, v[20:21], off
.LBB25_275:                             ;   in Loop: Header=BB25_14 Depth=1
	s_or_b64 exec, exec, s[36:37]
	s_waitcnt vmcnt(3)
	ds_write_b16 v195, v1 offset:17408
	s_waitcnt vmcnt(2)
	ds_write_b16 v196, v18 offset:17408
	;; [unrolled: 2-line block ×4, first 2 shown]
.LBB25_276:                             ;   Parent Loop BB25_14 Depth=1
                                        ; =>  This Inner Loop Header: Depth=2
	v_mov_b32_e32 v1, s81
	v_lshl_add_u64 v[20:21], v[120:121], 0, v[70:71]
	v_lshl_add_u64 v[18:19], v[118:119], 0, v[70:71]
	v_cndmask_b32_e64 v23, v1, v21, s[4:5]
	v_cndmask_b32_e64 v22, v217, v20, s[4:5]
	v_lshl_add_u64 v[20:21], v[122:123], 0, v[70:71]
	v_cndmask_b32_e64 v19, v1, v19, s[54:55]
	v_cndmask_b32_e64 v18, v217, v18, s[54:55]
	;; [unrolled: 1-line block ×4, first 2 shown]
	v_lshl_add_u64 v[20:21], v[124:125], 0, v[70:71]
	scratch_store_dwordx4 off, v[236:239], off
	v_cndmask_b32_e64 v27, v1, v21, s[12:13]
	v_cndmask_b32_e64 v26, v217, v20, s[12:13]
	flat_load_dwordx4 v[18:21], v[18:19]
	v_add_u32_e32 v1, v141, v164
	s_waitcnt vmcnt(0) lgkmcnt(0)
	ds_write_b128 v144, v[18:21]
	flat_load_dwordx4 v[18:21], v[22:23]
	s_waitcnt vmcnt(0) lgkmcnt(0)
	ds_write_b128 v200, v[18:21]
	flat_load_dwordx4 v[18:21], v[24:25]
	;; [unrolled: 3-line block ×3, first 2 shown]
	s_waitcnt vmcnt(0) lgkmcnt(0)
	ds_write_b128 v204, v[18:21]
	s_waitcnt lgkmcnt(0)
	s_barrier
	ds_read2_b64 v[18:21], v1 offset1:4
	s_waitcnt lgkmcnt(0)
	v_mfma_f32_16x16x16_f16 v[22:25], v[18:19], v[14:15], 0
	v_mfma_f32_16x16x16_f16 v[18:21], v[20:21], v[16:17], v[22:25]
	s_nop 6
	ds_read2_b64 v[22:25], v1 offset0:8 offset1:12
	s_waitcnt lgkmcnt(0)
	v_mfma_f32_16x16x16_f16 v[18:21], v[22:23], v[10:11], v[18:21]
	v_mfma_f32_16x16x16_f16 v[18:21], v[24:25], v[12:13], v[18:21]
	ds_read2_b64 v[22:25], v1 offset0:16 offset1:20
	s_waitcnt lgkmcnt(0)
	v_mfma_f32_16x16x16_f16 v[18:21], v[22:23], v[6:7], v[18:21]
	v_mfma_f32_16x16x16_f16 v[18:21], v[24:25], v[8:9], v[18:21]
	ds_read2_b64 v[22:25], v1 offset0:24 offset1:28
	v_add_u32_e32 v1, 0x2000, v1
	s_waitcnt lgkmcnt(0)
	v_mfma_f32_16x16x16_f16 v[18:21], v[22:23], v[2:3], v[18:21]
	v_mfma_f32_16x16x16_f16 v[18:21], v[24:25], v[4:5], v[18:21]
	ds_read2_b64 v[22:25], v1 offset0:64 offset1:68
	s_waitcnt lgkmcnt(0)
	v_mfma_f32_16x16x16_f16 v[26:29], v[22:23], v[14:15], 0
	s_nop 4
	v_cmp_nlt_f32_e64 s[36:37], |v18|, s96
	v_mfma_f32_16x16x16_f16 v[22:25], v[24:25], v[16:17], v[26:29]
	s_nop 2
	ds_read2_b64 v[26:29], v1 offset0:72 offset1:76
	s_waitcnt lgkmcnt(0)
	v_mfma_f32_16x16x16_f16 v[22:25], v[26:27], v[10:11], v[22:25]
	v_mfma_f32_16x16x16_f16 v[22:25], v[28:29], v[12:13], v[22:25]
	ds_read2_b64 v[26:29], v1 offset0:80 offset1:84
	s_waitcnt lgkmcnt(0)
	v_mfma_f32_16x16x16_f16 v[22:25], v[26:27], v[6:7], v[22:25]
	v_mfma_f32_16x16x16_f16 v[22:25], v[28:29], v[8:9], v[22:25]
	ds_read2_b64 v[26:29], v1 offset0:88 offset1:92
	s_waitcnt lgkmcnt(0)
	s_barrier
	v_mfma_f32_16x16x16_f16 v[22:25], v[26:27], v[2:3], v[22:25]
                                        ; implicit-def: $vgpr1
	v_mfma_f32_16x16x16_f16 v[22:25], v[28:29], v[4:5], v[22:25]
	s_and_saveexec_b64 s[40:41], s[36:37]
	s_xor_b64 s[36:37], exec, s[40:41]
	s_cbranch_execz .LBB25_278
; %bb.277:                              ;   in Loop: Header=BB25_276 Depth=2
	v_add_f32_e64 v1, |v18|, |v18|
	v_mul_f32_e32 v26, 0x3fb8aa3b, v1
	v_rndne_f32_e32 v27, v26
	v_sub_f32_e32 v28, v26, v27
	v_fma_f32 v26, v1, s97, -v26
	v_fmac_f32_e32 v26, 0x32a5705f, v1
	v_add_f32_e32 v26, v28, v26
	v_cvt_i32_f32_e32 v27, v27
	v_exp_f32_e32 v26, v26
	v_cmp_ngt_f32_e32 vcc, s80, v1
	v_ldexp_f32 v26, v26, v27
	s_nop 0
	v_cndmask_b32_e32 v26, 0, v26, vcc
	v_cmp_nlt_f32_e32 vcc, s73, v1
	s_nop 1
	v_cndmask_b32_e32 v1, v214, v26, vcc
	v_add_f32_e32 v1, 1.0, v1
	v_rcp_f32_e32 v1, v1
	s_nop 0
	v_fma_f32 v1, v1, -2.0, 1.0
.LBB25_278:                             ;   in Loop: Header=BB25_276 Depth=2
	s_andn2_saveexec_b64 s[36:37], s[36:37]
; %bb.279:                              ;   in Loop: Header=BB25_276 Depth=2
	v_mul_f32_e32 v1, v18, v18
	v_fmamk_f32 v26, v1, 0xbbbac73d, v212
	v_fmaak_f32 v26, v1, v26, 0xbd5c1c4e
	v_fmaak_f32 v26, v1, v26, 0x3e088382
	;; [unrolled: 1-line block ×3, first 2 shown]
	v_mul_f32_e64 v26, |v18|, v26
	v_fma_f32 v1, v1, v26, |v18|
; %bb.280:                              ;   in Loop: Header=BB25_276 Depth=2
	s_or_b64 exec, exec, s[36:37]
	v_cmp_nlt_f32_e64 s[36:37], |v19|, s96
                                        ; implicit-def: $vgpr26
	s_and_saveexec_b64 s[40:41], s[36:37]
	s_xor_b64 s[36:37], exec, s[40:41]
	s_cbranch_execz .LBB25_282
; %bb.281:                              ;   in Loop: Header=BB25_276 Depth=2
	v_add_f32_e64 v26, |v19|, |v19|
	v_mul_f32_e32 v27, 0x3fb8aa3b, v26
	v_rndne_f32_e32 v28, v27
	v_sub_f32_e32 v29, v27, v28
	v_fma_f32 v27, v26, s97, -v27
	v_fmac_f32_e32 v27, 0x32a5705f, v26
	v_add_f32_e32 v27, v29, v27
	v_cvt_i32_f32_e32 v28, v28
	v_exp_f32_e32 v27, v27
	v_cmp_ngt_f32_e32 vcc, s80, v26
	v_ldexp_f32 v27, v27, v28
	s_nop 0
	v_cndmask_b32_e32 v27, 0, v27, vcc
	v_cmp_nlt_f32_e32 vcc, s73, v26
	s_nop 1
	v_cndmask_b32_e32 v26, v214, v27, vcc
	v_add_f32_e32 v26, 1.0, v26
	v_rcp_f32_e32 v26, v26
	s_nop 0
	v_fma_f32 v26, v26, -2.0, 1.0
.LBB25_282:                             ;   in Loop: Header=BB25_276 Depth=2
	s_andn2_saveexec_b64 s[36:37], s[36:37]
; %bb.283:                              ;   in Loop: Header=BB25_276 Depth=2
	v_mul_f32_e32 v26, v19, v19
	v_fmamk_f32 v27, v26, 0xbbbac73d, v212
	v_fmaak_f32 v27, v26, v27, 0xbd5c1c4e
	v_fmaak_f32 v27, v26, v27, 0x3e088382
	;; [unrolled: 1-line block ×3, first 2 shown]
	v_mul_f32_e64 v27, |v19|, v27
	v_fma_f32 v26, v26, v27, |v19|
; %bb.284:                              ;   in Loop: Header=BB25_276 Depth=2
	s_or_b64 exec, exec, s[36:37]
	v_cmp_nlt_f32_e64 s[36:37], |v20|, s96
                                        ; implicit-def: $vgpr27
	s_and_saveexec_b64 s[40:41], s[36:37]
	s_xor_b64 s[36:37], exec, s[40:41]
	s_cbranch_execz .LBB25_286
; %bb.285:                              ;   in Loop: Header=BB25_276 Depth=2
	v_add_f32_e64 v27, |v20|, |v20|
	v_mul_f32_e32 v28, 0x3fb8aa3b, v27
	v_rndne_f32_e32 v29, v28
	v_sub_f32_e32 v30, v28, v29
	v_fma_f32 v28, v27, s97, -v28
	v_fmac_f32_e32 v28, 0x32a5705f, v27
	v_add_f32_e32 v28, v30, v28
	v_cvt_i32_f32_e32 v29, v29
	v_exp_f32_e32 v28, v28
	v_cmp_ngt_f32_e32 vcc, s80, v27
	v_ldexp_f32 v28, v28, v29
	s_nop 0
	v_cndmask_b32_e32 v28, 0, v28, vcc
	v_cmp_nlt_f32_e32 vcc, s73, v27
	s_nop 1
	v_cndmask_b32_e32 v27, v214, v28, vcc
	v_add_f32_e32 v27, 1.0, v27
	v_rcp_f32_e32 v27, v27
	s_nop 0
	v_fma_f32 v27, v27, -2.0, 1.0
.LBB25_286:                             ;   in Loop: Header=BB25_276 Depth=2
	s_andn2_saveexec_b64 s[36:37], s[36:37]
; %bb.287:                              ;   in Loop: Header=BB25_276 Depth=2
	v_mul_f32_e32 v27, v20, v20
	v_fmamk_f32 v28, v27, 0xbbbac73d, v212
	v_fmaak_f32 v28, v27, v28, 0xbd5c1c4e
	v_fmaak_f32 v28, v27, v28, 0x3e088382
	;; [unrolled: 1-line block ×3, first 2 shown]
	v_mul_f32_e64 v28, |v20|, v28
	v_fma_f32 v27, v27, v28, |v20|
; %bb.288:                              ;   in Loop: Header=BB25_276 Depth=2
	s_or_b64 exec, exec, s[36:37]
	v_cmp_nlt_f32_e64 s[36:37], |v21|, s96
                                        ; implicit-def: $vgpr28
	s_and_saveexec_b64 s[40:41], s[36:37]
	s_xor_b64 s[36:37], exec, s[40:41]
	s_cbranch_execz .LBB25_290
; %bb.289:                              ;   in Loop: Header=BB25_276 Depth=2
	v_add_f32_e64 v28, |v21|, |v21|
	v_mul_f32_e32 v29, 0x3fb8aa3b, v28
	v_rndne_f32_e32 v30, v29
	v_sub_f32_e32 v31, v29, v30
	v_fma_f32 v29, v28, s97, -v29
	v_fmac_f32_e32 v29, 0x32a5705f, v28
	v_add_f32_e32 v29, v31, v29
	v_cvt_i32_f32_e32 v30, v30
	v_exp_f32_e32 v29, v29
	v_cmp_ngt_f32_e32 vcc, s80, v28
	v_ldexp_f32 v29, v29, v30
	s_nop 0
	v_cndmask_b32_e32 v29, 0, v29, vcc
	v_cmp_nlt_f32_e32 vcc, s73, v28
	s_nop 1
	v_cndmask_b32_e32 v28, v214, v29, vcc
	v_add_f32_e32 v28, 1.0, v28
	v_rcp_f32_e32 v28, v28
	s_nop 0
	v_fma_f32 v28, v28, -2.0, 1.0
.LBB25_290:                             ;   in Loop: Header=BB25_276 Depth=2
	s_andn2_saveexec_b64 s[36:37], s[36:37]
; %bb.291:                              ;   in Loop: Header=BB25_276 Depth=2
	v_mul_f32_e32 v28, v21, v21
	v_fmamk_f32 v29, v28, 0xbbbac73d, v212
	v_fmaak_f32 v29, v28, v29, 0xbd5c1c4e
	v_fmaak_f32 v29, v28, v29, 0x3e088382
	;; [unrolled: 1-line block ×3, first 2 shown]
	v_mul_f32_e64 v29, |v21|, v29
	v_fma_f32 v28, v28, v29, |v21|
; %bb.292:                              ;   in Loop: Header=BB25_276 Depth=2
	s_or_b64 exec, exec, s[36:37]
	v_cmp_nlt_f32_e64 s[36:37], |v22|, s96
                                        ; implicit-def: $vgpr29
	s_and_saveexec_b64 s[40:41], s[36:37]
	s_xor_b64 s[36:37], exec, s[40:41]
	s_cbranch_execz .LBB25_294
; %bb.293:                              ;   in Loop: Header=BB25_276 Depth=2
	v_add_f32_e64 v29, |v22|, |v22|
	v_mul_f32_e32 v30, 0x3fb8aa3b, v29
	v_rndne_f32_e32 v31, v30
	v_sub_f32_e32 v32, v30, v31
	v_fma_f32 v30, v29, s97, -v30
	v_fmac_f32_e32 v30, 0x32a5705f, v29
	v_add_f32_e32 v30, v32, v30
	v_cvt_i32_f32_e32 v31, v31
	v_exp_f32_e32 v30, v30
	v_cmp_ngt_f32_e32 vcc, s80, v29
	v_ldexp_f32 v30, v30, v31
	s_nop 0
	v_cndmask_b32_e32 v30, 0, v30, vcc
	v_cmp_nlt_f32_e32 vcc, s73, v29
	s_nop 1
	v_cndmask_b32_e32 v29, v214, v30, vcc
	v_add_f32_e32 v29, 1.0, v29
	v_rcp_f32_e32 v29, v29
	s_nop 0
	v_fma_f32 v29, v29, -2.0, 1.0
.LBB25_294:                             ;   in Loop: Header=BB25_276 Depth=2
	s_andn2_saveexec_b64 s[36:37], s[36:37]
; %bb.295:                              ;   in Loop: Header=BB25_276 Depth=2
	v_mul_f32_e32 v29, v22, v22
	v_fmamk_f32 v30, v29, 0xbbbac73d, v212
	v_fmaak_f32 v30, v29, v30, 0xbd5c1c4e
	v_fmaak_f32 v30, v29, v30, 0x3e088382
	v_fmaak_f32 v30, v29, v30, 0xbeaaaa99
	v_mul_f32_e64 v30, |v22|, v30
	v_fma_f32 v29, v29, v30, |v22|
; %bb.296:                              ;   in Loop: Header=BB25_276 Depth=2
	s_or_b64 exec, exec, s[36:37]
	v_cmp_nlt_f32_e64 s[36:37], |v23|, s96
                                        ; implicit-def: $vgpr31
	s_and_saveexec_b64 s[40:41], s[36:37]
	s_xor_b64 s[36:37], exec, s[40:41]
	s_cbranch_execz .LBB25_298
; %bb.297:                              ;   in Loop: Header=BB25_276 Depth=2
	v_add_f32_e64 v30, |v23|, |v23|
	v_mul_f32_e32 v31, 0x3fb8aa3b, v30
	v_rndne_f32_e32 v32, v31
	v_sub_f32_e32 v33, v31, v32
	v_fma_f32 v31, v30, s97, -v31
	v_fmac_f32_e32 v31, 0x32a5705f, v30
	v_add_f32_e32 v31, v33, v31
	v_cvt_i32_f32_e32 v32, v32
	v_exp_f32_e32 v31, v31
	v_cmp_ngt_f32_e32 vcc, s80, v30
	v_ldexp_f32 v31, v31, v32
	s_nop 0
	v_cndmask_b32_e32 v31, 0, v31, vcc
	v_cmp_nlt_f32_e32 vcc, s73, v30
	s_nop 1
	v_cndmask_b32_e32 v30, v214, v31, vcc
	v_add_f32_e32 v30, 1.0, v30
	v_rcp_f32_e32 v30, v30
	s_nop 0
	v_fma_f32 v31, v30, -2.0, 1.0
.LBB25_298:                             ;   in Loop: Header=BB25_276 Depth=2
	s_andn2_saveexec_b64 s[36:37], s[36:37]
; %bb.299:                              ;   in Loop: Header=BB25_276 Depth=2
	v_mul_f32_e32 v30, v23, v23
	v_fmamk_f32 v31, v30, 0xbbbac73d, v212
	v_fmaak_f32 v31, v30, v31, 0xbd5c1c4e
	v_fmaak_f32 v31, v30, v31, 0x3e088382
	;; [unrolled: 1-line block ×3, first 2 shown]
	v_mul_f32_e64 v31, |v23|, v31
	v_fma_f32 v31, v30, v31, |v23|
; %bb.300:                              ;   in Loop: Header=BB25_276 Depth=2
	s_or_b64 exec, exec, s[36:37]
	v_cmp_nlt_f32_e64 s[36:37], |v24|, s96
                                        ; implicit-def: $vgpr32
	s_and_saveexec_b64 s[40:41], s[36:37]
	s_xor_b64 s[36:37], exec, s[40:41]
	s_cbranch_execz .LBB25_302
; %bb.301:                              ;   in Loop: Header=BB25_276 Depth=2
	v_add_f32_e64 v30, |v24|, |v24|
	v_mul_f32_e32 v32, 0x3fb8aa3b, v30
	v_rndne_f32_e32 v33, v32
	v_sub_f32_e32 v34, v32, v33
	v_fma_f32 v32, v30, s97, -v32
	v_fmac_f32_e32 v32, 0x32a5705f, v30
	v_add_f32_e32 v32, v34, v32
	v_cvt_i32_f32_e32 v33, v33
	v_exp_f32_e32 v32, v32
	v_cmp_ngt_f32_e32 vcc, s80, v30
	v_ldexp_f32 v32, v32, v33
	s_nop 0
	v_cndmask_b32_e32 v32, 0, v32, vcc
	v_cmp_nlt_f32_e32 vcc, s73, v30
	s_nop 1
	v_cndmask_b32_e32 v30, v214, v32, vcc
	v_add_f32_e32 v30, 1.0, v30
	v_rcp_f32_e32 v30, v30
	s_nop 0
	v_fma_f32 v32, v30, -2.0, 1.0
.LBB25_302:                             ;   in Loop: Header=BB25_276 Depth=2
	s_andn2_saveexec_b64 s[36:37], s[36:37]
; %bb.303:                              ;   in Loop: Header=BB25_276 Depth=2
	v_mul_f32_e32 v30, v24, v24
	v_fmamk_f32 v32, v30, 0xbbbac73d, v212
	v_fmaak_f32 v32, v30, v32, 0xbd5c1c4e
	v_fmaak_f32 v32, v30, v32, 0x3e088382
	;; [unrolled: 1-line block ×3, first 2 shown]
	v_mul_f32_e64 v32, |v24|, v32
	v_fma_f32 v32, v30, v32, |v24|
; %bb.304:                              ;   in Loop: Header=BB25_276 Depth=2
	s_or_b64 exec, exec, s[36:37]
	v_cmp_nlt_f32_e64 s[36:37], |v25|, s96
                                        ; implicit-def: $vgpr33
	s_and_saveexec_b64 s[40:41], s[36:37]
	s_xor_b64 s[36:37], exec, s[40:41]
	s_cbranch_execz .LBB25_306
; %bb.305:                              ;   in Loop: Header=BB25_276 Depth=2
	v_add_f32_e64 v30, |v25|, |v25|
	v_mul_f32_e32 v33, 0x3fb8aa3b, v30
	v_rndne_f32_e32 v34, v33
	v_sub_f32_e32 v35, v33, v34
	v_fma_f32 v33, v30, s97, -v33
	v_fmac_f32_e32 v33, 0x32a5705f, v30
	v_add_f32_e32 v33, v35, v33
	v_cvt_i32_f32_e32 v34, v34
	v_exp_f32_e32 v33, v33
	v_cmp_ngt_f32_e32 vcc, s80, v30
	v_ldexp_f32 v33, v33, v34
	s_nop 0
	v_cndmask_b32_e32 v33, 0, v33, vcc
	v_cmp_nlt_f32_e32 vcc, s73, v30
	s_nop 1
	v_cndmask_b32_e32 v30, v214, v33, vcc
	v_add_f32_e32 v30, 1.0, v30
	v_rcp_f32_e32 v30, v30
	s_nop 0
	v_fma_f32 v33, v30, -2.0, 1.0
.LBB25_306:                             ;   in Loop: Header=BB25_276 Depth=2
	s_andn2_saveexec_b64 s[36:37], s[36:37]
; %bb.307:                              ;   in Loop: Header=BB25_276 Depth=2
	v_mul_f32_e32 v30, v25, v25
	v_fmamk_f32 v33, v30, 0xbbbac73d, v212
	v_fmaak_f32 v33, v30, v33, 0xbd5c1c4e
	v_fmaak_f32 v33, v30, v33, 0x3e088382
	;; [unrolled: 1-line block ×3, first 2 shown]
	v_mul_f32_e64 v33, |v25|, v33
	v_fma_f32 v33, v30, v33, |v25|
; %bb.308:                              ;   in Loop: Header=BB25_276 Depth=2
	s_or_b64 exec, exec, s[36:37]
	v_bfi_b32 v1, s78, v1, v18
	v_mul_f32_e32 v34, s85, v1
	v_bfi_b32 v1, s78, v26, v19
	v_bfi_b32 v22, s78, v29, v22
	v_mul_f32_e32 v35, s85, v1
	v_bfi_b32 v1, s78, v27, v20
	v_mul_f32_e32 v30, s85, v22
	;; [unrolled: 2-line block ×6, first 2 shown]
	v_mul_f32_e32 v33, s85, v1
	s_and_b64 vcc, exec, s[2:3]
	s_cbranch_vccz .LBB25_313
; %bb.309:                              ;   in Loop: Header=BB25_276 Depth=2
	v_add_u32_e32 v1, 0x4400, v166
	ds_read2_b32 v[18:19], v1 offset1:1
	ds_read_b32 v1, v168 offset:17408
	ds_read_b32 v22, v170 offset:17408
	v_mov_b32_e32 v91, v90
	s_waitcnt lgkmcnt(2)
	v_cvt_f32_f16_e32 v20, v18
	v_cvt_f32_f16_sdwa v21, v18 dst_sel:DWORD dst_unused:UNUSED_PAD src0_sel:WORD_1
	v_cvt_f32_f16_e32 v18, v19
	v_cvt_f32_f16_sdwa v19, v19 dst_sel:DWORD dst_unused:UNUSED_PAD src0_sel:WORD_1
	s_waitcnt lgkmcnt(1)
	v_cvt_f32_f16_sdwa v25, v1 dst_sel:DWORD dst_unused:UNUSED_PAD src0_sel:WORD_1
	s_waitcnt lgkmcnt(0)
	v_cvt_f32_f16_sdwa v27, v22 dst_sel:DWORD dst_unused:UNUSED_PAD src0_sel:WORD_1
	v_cvt_f32_f16_e32 v26, v22
	v_cvt_f32_f16_e32 v24, v1
	v_pk_fma_f32 v[22:23], v[90:91], v[18:19], v[36:37]
	v_pk_fma_f32 v[20:21], v[92:93], v[20:21], v[34:35]
	;; [unrolled: 1-line block ×4, first 2 shown]
	s_cbranch_execnz .LBB25_311
.LBB25_310:                             ;   in Loop: Header=BB25_276 Depth=2
	v_mov_b64_e32 v[26:27], v[30:31]
	v_mov_b64_e32 v[20:21], v[34:35]
	;; [unrolled: 1-line block ×4, first 2 shown]
.LBB25_311:                             ;   in Loop: Header=BB25_276 Depth=2
	v_add_f32_e32 v1, 0x40051340, v20
	v_max_f32_e32 v18, v234, v234
	v_max_f32_e32 v1, v18, v1
	v_cndmask_b32_e64 v1, v234, v1, s[14:15]
	v_add_f32_e32 v18, 0x40051340, v21
	v_max_f32_e32 v19, v1, v1
	v_max_f32_e32 v18, v19, v18
	v_cndmask_b32_e64 v1, v1, v18, s[16:17]
	;; [unrolled: 4-line block ×8, first 2 shown]
	ds_bpermute_b32 v18, v48, v1
	v_max_f32_e32 v1, v1, v1
	v_lshl_add_u64 v[30:31], v[110:111], 0, v[70:71]
	v_cndmask_b32_e64 v30, v217, v30, s[54:55]
	scratch_store_dwordx4 off, v[236:239], off
	s_waitcnt lgkmcnt(0)
	v_max_f32_e32 v18, v18, v18
	v_max_f32_e32 v1, v1, v18
	ds_bpermute_b32 v18, v227, v1
	s_add_i32 s38, s38, -1
	v_lshl_add_u64 v[94:95], v[94:95], 0, s[98:99]
	v_lshl_add_u64 v[96:97], v[96:97], 0, s[98:99]
	;; [unrolled: 1-line block ×3, first 2 shown]
	s_waitcnt lgkmcnt(0)
	v_max_f32_e32 v18, v18, v18
	v_max_f32_e32 v218, v1, v18
	v_sub_f32_e32 v1, v20, v218
	v_mul_f32_e32 v18, 0x3fb8aa3b, v1
	v_fma_f32 v19, v1, s97, -v18
	v_rndne_f32_e32 v20, v18
	v_fmac_f32_e32 v19, 0x32a5705f, v1
	v_sub_f32_e32 v18, v18, v20
	v_add_f32_e32 v18, v18, v19
	v_exp_f32_e32 v18, v18
	v_cvt_i32_f32_e32 v19, v20
	v_cmp_ngt_f32_e32 vcc, s80, v1
	v_lshl_add_u64 v[100:101], v[100:101], 0, s[98:99]
	v_lshl_add_u64 v[102:103], v[102:103], 0, s[98:99]
	v_ldexp_f32 v18, v18, v19
	v_cndmask_b32_e32 v18, 0, v18, vcc
	v_cmp_nlt_f32_e32 vcc, s73, v1
	v_lshl_add_u64 v[104:105], v[104:105], 0, s[98:99]
	v_lshl_add_u64 v[106:107], v[106:107], 0, s[98:99]
	v_cndmask_b32_e32 v1, v214, v18, vcc
	v_cndmask_b32_e64 v20, 0, v1, s[14:15]
	v_sub_f32_e32 v1, v21, v218
	v_mul_f32_e32 v18, 0x3fb8aa3b, v1
	v_fma_f32 v19, v1, s97, -v18
	v_rndne_f32_e32 v21, v18
	v_fmac_f32_e32 v19, 0x32a5705f, v1
	v_sub_f32_e32 v18, v18, v21
	v_add_f32_e32 v18, v18, v19
	v_exp_f32_e32 v18, v18
	v_cvt_i32_f32_e32 v19, v21
	v_cmp_ngt_f32_e32 vcc, s80, v1
	v_lshl_add_u64 v[108:109], v[108:109], 0, s[98:99]
	v_lshl_add_u64 v[110:111], v[110:111], 0, s[86:87]
	v_ldexp_f32 v18, v18, v19
	v_cndmask_b32_e32 v18, 0, v18, vcc
	v_cmp_nlt_f32_e32 vcc, s73, v1
	v_mov_b32_e32 v1, s9
	v_lshl_add_u64 v[118:119], v[118:119], 0, s[30:31]
	v_cndmask_b32_e32 v18, v214, v18, vcc
	v_add_f32_e32 v21, v18, v20
	v_cndmask_b32_e64 v19, v1, v18, s[16:17]
	v_sub_f32_e32 v18, v22, v218
	v_cndmask_b32_e64 v1, v20, v21, s[16:17]
	v_mul_f32_e32 v21, 0x3fb8aa3b, v18
	v_fma_f32 v22, v18, s97, -v21
	v_rndne_f32_e32 v24, v21
	v_fmac_f32_e32 v22, 0x32a5705f, v18
	v_sub_f32_e32 v21, v21, v24
	v_add_f32_e32 v21, v21, v22
	v_exp_f32_e32 v21, v21
	v_cvt_i32_f32_e32 v22, v24
	v_cmp_ngt_f32_e32 vcc, s80, v18
	v_lshl_add_u64 v[120:121], v[120:121], 0, s[30:31]
	v_lshl_add_u64 v[122:123], v[122:123], 0, s[30:31]
	v_ldexp_f32 v21, v21, v22
	v_cndmask_b32_e32 v21, 0, v21, vcc
	v_cmp_nlt_f32_e32 vcc, s73, v18
	v_mov_b32_e32 v18, s9
	v_lshl_add_u64 v[124:125], v[124:125], 0, s[30:31]
	v_cndmask_b32_e32 v21, v214, v21, vcc
	v_cndmask_b32_e64 v24, v18, v21, s[18:19]
	v_sub_f32_e32 v18, v23, v218
	v_add_f32_e32 v22, v1, v21
	v_mul_f32_e32 v21, 0x3fb8aa3b, v18
	v_cndmask_b32_e64 v1, v1, v22, s[18:19]
	v_fma_f32 v22, v18, s97, -v21
	v_rndne_f32_e32 v23, v21
	v_fmac_f32_e32 v22, 0x32a5705f, v18
	v_sub_f32_e32 v21, v21, v23
	v_add_f32_e32 v21, v21, v22
	v_exp_f32_e32 v21, v21
	v_cvt_i32_f32_e32 v22, v23
	v_cmp_ngt_f32_e32 vcc, s80, v18
	s_cmp_lg_u32 s38, 0
	v_ldexp_f32 v21, v21, v22
	v_cndmask_b32_e32 v21, 0, v21, vcc
	v_cmp_nlt_f32_e32 vcc, s73, v18
	s_nop 1
	v_cndmask_b32_e32 v18, v214, v21, vcc
	v_mov_b32_e32 v21, s9
	v_add_f32_e32 v22, v1, v18
	v_cndmask_b32_e64 v232, v21, v18, s[20:21]
	v_sub_f32_e32 v18, v26, v218
	v_mul_f32_e32 v21, 0x3fb8aa3b, v18
	v_cndmask_b32_e64 v1, v1, v22, s[20:21]
	v_fma_f32 v22, v18, s97, -v21
	v_rndne_f32_e32 v23, v21
	v_fmac_f32_e32 v22, 0x32a5705f, v18
	v_sub_f32_e32 v21, v21, v23
	v_add_f32_e32 v21, v21, v22
	v_exp_f32_e32 v21, v21
	v_cvt_i32_f32_e32 v22, v23
	v_cmp_ngt_f32_e32 vcc, s80, v18
	v_ldexp_f32 v21, v21, v22
	s_nop 0
	v_cndmask_b32_e32 v21, 0, v21, vcc
	v_cmp_nlt_f32_e32 vcc, s73, v18
	v_mov_b32_e32 v18, s9
	s_nop 0
	v_cndmask_b32_e32 v21, v214, v21, vcc
	v_add_f32_e32 v22, v21, v1
	v_cndmask_b32_e64 v18, v18, v21, s[22:23]
	v_cndmask_b32_e64 v21, v1, v22, s[22:23]
	v_sub_f32_e32 v1, v27, v218
	v_mul_f32_e32 v22, 0x3fb8aa3b, v1
	v_fma_f32 v23, v1, s97, -v22
	v_rndne_f32_e32 v25, v22
	v_fmac_f32_e32 v23, 0x32a5705f, v1
	v_sub_f32_e32 v22, v22, v25
	v_add_f32_e32 v22, v22, v23
	v_exp_f32_e32 v22, v22
	v_cvt_i32_f32_e32 v23, v25
	v_cmp_ngt_f32_e32 vcc, s80, v1
	v_ldexp_f32 v22, v22, v23
	s_nop 0
	v_cndmask_b32_e32 v22, 0, v22, vcc
	v_cmp_nlt_f32_e32 vcc, s73, v1
	v_mov_b32_e32 v1, s9
	s_nop 0
	v_cndmask_b32_e32 v22, v214, v22, vcc
	v_add_f32_e32 v23, v22, v21
	v_cndmask_b32_e64 v1, v1, v22, s[24:25]
	v_sub_f32_e32 v22, v28, v218
	v_cndmask_b32_e64 v21, v21, v23, s[24:25]
	v_mul_f32_e32 v23, 0x3fb8aa3b, v22
	v_fma_f32 v25, v22, s97, -v23
	v_rndne_f32_e32 v26, v23
	v_fmac_f32_e32 v25, 0x32a5705f, v22
	v_sub_f32_e32 v23, v23, v26
	v_add_f32_e32 v23, v23, v25
	v_exp_f32_e32 v23, v23
	v_cvt_i32_f32_e32 v25, v26
	v_cmp_ngt_f32_e32 vcc, s80, v22
	v_ldexp_f32 v23, v23, v25
	s_nop 0
	v_cndmask_b32_e32 v23, 0, v23, vcc
	v_cmp_nlt_f32_e32 vcc, s73, v22
	v_mov_b32_e32 v22, s9
	s_nop 0
	v_cndmask_b32_e32 v23, v214, v23, vcc
	v_add_f32_e32 v25, v23, v21
	v_cndmask_b32_e64 v22, v22, v23, s[26:27]
	v_cndmask_b32_e64 v23, v21, v25, s[26:27]
	v_sub_f32_e32 v21, v29, v218
	v_mul_f32_e32 v25, 0x3fb8aa3b, v21
	v_fma_f32 v26, v21, s97, -v25
	v_rndne_f32_e32 v27, v25
	v_fmac_f32_e32 v26, 0x32a5705f, v21
	v_sub_f32_e32 v25, v25, v27
	v_add_f32_e32 v25, v25, v26
	v_exp_f32_e32 v25, v25
	v_cvt_i32_f32_e32 v26, v27
	v_cmp_ngt_f32_e32 vcc, s80, v21
	v_ldexp_f32 v25, v25, v26
	s_nop 0
	v_cndmask_b32_e32 v25, 0, v25, vcc
	v_cmp_nlt_f32_e32 vcc, s73, v21
	v_mov_b32_e32 v21, s9
	s_nop 0
	v_cndmask_b32_e32 v25, v214, v25, vcc
	v_add_f32_e32 v26, v25, v23
	v_cndmask_b32_e64 v91, v23, v26, s[28:29]
	v_sub_f32_e32 v23, v234, v218
	v_cndmask_b32_e64 v21, v21, v25, s[28:29]
	v_mul_f32_e32 v25, 0x3fb8aa3b, v23
	v_fma_f32 v26, v23, s97, -v25
	v_rndne_f32_e32 v27, v25
	v_fmac_f32_e32 v26, 0x32a5705f, v23
	v_sub_f32_e32 v25, v25, v27
	v_add_f32_e32 v25, v25, v26
	v_exp_f32_e32 v25, v25
	v_cvt_i32_f32_e32 v26, v27
	v_cmp_ngt_f32_e32 vcc, s80, v23
	v_ldexp_f32 v25, v25, v26
	s_nop 0
	v_cndmask_b32_e32 v25, 0, v25, vcc
	v_cmp_nlt_f32_e32 vcc, s73, v23
	s_nop 1
	v_cndmask_b32_e32 v25, v214, v25, vcc
	v_cmp_le_f32_e32 vcc, s35, v23
	s_nop 1
	v_cndmask_b32_e32 v23, 0, v25, vcc
	v_fmac_f32_e32 v91, v233, v23
	v_cvt_f16_f32_e32 v23, v23
	v_mul_u32_u24_e32 v26, 0x10001, v23
	v_pk_mul_f16 v27, v231, v26
	v_pk_mul_f16 v29, v230, v26
	;; [unrolled: 1-line block ×16, first 2 shown]
	v_mov_b32_e32 v26, s81
	v_cndmask_b32_e64 v31, v26, v31, s[54:55]
	v_lshl_add_u64 v[126:127], v[116:117], 0, v[70:71]
	v_cndmask_b32_e64 v231, v26, v127, s[12:13]
	v_cndmask_b32_e64 v230, v217, v126, s[12:13]
	flat_load_dwordx4 v[126:129], v[30:31]
	v_lshl_add_u64 v[40:41], v[112:113], 0, v[70:71]
	v_cndmask_b32_e64 v41, v26, v41, s[4:5]
	v_cndmask_b32_e64 v40, v217, v40, s[4:5]
	v_lshl_add_u64 v[44:45], v[114:115], 0, v[70:71]
	v_cndmask_b32_e64 v45, v26, v45, s[10:11]
	v_cndmask_b32_e64 v44, v217, v44, s[10:11]
	v_cvt_f32_f16_e32 v26, v27
	v_cvt_f32_f16_sdwa v27, v27 dst_sel:DWORD dst_unused:UNUSED_PAD src0_sel:WORD_1
	v_cvt_f32_f16_e32 v28, v29
	v_cvt_f32_f16_sdwa v29, v29 dst_sel:DWORD dst_unused:UNUSED_PAD src0_sel:WORD_1
	v_cvt_f32_f16_sdwa v233, v33 dst_sel:DWORD dst_unused:UNUSED_PAD src0_sel:WORD_1
	v_cvt_f32_f16_e32 v234, v32
	v_cvt_f32_f16_sdwa v235, v32 dst_sel:DWORD dst_unused:UNUSED_PAD src0_sel:WORD_1
	v_lshl_add_u64 v[112:113], v[112:113], 0, s[86:87]
	v_lshl_add_u64 v[114:115], v[114:115], 0, s[86:87]
	v_lshl_add_u64 v[116:117], v[116:117], 0, s[86:87]
	s_waitcnt vmcnt(0) lgkmcnt(0)
	ds_write_b128 v144, v[126:129]
	flat_load_dwordx4 v[126:129], v[40:41]
	s_waitcnt vmcnt(0) lgkmcnt(0)
	ds_write_b128 v200, v[126:129]
	flat_load_dwordx4 v[126:129], v[44:45]
	;; [unrolled: 3-line block ×3, first 2 shown]
	v_add_u32_e32 v230, v145, v171
	s_waitcnt vmcnt(0) lgkmcnt(0)
	ds_write_b128 v204, v[126:129]
	s_waitcnt lgkmcnt(0)
	s_barrier
	ds_read_u16 v30, v172 offset:272
	ds_read_u16 v31, v172 offset:544
	ds_read_u16 v41, v172
	ds_read_u16 v40, v172 offset:32
	v_cvt_pk_f16_f32 v129, v24, v232
	v_cvt_pk_f16_f32 v128, v20, v19
	;; [unrolled: 1-line block ×3, first 2 shown]
	s_waitcnt lgkmcnt(1)
	v_perm_b32 v30, v30, v41, s92
	ds_read_u16 v44, v230
	ds_read_u16 v41, v230 offset:32
	v_cvt_pk_f16_f32 v126, v18, v1
	v_cvt_f32_f16_e32 v232, v33
	s_waitcnt lgkmcnt(1)
	v_perm_b32 v31, v44, v31, s92
	s_nop 1
	v_mfma_f32_16x16x16_f16 v[26:29], v[30:31], v[128:129], v[26:29]
	ds_read_u16 v30, v172 offset:8704
	ds_read_u16 v31, v172 offset:8976
	;; [unrolled: 1-line block ×4, first 2 shown]
	s_nop 3
	v_cvt_f16_f32_e32 v19, v26
	v_cvt_f16_f32_e32 v20, v27
	;; [unrolled: 1-line block ×4, first 2 shown]
	s_waitcnt lgkmcnt(2)
	v_perm_b32 v30, v31, v30, s92
	s_waitcnt lgkmcnt(0)
	v_perm_b32 v31, v45, v44, s92
	v_cvt_f32_f16_e32 v26, v19
	v_cvt_f32_f16_e32 v27, v20
	;; [unrolled: 1-line block ×5, first 2 shown]
	v_cvt_f32_f16_sdwa v25, v25 dst_sel:DWORD dst_unused:UNUSED_PAD src0_sel:WORD_1
	v_mfma_f32_16x16x16_f16 v[18:21], v[30:31], v[126:127], v[26:29]
	ds_read_u16 v1, v172 offset:304
	s_nop 1
	ds_read_u16 v28, v172 offset:576
	v_cvt_f32_f16_e32 v26, v23
	v_cvt_f32_f16_sdwa v27, v23 dst_sel:DWORD dst_unused:UNUSED_PAD src0_sel:WORD_1
	s_waitcnt lgkmcnt(1)
	v_perm_b32 v22, v1, v40, s92
	s_waitcnt lgkmcnt(0)
	v_perm_b32 v23, v41, v28, s92
	s_nop 1
	v_mfma_f32_16x16x16_f16 v[22:25], v[22:23], v[128:129], v[24:27]
	s_nop 2
	ds_read_u16 v26, v172 offset:8736
	ds_read_u16 v27, v172 offset:9008
	;; [unrolled: 1-line block ×4, first 2 shown]
	s_nop 0
	v_cvt_f16_f32_e32 v1, v22
	v_cvt_f16_f32_e32 v23, v23
	v_cvt_f16_f32_e32 v24, v24
	v_cvt_f16_f32_e32 v25, v25
	v_cvt_f32_f16_e32 v22, v1
	ds_read_u16 v1, v172 offset:64
	ds_read_u16 v30, v172 offset:336
	;; [unrolled: 1-line block ×4, first 2 shown]
	s_waitcnt lgkmcnt(6)
	v_perm_b32 v26, v27, v26, s92
	s_waitcnt lgkmcnt(4)
	v_perm_b32 v27, v29, v28, s92
	v_cvt_f32_f16_e32 v23, v23
	v_cvt_f32_f16_e32 v24, v24
	;; [unrolled: 1-line block ×3, first 2 shown]
	s_waitcnt lgkmcnt(2)
	v_perm_b32 v30, v30, v1, s92
	s_waitcnt lgkmcnt(0)
	v_perm_b32 v31, v40, v31, s92
	v_mfma_f32_16x16x16_f16 v[22:25], v[26:27], v[126:127], v[22:25]
	v_cvt_f32_f16_e32 v26, v37
	v_cvt_f32_f16_sdwa v27, v37 dst_sel:DWORD dst_unused:UNUSED_PAD src0_sel:WORD_1
	v_cvt_f32_f16_e32 v28, v36
	v_cvt_f32_f16_sdwa v29, v36 dst_sel:DWORD dst_unused:UNUSED_PAD src0_sel:WORD_1
	s_nop 1
	v_mfma_f32_16x16x16_f16 v[26:29], v[30:31], v[128:129], v[26:29]
	ds_read_u16 v30, v172 offset:8768
	ds_read_u16 v31, v172 offset:9040
	ds_read_u16 v36, v172 offset:9312
	ds_read_u16 v37, v230 offset:8768
	s_nop 3
	v_cvt_f16_f32_e32 v1, v26
	v_cvt_f16_f32_e32 v27, v27
	;; [unrolled: 1-line block ×4, first 2 shown]
	s_waitcnt lgkmcnt(2)
	v_perm_b32 v30, v31, v30, s92
	s_waitcnt lgkmcnt(0)
	v_perm_b32 v31, v37, v36, s92
	v_cvt_f32_f16_e32 v26, v1
	v_cvt_f32_f16_e32 v27, v27
	;; [unrolled: 1-line block ×4, first 2 shown]
	s_nop 1
	v_mfma_f32_16x16x16_f16 v[26:29], v[30:31], v[126:127], v[26:29]
	ds_read_u16 v1, v172 offset:96
	ds_read_u16 v30, v172 offset:368
	;; [unrolled: 1-line block ×4, first 2 shown]
	s_waitcnt lgkmcnt(2)
	v_perm_b32 v30, v30, v1, s92
	s_waitcnt lgkmcnt(0)
	v_perm_b32 v31, v36, v31, s92
	ds_read_u16 v36, v172 offset:8800
	ds_read_u16 v37, v172 offset:9072
	;; [unrolled: 1-line block ×4, first 2 shown]
	v_mfma_f32_16x16x16_f16 v[30:33], v[30:31], v[128:129], v[232:235]
	s_waitcnt lgkmcnt(2)
	v_perm_b32 v36, v37, v36, s92
	s_waitcnt lgkmcnt(0)
	v_perm_b32 v37, v41, v40, s92
	v_cvt_f32_f16_e32 v232, v35
	s_nop 2
	v_cvt_f16_f32_e32 v1, v30
	v_cvt_f16_f32_e32 v31, v31
	;; [unrolled: 1-line block ×4, first 2 shown]
	v_cvt_f32_f16_e32 v30, v1
	v_cvt_f32_f16_e32 v31, v31
	;; [unrolled: 1-line block ×4, first 2 shown]
	v_cvt_f32_f16_sdwa v233, v35 dst_sel:DWORD dst_unused:UNUSED_PAD src0_sel:WORD_1
	v_cvt_f32_f16_e32 v234, v34
	v_mfma_f32_16x16x16_f16 v[30:33], v[36:37], v[126:127], v[30:33]
	ds_read_u16 v1, v172 offset:128
	ds_read_u16 v36, v172 offset:400
	;; [unrolled: 1-line block ×4, first 2 shown]
	v_cvt_f32_f16_sdwa v235, v34 dst_sel:DWORD dst_unused:UNUSED_PAD src0_sel:WORD_1
	s_waitcnt lgkmcnt(2)
	v_perm_b32 v34, v36, v1, s92
	s_waitcnt lgkmcnt(0)
	v_perm_b32 v35, v40, v37, s92
	ds_read_u16 v40, v172 offset:8832
	ds_read_u16 v41, v172 offset:9104
	ds_read_u16 v44, v172 offset:9376
	ds_read_u16 v45, v230 offset:8832
	v_mfma_f32_16x16x16_f16 v[34:37], v[34:35], v[128:129], v[232:235]
	s_waitcnt lgkmcnt(2)
	v_perm_b32 v40, v41, v40, s92
	s_waitcnt lgkmcnt(0)
	v_perm_b32 v41, v45, v44, s92
	v_cvt_f32_f16_e32 v232, v39
	s_nop 2
	v_cvt_f16_f32_e32 v1, v34
	v_cvt_f16_f32_e32 v35, v35
	;; [unrolled: 1-line block ×4, first 2 shown]
	v_cvt_f32_f16_e32 v34, v1
	v_cvt_f32_f16_e32 v35, v35
	;; [unrolled: 1-line block ×4, first 2 shown]
	v_cvt_f32_f16_sdwa v233, v39 dst_sel:DWORD dst_unused:UNUSED_PAD src0_sel:WORD_1
	v_cvt_f32_f16_e32 v234, v38
	v_mfma_f32_16x16x16_f16 v[34:37], v[40:41], v[126:127], v[34:37]
	ds_read_u16 v1, v172 offset:160
	ds_read_u16 v40, v172 offset:432
	;; [unrolled: 1-line block ×4, first 2 shown]
	v_cvt_f32_f16_sdwa v235, v38 dst_sel:DWORD dst_unused:UNUSED_PAD src0_sel:WORD_1
	s_waitcnt lgkmcnt(2)
	v_perm_b32 v38, v40, v1, s92
	s_waitcnt lgkmcnt(0)
	v_perm_b32 v39, v44, v41, s92
	s_nop 1
	v_mfma_f32_16x16x16_f16 v[38:41], v[38:39], v[128:129], v[232:235]
	ds_read_u16 v44, v172 offset:8864
	ds_read_u16 v45, v172 offset:9136
	;; [unrolled: 1-line block ×4, first 2 shown]
	v_cvt_f32_f16_sdwa v233, v43 dst_sel:DWORD dst_unused:UNUSED_PAD src0_sel:WORD_1
	v_cvt_f32_f16_e32 v234, v42
	s_nop 1
	v_cvt_f16_f32_e32 v1, v38
	v_cvt_f16_f32_e32 v39, v39
	;; [unrolled: 1-line block ×4, first 2 shown]
	s_waitcnt lgkmcnt(2)
	v_perm_b32 v44, v45, v44, s92
	s_waitcnt lgkmcnt(0)
	v_perm_b32 v45, v232, v231, s92
	v_cvt_f32_f16_e32 v38, v1
	v_cvt_f32_f16_e32 v39, v39
	;; [unrolled: 1-line block ×5, first 2 shown]
	v_cvt_f32_f16_sdwa v235, v42 dst_sel:DWORD dst_unused:UNUSED_PAD src0_sel:WORD_1
	v_mfma_f32_16x16x16_f16 v[38:41], v[44:45], v[126:127], v[38:41]
	ds_read_u16 v1, v172 offset:192
	ds_read_u16 v44, v172 offset:464
	ds_read_u16 v45, v172 offset:736
	ds_read_u16 v231, v230 offset:192
	s_waitcnt lgkmcnt(2)
	v_perm_b32 v42, v44, v1, s92
	s_nop 1
	v_cvt_pk_f16_f32 v39, v38, v39
	s_waitcnt lgkmcnt(0)
	v_perm_b32 v43, v231, v45, s92
	v_cvt_pk_f16_f32 v38, v40, v41
	v_cvt_pk_f16_f32 v41, v34, v35
	v_mfma_f32_16x16x16_f16 v[42:45], v[42:43], v[128:129], v[232:235]
	ds_read_u16 v231, v172 offset:8896
	s_nop 1
	ds_read_u16 v232, v172 offset:9168
	ds_read_u16 v233, v172 offset:9440
	;; [unrolled: 1-line block ×3, first 2 shown]
	v_cvt_f32_f16_sdwa v235, v228 dst_sel:DWORD dst_unused:UNUSED_PAD src0_sel:WORD_1
	v_cvt_pk_f16_f32 v40, v36, v37
	v_cvt_f16_f32_e32 v1, v42
	v_cvt_f16_f32_e32 v43, v43
	;; [unrolled: 1-line block ×4, first 2 shown]
	v_cvt_f32_f16_e32 v42, v1
	s_waitcnt lgkmcnt(2)
	v_perm_b32 v232, v232, v231, s92
	s_waitcnt lgkmcnt(0)
	v_perm_b32 v233, v234, v233, s92
	ds_read_u16 v1, v172 offset:224
	ds_read_u16 v231, v172 offset:496
	;; [unrolled: 1-line block ×4, first 2 shown]
	v_cvt_f32_f16_e32 v43, v43
	v_cvt_f32_f16_e32 v44, v44
	;; [unrolled: 1-line block ×4, first 2 shown]
	s_waitcnt lgkmcnt(2)
	v_perm_b32 v228, v231, v1, s92
	v_mfma_f32_16x16x16_f16 v[42:45], v[232:233], v[126:127], v[42:45]
	v_cvt_f32_f16_e32 v232, v229
	v_cvt_f32_f16_sdwa v233, v229 dst_sel:DWORD dst_unused:UNUSED_PAD src0_sel:WORD_1
	s_waitcnt lgkmcnt(0)
	v_perm_b32 v229, v241, v240, s92
	s_nop 1
	v_mfma_f32_16x16x16_f16 v[232:235], v[228:229], v[128:129], v[232:235]
	s_nop 0
	v_cvt_pk_f16_f32 v43, v42, v43
	v_cvt_pk_f16_f32 v42, v44, v45
	;; [unrolled: 1-line block ×3, first 2 shown]
	s_nop 3
	v_cvt_f16_f32_e32 v129, v234
	v_cvt_f16_f32_e32 v228, v235
	ds_read_u16 v229, v172 offset:8928
	ds_read_u16 v234, v172 offset:9200
	;; [unrolled: 1-line block ×4, first 2 shown]
	v_cvt_f16_f32_e32 v128, v233
	v_cvt_f16_f32_e32 v1, v232
	v_cvt_f32_f16_e32 v232, v129
	v_cvt_f32_f16_e32 v233, v228
	;; [unrolled: 1-line block ×3, first 2 shown]
	s_waitcnt lgkmcnt(2)
	v_perm_b32 v128, v234, v229, s92
	s_waitcnt lgkmcnt(0)
	v_perm_b32 v129, v240, v235, s92
	v_cvt_f32_f16_e32 v230, v1
	v_cvt_pk_f16_f32 v44, v32, v33
	v_cvt_pk_f16_f32 v229, v22, v23
	v_mfma_f32_16x16x16_f16 v[126:129], v[128:129], v[126:127], v[230:233]
	v_cvt_pk_f16_f32 v228, v24, v25
	s_nop 1
	v_cvt_pk_f16_f32 v231, v18, v19
	v_cvt_pk_f16_f32 v230, v20, v21
	s_nop 2
	v_cvt_pk_f16_f32 v126, v126, v127
	v_cvt_pk_f16_f32 v127, v128, v129
	;; [unrolled: 1-line block ×4, first 2 shown]
	s_barrier
	s_cbranch_scc0 .LBB25_315
; %bb.312:                              ;   in Loop: Header=BB25_276 Depth=2
	v_mov_b32_e32 v233, v91
	v_mov_b32_e32 v234, v218
	s_andn2_b64 vcc, exec, s[2:3]
	s_cbranch_vccz .LBB25_271
	s_branch .LBB25_276
.LBB25_313:                             ;   in Loop: Header=BB25_276 Depth=2
                                        ; implicit-def: $vgpr20_vgpr21_vgpr22_vgpr23
                                        ; implicit-def: $vgpr26_vgpr27_vgpr28_vgpr29
	s_branch .LBB25_310
.LBB25_314:                             ;   in Loop: Header=BB25_14 Depth=1
	v_mov_b32_e32 v218, 0xfeffffff
	s_mov_b32 s8, 0
	v_mov_b32_e32 v91, 0
	v_mov_b32_e32 v230, 0
	v_mov_b32_e32 v231, 0
	v_mov_b32_e32 v228, 0
	v_mov_b32_e32 v229, 0
	v_mov_b32_e32 v128, 0
	v_mov_b32_e32 v129, 0
	v_mov_b32_e32 v44, 0
	v_mov_b32_e32 v45, 0
	v_mov_b32_e32 v40, 0
	v_mov_b32_e32 v41, 0
	v_mov_b32_e32 v38, 0
	v_mov_b32_e32 v39, 0
	v_mov_b32_e32 v42, 0
	v_mov_b32_e32 v43, 0
	v_mov_b32_e32 v127, 0
	v_mov_b32_e32 v126, 0
	s_branch .LBB25_316
.LBB25_315:                             ;   in Loop: Header=BB25_14 Depth=1
	s_lshl_b32 s8, s8, 6
.LBB25_316:                             ;   in Loop: Header=BB25_14 Depth=1
	v_readlane_b32 s2, v243, 4
	s_sub_i32 s46, s2, s8
	v_readlane_b32 s3, v243, 5
	s_cmp_lg_u64 s[6:7], 0
	s_cselect_b64 s[2:3], -1, 0
	s_cmp_eq_u64 s[6:7], 0
	s_cbranch_scc1 .LBB25_326
; %bb.317:                              ;   in Loop: Header=BB25_14 Depth=1
	s_lshl_b64 s[36:37], s[8:9], 1
	s_add_u32 s36, s6, s36
	s_addc_u32 s37, s7, s37
	v_cmp_le_i32_e32 vcc, s46, v46
	s_and_saveexec_b64 s[6:7], vcc
	s_xor_b64 s[6:7], exec, s[6:7]
	s_cbranch_execz .LBB25_319
; %bb.318:                              ;   in Loop: Header=BB25_14 Depth=1
	ds_write_b16 v142, v49 offset:17408
	ds_write_b16 v192, v49 offset:17408
                                        ; implicit-def: $vgpr219
                                        ; implicit-def: $vgpr221
                                        ; implicit-def: $vgpr223
                                        ; implicit-def: $vgpr225
.LBB25_319:                             ;   in Loop: Header=BB25_14 Depth=1
	s_or_saveexec_b64 s[6:7], s[6:7]
	v_lshlrev_b32_e32 v48, 1, v46
	v_lshl_add_u64 v[18:19], s[36:37], 0, v[48:49]
	v_mov_b32_e32 v1, 0
	v_mov_b32_e32 v20, 0
	s_xor_b64 exec, exec, s[6:7]
	s_cbranch_execz .LBB25_321
; %bb.320:                              ;   in Loop: Header=BB25_14 Depth=1
	v_mul_hi_u32 v1, s90, v219
	v_add_u32_e32 v1, v219, v1
	v_lshrrev_b32_e32 v1, s91, v1
	v_mul_lo_u32 v1, v1, s72
	v_readlane_b32 s36, v242, 12
	v_sub_u32_e32 v1, v219, v1
	v_readlane_b32 s37, v242, 13
	s_mov_b32 s38, s36
	v_mad_i64_i32 v[20:21], s[36:37], v1, s38, 0
	v_lshl_add_u64 v[20:21], v[20:21], 1, v[18:19]
	global_load_ushort v1, v[20:21], off
	v_mul_hi_u32 v20, s90, v221
	v_add_u32_e32 v20, v221, v20
	v_lshrrev_b32_e32 v20, s91, v20
	v_mul_lo_u32 v20, v20, s72
	v_sub_u32_e32 v20, v221, v20
	v_mad_i64_i32 v[20:21], s[36:37], v20, s38, 0
	v_lshl_add_u64 v[20:21], v[20:21], 1, v[18:19]
	global_load_ushort v20, v[20:21], off
	s_waitcnt vmcnt(1)
	ds_write_b16 v142, v1 offset:17408
	s_waitcnt vmcnt(0)
	ds_write_b16 v192, v20 offset:17408
	v_mul_hi_u32 v1, s90, v223
	v_add_u32_e32 v1, v223, v1
	v_lshrrev_b32_e32 v1, s91, v1
	v_mul_lo_u32 v1, v1, s72
	v_sub_u32_e32 v1, v223, v1
	v_mad_i64_i32 v[20:21], s[36:37], v1, s38, 0
	v_lshl_add_u64 v[20:21], v[20:21], 1, v[18:19]
	global_load_ushort v1, v[20:21], off
	v_mul_hi_u32 v20, s90, v225
	v_add_u32_e32 v20, v225, v20
	v_lshrrev_b32_e32 v20, s91, v20
	v_mul_lo_u32 v20, v20, s72
	v_sub_u32_e32 v20, v225, v20
	v_mad_i64_i32 v[20:21], s[36:37], v20, s38, 0
	v_lshl_add_u64 v[20:21], v[20:21], 1, v[18:19]
	global_load_ushort v20, v[20:21], off
.LBB25_321:                             ;   in Loop: Header=BB25_14 Depth=1
	s_or_b64 exec, exec, s[6:7]
	s_waitcnt vmcnt(1)
	ds_write_b16 v193, v1 offset:17408
	s_waitcnt vmcnt(0)
	ds_write_b16 v194, v20 offset:17408
	s_and_saveexec_b64 s[6:7], vcc
	s_xor_b64 s[6:7], exec, s[6:7]
	s_cbranch_execz .LBB25_323
; %bb.322:                              ;   in Loop: Header=BB25_14 Depth=1
	ds_write_b16 v195, v49 offset:17408
	ds_write_b16 v196, v49 offset:17408
                                        ; implicit-def: $vgpr220
                                        ; implicit-def: $vgpr18_vgpr19
                                        ; implicit-def: $vgpr222
                                        ; implicit-def: $vgpr224
                                        ; implicit-def: $vgpr226
.LBB25_323:                             ;   in Loop: Header=BB25_14 Depth=1
	s_or_saveexec_b64 s[6:7], s[6:7]
	v_mov_b32_e32 v1, 0
	v_mov_b32_e32 v20, 0
	s_xor_b64 exec, exec, s[6:7]
	s_cbranch_execz .LBB25_325
; %bb.324:                              ;   in Loop: Header=BB25_14 Depth=1
	v_mul_hi_u32 v1, s90, v220
	v_add_u32_e32 v1, v220, v1
	v_lshrrev_b32_e32 v1, s91, v1
	v_mul_lo_u32 v1, v1, s72
	v_readlane_b32 s36, v242, 12
	v_sub_u32_e32 v1, v220, v1
	v_readlane_b32 s37, v242, 13
	s_mov_b32 s38, s36
	v_mad_i64_i32 v[20:21], s[36:37], v1, s38, 0
	v_lshl_add_u64 v[20:21], v[20:21], 1, v[18:19]
	global_load_ushort v1, v[20:21], off
	v_mul_hi_u32 v20, s90, v222
	v_add_u32_e32 v20, v222, v20
	v_lshrrev_b32_e32 v20, s91, v20
	v_mul_lo_u32 v20, v20, s72
	v_sub_u32_e32 v20, v222, v20
	v_mad_i64_i32 v[20:21], s[36:37], v20, s38, 0
	v_lshl_add_u64 v[20:21], v[20:21], 1, v[18:19]
	global_load_ushort v20, v[20:21], off
	s_waitcnt vmcnt(1)
	ds_write_b16 v195, v1 offset:17408
	s_waitcnt vmcnt(0)
	ds_write_b16 v196, v20 offset:17408
	v_mul_hi_u32 v1, s90, v224
	v_add_u32_e32 v1, v224, v1
	v_lshrrev_b32_e32 v1, s91, v1
	v_mul_lo_u32 v1, v1, s72
	v_sub_u32_e32 v1, v224, v1
	v_mad_i64_i32 v[20:21], s[36:37], v1, s38, 0
	v_lshl_add_u64 v[20:21], v[20:21], 1, v[18:19]
	global_load_ushort v1, v[20:21], off
	v_mul_hi_u32 v20, s90, v226
	v_add_u32_e32 v20, v226, v20
	v_lshrrev_b32_e32 v20, s91, v20
	v_mul_lo_u32 v20, v20, s72
	v_sub_u32_e32 v20, v226, v20
	v_mad_i64_i32 v[20:21], s[36:37], v20, s38, 0
	v_lshl_add_u64 v[18:19], v[20:21], 1, v[18:19]
	global_load_ushort v20, v[18:19], off
.LBB25_325:                             ;   in Loop: Header=BB25_14 Depth=1
	s_or_b64 exec, exec, s[6:7]
	s_waitcnt vmcnt(1)
	ds_write_b16 v197, v1 offset:17408
	s_waitcnt vmcnt(0)
	ds_write_b16 v198, v20 offset:17408
.LBB25_326:                             ;   in Loop: Header=BB25_14 Depth=1
	s_mul_i32 s6, s8, s89
	s_mul_hi_u32 s7, s8, s88
	s_add_i32 s7, s7, s6
	s_mul_i32 s6, s8, s88
	s_lshl_b64 s[6:7], s[6:7], 2
	s_add_u32 s6, s77, s6
	s_addc_u32 s7, s79, s7
	v_lshlrev_b32_e32 v48, 2, v52
	v_lshl_add_u64 v[20:21], v[56:57], 2, s[6:7]
	v_mov_b32_e32 v1, s81
	v_cmp_gt_i32_e64 s[40:41], s46, v199
	v_lshl_add_u64 v[20:21], v[20:21], 0, v[48:49]
	v_lshl_add_u64 v[18:19], v[54:55], 2, s[6:7]
	v_cndmask_b32_e64 v23, v1, v21, s[40:41]
	v_cndmask_b32_e64 v22, v217, v20, s[40:41]
	v_lshl_add_u64 v[20:21], v[58:59], 2, s[6:7]
	v_cmp_gt_i32_e64 s[36:37], s46, v201
	v_lshl_add_u64 v[20:21], v[20:21], 0, v[48:49]
	v_cmp_gt_i32_e64 s[42:43], s46, v143
	v_lshl_add_u64 v[18:19], v[18:19], 0, v[48:49]
	v_cndmask_b32_e64 v25, v1, v21, s[36:37]
	v_cndmask_b32_e64 v24, v217, v20, s[36:37]
	v_lshl_add_u64 v[20:21], v[60:61], 2, s[6:7]
	v_cndmask_b32_e64 v19, v1, v19, s[42:43]
	v_cndmask_b32_e64 v18, v217, v18, s[42:43]
	v_cmp_gt_i32_e64 s[38:39], s46, v203
	v_lshl_add_u64 v[20:21], v[20:21], 0, v[48:49]
	scratch_store_dwordx4 off, v[236:239], off
	v_cndmask_b32_e64 v27, v1, v21, s[38:39]
	v_cndmask_b32_e64 v26, v217, v20, s[38:39]
	flat_load_dwordx4 v[18:21], v[18:19]
	v_add_u32_e32 v1, v141, v164
	s_mov_b64 s[94:95], s[48:49]
	s_waitcnt vmcnt(0) lgkmcnt(0)
	ds_write_b128 v144, v[18:21]
	flat_load_dwordx4 v[18:21], v[22:23]
	s_waitcnt vmcnt(0) lgkmcnt(0)
	ds_write_b128 v200, v[18:21]
	flat_load_dwordx4 v[18:21], v[24:25]
	;; [unrolled: 3-line block ×3, first 2 shown]
	s_waitcnt vmcnt(0) lgkmcnt(0)
	ds_write_b128 v204, v[18:21]
	s_waitcnt lgkmcnt(0)
	s_barrier
	ds_read2_b64 v[18:21], v1 offset1:4
	s_waitcnt lgkmcnt(0)
	v_mfma_f32_16x16x16_f16 v[22:25], v[18:19], v[14:15], 0
	v_mfma_f32_16x16x16_f16 v[18:21], v[20:21], v[16:17], v[22:25]
	s_nop 6
	ds_read2_b64 v[22:25], v1 offset0:8 offset1:12
	s_waitcnt lgkmcnt(0)
	v_mfma_f32_16x16x16_f16 v[18:21], v[22:23], v[10:11], v[18:21]
	v_mfma_f32_16x16x16_f16 v[18:21], v[24:25], v[12:13], v[18:21]
	ds_read2_b64 v[22:25], v1 offset0:16 offset1:20
	s_waitcnt lgkmcnt(0)
	v_mfma_f32_16x16x16_f16 v[18:21], v[22:23], v[6:7], v[18:21]
	v_mfma_f32_16x16x16_f16 v[18:21], v[24:25], v[8:9], v[18:21]
	ds_read2_b64 v[22:25], v1 offset0:24 offset1:28
	v_add_u32_e32 v1, 0x2000, v1
	s_waitcnt lgkmcnt(0)
	v_mfma_f32_16x16x16_f16 v[18:21], v[22:23], v[2:3], v[18:21]
	v_mfma_f32_16x16x16_f16 v[18:21], v[24:25], v[4:5], v[18:21]
	ds_read2_b64 v[22:25], v1 offset0:64 offset1:68
	s_waitcnt lgkmcnt(0)
	v_mfma_f32_16x16x16_f16 v[26:29], v[22:23], v[14:15], 0
	s_nop 4
	v_cmp_nlt_f32_e64 s[6:7], |v18|, s96
	v_mfma_f32_16x16x16_f16 v[14:17], v[24:25], v[16:17], v[26:29]
	ds_read2_b64 v[22:25], v1 offset0:72 offset1:76
	s_waitcnt lgkmcnt(0)
	v_mfma_f32_16x16x16_f16 v[14:17], v[22:23], v[10:11], v[14:17]
	v_mfma_f32_16x16x16_f16 v[10:13], v[24:25], v[12:13], v[14:17]
	s_nop 6
	ds_read2_b64 v[14:17], v1 offset0:80 offset1:84
	s_waitcnt lgkmcnt(0)
	v_mfma_f32_16x16x16_f16 v[10:13], v[14:15], v[6:7], v[10:13]
	v_mfma_f32_16x16x16_f16 v[6:9], v[16:17], v[8:9], v[10:13]
	s_nop 6
	ds_read2_b64 v[10:13], v1 offset0:88 offset1:92
	s_waitcnt lgkmcnt(0)
	v_mfma_f32_16x16x16_f16 v[6:9], v[10:11], v[2:3], v[6:9]
	s_barrier
	v_mfma_f32_16x16x16_f16 v[2:5], v[12:13], v[4:5], v[6:9]
                                        ; implicit-def: $vgpr1
	s_and_saveexec_b64 s[44:45], s[6:7]
	s_xor_b64 s[6:7], exec, s[44:45]
	s_cbranch_execz .LBB25_328
; %bb.327:                              ;   in Loop: Header=BB25_14 Depth=1
	v_add_f32_e64 v1, |v18|, |v18|
	s_nop 1
	v_mul_f32_e32 v6, 0x3fb8aa3b, v1
	v_rndne_f32_e32 v7, v6
	v_sub_f32_e32 v8, v6, v7
	v_fma_f32 v6, v1, s97, -v6
	v_fmac_f32_e32 v6, 0x32a5705f, v1
	v_add_f32_e32 v6, v8, v6
	v_cvt_i32_f32_e32 v7, v7
	v_exp_f32_e32 v6, v6
	v_cmp_ngt_f32_e32 vcc, s80, v1
	v_ldexp_f32 v6, v6, v7
	s_nop 0
	v_cndmask_b32_e32 v6, 0, v6, vcc
	v_cmp_nlt_f32_e32 vcc, s73, v1
	s_nop 1
	v_cndmask_b32_e32 v1, v214, v6, vcc
	v_add_f32_e32 v1, 1.0, v1
	v_rcp_f32_e32 v1, v1
	s_nop 0
	v_fma_f32 v1, v1, -2.0, 1.0
.LBB25_328:                             ;   in Loop: Header=BB25_14 Depth=1
	s_andn2_saveexec_b64 s[6:7], s[6:7]
; %bb.329:                              ;   in Loop: Header=BB25_14 Depth=1
	v_mul_f32_e32 v1, v18, v18
	s_nop 0
	v_fmamk_f32 v6, v1, 0xbbbac73d, v212
	v_fmaak_f32 v6, v1, v6, 0xbd5c1c4e
	v_fmaak_f32 v6, v1, v6, 0x3e088382
	;; [unrolled: 1-line block ×3, first 2 shown]
	v_mul_f32_e64 v6, |v18|, v6
	v_fma_f32 v1, v1, v6, |v18|
; %bb.330:                              ;   in Loop: Header=BB25_14 Depth=1
	s_or_b64 exec, exec, s[6:7]
	v_cmp_nlt_f32_e64 s[6:7], |v19|, s96
                                        ; implicit-def: $vgpr6
	s_and_saveexec_b64 s[44:45], s[6:7]
	s_xor_b64 s[6:7], exec, s[44:45]
	s_cbranch_execz .LBB25_332
; %bb.331:                              ;   in Loop: Header=BB25_14 Depth=1
	v_add_f32_e64 v6, |v19|, |v19|
	v_mul_f32_e32 v7, 0x3fb8aa3b, v6
	v_rndne_f32_e32 v8, v7
	v_sub_f32_e32 v9, v7, v8
	v_fma_f32 v7, v6, s97, -v7
	v_fmac_f32_e32 v7, 0x32a5705f, v6
	v_add_f32_e32 v7, v9, v7
	v_cvt_i32_f32_e32 v8, v8
	v_exp_f32_e32 v7, v7
	v_cmp_ngt_f32_e32 vcc, s80, v6
	v_ldexp_f32 v7, v7, v8
	s_nop 0
	v_cndmask_b32_e32 v7, 0, v7, vcc
	v_cmp_nlt_f32_e32 vcc, s73, v6
	s_nop 1
	v_cndmask_b32_e32 v6, v214, v7, vcc
	v_add_f32_e32 v6, 1.0, v6
	v_rcp_f32_e32 v6, v6
	s_nop 0
	v_fma_f32 v6, v6, -2.0, 1.0
.LBB25_332:                             ;   in Loop: Header=BB25_14 Depth=1
	s_andn2_saveexec_b64 s[6:7], s[6:7]
; %bb.333:                              ;   in Loop: Header=BB25_14 Depth=1
	v_mul_f32_e32 v6, v19, v19
	v_fmamk_f32 v7, v6, 0xbbbac73d, v212
	v_fmaak_f32 v7, v6, v7, 0xbd5c1c4e
	v_fmaak_f32 v7, v6, v7, 0x3e088382
	;; [unrolled: 1-line block ×3, first 2 shown]
	v_mul_f32_e64 v7, |v19|, v7
	v_fma_f32 v6, v6, v7, |v19|
; %bb.334:                              ;   in Loop: Header=BB25_14 Depth=1
	s_or_b64 exec, exec, s[6:7]
	v_cmp_nlt_f32_e64 s[6:7], |v20|, s96
                                        ; implicit-def: $vgpr7
	s_and_saveexec_b64 s[44:45], s[6:7]
	s_xor_b64 s[6:7], exec, s[44:45]
	s_cbranch_execz .LBB25_336
; %bb.335:                              ;   in Loop: Header=BB25_14 Depth=1
	v_add_f32_e64 v7, |v20|, |v20|
	v_mul_f32_e32 v8, 0x3fb8aa3b, v7
	v_rndne_f32_e32 v9, v8
	v_sub_f32_e32 v10, v8, v9
	v_fma_f32 v8, v7, s97, -v8
	v_fmac_f32_e32 v8, 0x32a5705f, v7
	v_add_f32_e32 v8, v10, v8
	v_cvt_i32_f32_e32 v9, v9
	v_exp_f32_e32 v8, v8
	v_cmp_ngt_f32_e32 vcc, s80, v7
	v_ldexp_f32 v8, v8, v9
	s_nop 0
	v_cndmask_b32_e32 v8, 0, v8, vcc
	v_cmp_nlt_f32_e32 vcc, s73, v7
	s_nop 1
	v_cndmask_b32_e32 v7, v214, v8, vcc
	v_add_f32_e32 v7, 1.0, v7
	v_rcp_f32_e32 v7, v7
	s_nop 0
	v_fma_f32 v7, v7, -2.0, 1.0
.LBB25_336:                             ;   in Loop: Header=BB25_14 Depth=1
	s_andn2_saveexec_b64 s[6:7], s[6:7]
; %bb.337:                              ;   in Loop: Header=BB25_14 Depth=1
	v_mul_f32_e32 v7, v20, v20
	v_fmamk_f32 v8, v7, 0xbbbac73d, v212
	v_fmaak_f32 v8, v7, v8, 0xbd5c1c4e
	v_fmaak_f32 v8, v7, v8, 0x3e088382
	;; [unrolled: 1-line block ×3, first 2 shown]
	v_mul_f32_e64 v8, |v20|, v8
	v_fma_f32 v7, v7, v8, |v20|
; %bb.338:                              ;   in Loop: Header=BB25_14 Depth=1
	s_or_b64 exec, exec, s[6:7]
	v_cmp_nlt_f32_e64 s[6:7], |v21|, s96
                                        ; implicit-def: $vgpr8
	s_and_saveexec_b64 s[44:45], s[6:7]
	s_xor_b64 s[6:7], exec, s[44:45]
	s_cbranch_execz .LBB25_340
; %bb.339:                              ;   in Loop: Header=BB25_14 Depth=1
	v_add_f32_e64 v8, |v21|, |v21|
	v_mul_f32_e32 v9, 0x3fb8aa3b, v8
	v_rndne_f32_e32 v10, v9
	v_sub_f32_e32 v11, v9, v10
	v_fma_f32 v9, v8, s97, -v9
	v_fmac_f32_e32 v9, 0x32a5705f, v8
	v_add_f32_e32 v9, v11, v9
	v_cvt_i32_f32_e32 v10, v10
	v_exp_f32_e32 v9, v9
	v_cmp_ngt_f32_e32 vcc, s80, v8
	v_ldexp_f32 v9, v9, v10
	s_nop 0
	v_cndmask_b32_e32 v9, 0, v9, vcc
	v_cmp_nlt_f32_e32 vcc, s73, v8
	s_nop 1
	v_cndmask_b32_e32 v8, v214, v9, vcc
	v_add_f32_e32 v8, 1.0, v8
	v_rcp_f32_e32 v8, v8
	s_nop 0
	v_fma_f32 v8, v8, -2.0, 1.0
.LBB25_340:                             ;   in Loop: Header=BB25_14 Depth=1
	s_andn2_saveexec_b64 s[6:7], s[6:7]
; %bb.341:                              ;   in Loop: Header=BB25_14 Depth=1
	v_mul_f32_e32 v8, v21, v21
	v_fmamk_f32 v9, v8, 0xbbbac73d, v212
	v_fmaak_f32 v9, v8, v9, 0xbd5c1c4e
	v_fmaak_f32 v9, v8, v9, 0x3e088382
	;; [unrolled: 1-line block ×3, first 2 shown]
	v_mul_f32_e64 v9, |v21|, v9
	v_fma_f32 v8, v8, v9, |v21|
; %bb.342:                              ;   in Loop: Header=BB25_14 Depth=1
	s_or_b64 exec, exec, s[6:7]
	v_cmp_nlt_f32_e64 s[6:7], |v2|, s96
                                        ; implicit-def: $vgpr9
	s_and_saveexec_b64 s[44:45], s[6:7]
	s_xor_b64 s[6:7], exec, s[44:45]
	s_cbranch_execz .LBB25_344
; %bb.343:                              ;   in Loop: Header=BB25_14 Depth=1
	v_add_f32_e64 v9, |v2|, |v2|
	v_mul_f32_e32 v10, 0x3fb8aa3b, v9
	v_rndne_f32_e32 v11, v10
	v_sub_f32_e32 v12, v10, v11
	v_fma_f32 v10, v9, s97, -v10
	v_fmac_f32_e32 v10, 0x32a5705f, v9
	v_add_f32_e32 v10, v12, v10
	v_cvt_i32_f32_e32 v11, v11
	v_exp_f32_e32 v10, v10
	v_cmp_ngt_f32_e32 vcc, s80, v9
	v_ldexp_f32 v10, v10, v11
	s_nop 0
	v_cndmask_b32_e32 v10, 0, v10, vcc
	v_cmp_nlt_f32_e32 vcc, s73, v9
	s_nop 1
	v_cndmask_b32_e32 v9, v214, v10, vcc
	v_add_f32_e32 v9, 1.0, v9
	v_rcp_f32_e32 v9, v9
	s_nop 0
	v_fma_f32 v9, v9, -2.0, 1.0
.LBB25_344:                             ;   in Loop: Header=BB25_14 Depth=1
	s_andn2_saveexec_b64 s[6:7], s[6:7]
; %bb.345:                              ;   in Loop: Header=BB25_14 Depth=1
	v_mul_f32_e32 v9, v2, v2
	v_fmamk_f32 v10, v9, 0xbbbac73d, v212
	v_fmaak_f32 v10, v9, v10, 0xbd5c1c4e
	v_fmaak_f32 v10, v9, v10, 0x3e088382
	;; [unrolled: 1-line block ×3, first 2 shown]
	v_mul_f32_e64 v10, |v2|, v10
	v_fma_f32 v9, v9, v10, |v2|
; %bb.346:                              ;   in Loop: Header=BB25_14 Depth=1
	s_or_b64 exec, exec, s[6:7]
	v_cmp_nlt_f32_e64 s[6:7], |v3|, s96
                                        ; implicit-def: $vgpr11
	s_and_saveexec_b64 s[44:45], s[6:7]
	s_xor_b64 s[6:7], exec, s[44:45]
	s_cbranch_execz .LBB25_348
; %bb.347:                              ;   in Loop: Header=BB25_14 Depth=1
	v_add_f32_e64 v10, |v3|, |v3|
	v_mul_f32_e32 v11, 0x3fb8aa3b, v10
	v_rndne_f32_e32 v12, v11
	v_sub_f32_e32 v13, v11, v12
	v_fma_f32 v11, v10, s97, -v11
	v_fmac_f32_e32 v11, 0x32a5705f, v10
	v_add_f32_e32 v11, v13, v11
	v_cvt_i32_f32_e32 v12, v12
	v_exp_f32_e32 v11, v11
	v_cmp_ngt_f32_e32 vcc, s80, v10
	v_ldexp_f32 v11, v11, v12
	s_nop 0
	v_cndmask_b32_e32 v11, 0, v11, vcc
	v_cmp_nlt_f32_e32 vcc, s73, v10
	s_nop 1
	v_cndmask_b32_e32 v10, v214, v11, vcc
	v_add_f32_e32 v10, 1.0, v10
	v_rcp_f32_e32 v10, v10
	s_nop 0
	v_fma_f32 v11, v10, -2.0, 1.0
.LBB25_348:                             ;   in Loop: Header=BB25_14 Depth=1
	s_andn2_saveexec_b64 s[6:7], s[6:7]
; %bb.349:                              ;   in Loop: Header=BB25_14 Depth=1
	v_mul_f32_e32 v10, v3, v3
	v_fmamk_f32 v11, v10, 0xbbbac73d, v212
	v_fmaak_f32 v11, v10, v11, 0xbd5c1c4e
	v_fmaak_f32 v11, v10, v11, 0x3e088382
	;; [unrolled: 1-line block ×3, first 2 shown]
	v_mul_f32_e64 v11, |v3|, v11
	v_fma_f32 v11, v10, v11, |v3|
; %bb.350:                              ;   in Loop: Header=BB25_14 Depth=1
	s_or_b64 exec, exec, s[6:7]
	v_cmp_nlt_f32_e64 s[6:7], |v4|, s96
                                        ; implicit-def: $vgpr12
	s_and_saveexec_b64 s[44:45], s[6:7]
	s_xor_b64 s[6:7], exec, s[44:45]
	s_cbranch_execz .LBB25_352
; %bb.351:                              ;   in Loop: Header=BB25_14 Depth=1
	v_add_f32_e64 v10, |v4|, |v4|
	v_mul_f32_e32 v12, 0x3fb8aa3b, v10
	v_rndne_f32_e32 v13, v12
	v_sub_f32_e32 v14, v12, v13
	v_fma_f32 v12, v10, s97, -v12
	v_fmac_f32_e32 v12, 0x32a5705f, v10
	v_add_f32_e32 v12, v14, v12
	v_cvt_i32_f32_e32 v13, v13
	v_exp_f32_e32 v12, v12
	v_cmp_ngt_f32_e32 vcc, s80, v10
	v_ldexp_f32 v12, v12, v13
	s_nop 0
	v_cndmask_b32_e32 v12, 0, v12, vcc
	v_cmp_nlt_f32_e32 vcc, s73, v10
	s_nop 1
	v_cndmask_b32_e32 v10, v214, v12, vcc
	v_add_f32_e32 v10, 1.0, v10
	v_rcp_f32_e32 v10, v10
	s_nop 0
	v_fma_f32 v12, v10, -2.0, 1.0
.LBB25_352:                             ;   in Loop: Header=BB25_14 Depth=1
	s_andn2_saveexec_b64 s[6:7], s[6:7]
; %bb.353:                              ;   in Loop: Header=BB25_14 Depth=1
	v_mul_f32_e32 v10, v4, v4
	v_fmamk_f32 v12, v10, 0xbbbac73d, v212
	v_fmaak_f32 v12, v10, v12, 0xbd5c1c4e
	v_fmaak_f32 v12, v10, v12, 0x3e088382
	;; [unrolled: 1-line block ×3, first 2 shown]
	v_mul_f32_e64 v12, |v4|, v12
	v_fma_f32 v12, v10, v12, |v4|
; %bb.354:                              ;   in Loop: Header=BB25_14 Depth=1
	s_or_b64 exec, exec, s[6:7]
	v_cmp_nlt_f32_e64 s[6:7], |v5|, s96
                                        ; implicit-def: $vgpr13
	s_and_saveexec_b64 s[44:45], s[6:7]
	s_xor_b64 s[6:7], exec, s[44:45]
	s_cbranch_execz .LBB25_356
; %bb.355:                              ;   in Loop: Header=BB25_14 Depth=1
	v_add_f32_e64 v10, |v5|, |v5|
	v_mul_f32_e32 v13, 0x3fb8aa3b, v10
	v_rndne_f32_e32 v14, v13
	v_sub_f32_e32 v15, v13, v14
	v_fma_f32 v13, v10, s97, -v13
	v_fmac_f32_e32 v13, 0x32a5705f, v10
	v_add_f32_e32 v13, v15, v13
	v_cvt_i32_f32_e32 v14, v14
	v_exp_f32_e32 v13, v13
	v_cmp_ngt_f32_e32 vcc, s80, v10
	v_ldexp_f32 v13, v13, v14
	s_nop 0
	v_cndmask_b32_e32 v13, 0, v13, vcc
	v_cmp_nlt_f32_e32 vcc, s73, v10
	s_nop 1
	v_cndmask_b32_e32 v10, v214, v13, vcc
	v_add_f32_e32 v10, 1.0, v10
	v_rcp_f32_e32 v10, v10
	s_nop 0
	v_fma_f32 v13, v10, -2.0, 1.0
.LBB25_356:                             ;   in Loop: Header=BB25_14 Depth=1
	s_andn2_saveexec_b64 s[6:7], s[6:7]
; %bb.357:                              ;   in Loop: Header=BB25_14 Depth=1
	v_mul_f32_e32 v10, v5, v5
	v_fmamk_f32 v13, v10, 0xbbbac73d, v212
	v_fmaak_f32 v13, v10, v13, 0xbd5c1c4e
	v_fmaak_f32 v13, v10, v13, 0x3e088382
	;; [unrolled: 1-line block ×3, first 2 shown]
	v_mul_f32_e64 v13, |v5|, v13
	v_fma_f32 v13, v10, v13, |v5|
; %bb.358:                              ;   in Loop: Header=BB25_14 Depth=1
	s_or_b64 exec, exec, s[6:7]
	v_bfi_b32 v1, s78, v1, v18
	v_mul_f32_e32 v14, s85, v1
	v_bfi_b32 v1, s78, v6, v19
	v_bfi_b32 v2, s78, v9, v2
	v_mul_f32_e32 v15, s85, v1
	v_bfi_b32 v1, s78, v7, v20
	v_mul_f32_e32 v10, s85, v2
	;; [unrolled: 2-line block ×6, first 2 shown]
	v_mul_f32_e32 v13, s85, v1
	s_and_b64 vcc, exec, s[2:3]
	s_cbranch_vccz .LBB25_450
; %bb.359:                              ;   in Loop: Header=BB25_14 Depth=1
	v_add_u32_e32 v1, 0x4400, v166
	ds_read2_b32 v[2:3], v1 offset1:1
	ds_read_b32 v1, v168 offset:17408
	ds_read_b32 v4, v170 offset:17408
	s_waitcnt lgkmcnt(2)
	v_cvt_f32_f16_e32 v6, v2
	v_cvt_f32_f16_sdwa v7, v2 dst_sel:DWORD dst_unused:UNUSED_PAD src0_sel:WORD_1
	v_cvt_f32_f16_e32 v2, v3
	v_cvt_f32_f16_sdwa v3, v3 dst_sel:DWORD dst_unused:UNUSED_PAD src0_sel:WORD_1
	s_waitcnt lgkmcnt(1)
	v_cvt_f32_f16_sdwa v19, v1 dst_sel:DWORD dst_unused:UNUSED_PAD src0_sel:WORD_1
	s_waitcnt lgkmcnt(0)
	v_cvt_f32_f16_sdwa v9, v4 dst_sel:DWORD dst_unused:UNUSED_PAD src0_sel:WORD_1
	v_cvt_f32_f16_e32 v8, v4
	v_cvt_f32_f16_e32 v18, v1
	v_pk_fma_f32 v[4:5], v[90:91], v[2:3], v[16:17] op_sel_hi:[0,1,1]
	v_pk_fma_f32 v[2:3], v[90:91], v[6:7], v[14:15] op_sel_hi:[0,1,1]
	v_pk_fma_f32 v[8:9], v[90:91], v[8:9], v[12:13] op_sel_hi:[0,1,1]
	v_pk_fma_f32 v[6:7], v[90:91], v[18:19], v[10:11] op_sel_hi:[0,1,1]
	s_mov_b32 s34, s50
	s_cbranch_execnz .LBB25_361
.LBB25_360:                             ;   in Loop: Header=BB25_14 Depth=1
	v_mov_b64_e32 v[6:7], v[10:11]
	v_mov_b64_e32 v[2:3], v[14:15]
	;; [unrolled: 1-line block ×4, first 2 shown]
.LBB25_361:                             ;   in Loop: Header=BB25_14 Depth=1
	s_mul_i32 s2, s8, s75
	s_mul_hi_u32 s3, s8, s74
	s_add_i32 s3, s3, s2
	s_mul_i32 s2, s8, s74
	s_lshl_b64 s[2:3], s[2:3], 2
	s_add_u32 s2, s93, s2
	s_addc_u32 s3, s76, s3
	v_lshl_add_u64 v[10:11], v[62:63], 2, s[2:3]
	v_lshl_add_u64 v[10:11], v[10:11], 0, v[48:49]
	v_mov_b32_e32 v17, s81
	v_cndmask_b32_e64 v11, v17, v11, s[42:43]
	v_cndmask_b32_e64 v10, v217, v10, s[42:43]
	scratch_store_dwordx4 off, v[236:239], off
	flat_load_dwordx4 v[10:13], v[10:11]
	v_lshl_add_u64 v[14:15], v[64:65], 2, s[2:3]
	v_lshl_add_u64 v[14:15], v[14:15], 0, v[48:49]
	v_cndmask_b32_e64 v15, v17, v15, s[40:41]
	v_cndmask_b32_e64 v14, v217, v14, s[40:41]
	v_add_f32_e32 v22, 0x40051340, v2
	v_max_f32_e32 v23, v218, v218
	v_and_b32_e32 v25, 64, v216
	v_xor_b32_e32 v28, 32, v216
	v_max_f32_e32 v22, v23, v22
	v_add_u32_e32 v23, 64, v25
	v_xor_b32_e32 v33, 16, v216
	v_cmp_gt_u32_e64 s[52:53], s46, v165
	v_cmp_lt_i32_e32 vcc, v28, v23
	v_add_f32_e32 v24, 0x40051340, v3
	v_cndmask_b32_e64 v22, v218, v22, s[52:53]
	v_cndmask_b32_e32 v25, v216, v28, vcc
	v_cmp_lt_i32_e32 vcc, v33, v23
	v_cmp_gt_u32_e64 s[42:43], s46, v206
	v_add_f32_e32 v26, 0x40051340, v4
	v_cndmask_b32_e32 v23, v216, v33, vcc
	v_max_f32_e32 v33, v22, v22
	v_lshlrev_b32_e32 v28, 2, v23
	v_max_f32_e32 v23, v33, v24
	v_cndmask_b32_e64 v24, v22, v23, s[42:43]
	v_max_f32_e32 v33, v24, v24
	v_max_f32_e32 v26, v33, v26
	v_cmp_gt_u32_e64 s[48:49], s46, v207
	v_add_f32_e32 v27, 0x40051340, v5
	v_cmp_gt_u32_e64 s[50:51], s46, v208
	v_cndmask_b32_e64 v24, v24, v26, s[48:49]
	v_max_f32_e32 v26, v24, v24
	v_max_f32_e32 v26, v26, v27
	v_cndmask_b32_e64 v24, v24, v26, s[50:51]
	v_add_f32_e32 v29, 0x40051340, v6
	v_max_f32_e32 v26, v24, v24
	v_max_f32_e32 v26, v26, v29
	v_cmp_gt_u32_e32 vcc, s46, v167
	v_add_f32_e32 v30, 0x40051340, v7
	v_cmp_gt_u32_e64 s[40:41], s46, v209
	v_cndmask_b32_e32 v24, v24, v26, vcc
	v_max_f32_e32 v26, v24, v24
	v_max_f32_e32 v26, v26, v30
	v_cndmask_b32_e64 v24, v24, v26, s[40:41]
	v_add_f32_e32 v31, 0x40051340, v8
	v_max_f32_e32 v26, v24, v24
	v_max_f32_e32 v26, v26, v31
	v_cmp_gt_u32_e64 s[44:45], s46, v169
	v_add_f32_e32 v32, 0x40051340, v9
	v_cmp_gt_u32_e64 s[46:47], s46, v210
	v_cndmask_b32_e64 v24, v24, v26, s[44:45]
	v_max_f32_e32 v26, v24, v24
	v_max_f32_e32 v26, v26, v32
	v_lshlrev_b32_e32 v25, 2, v25
	v_cndmask_b32_e64 v24, v24, v26, s[46:47]
	ds_bpermute_b32 v29, v25, v24
	v_max_f32_e32 v24, v24, v24
	v_lshl_add_u64 v[22:23], v[66:67], 2, s[2:3]
	v_lshl_add_u64 v[26:27], v[68:69], 2, s[2:3]
	;; [unrolled: 1-line block ×3, first 2 shown]
	s_waitcnt lgkmcnt(0)
	v_max_f32_e32 v29, v29, v29
	v_max_f32_e32 v24, v24, v29
	ds_bpermute_b32 v29, v28, v24
	v_lshl_add_u64 v[26:27], v[26:27], 0, v[48:49]
	v_cndmask_b32_e64 v23, v17, v23, s[36:37]
	v_cndmask_b32_e64 v27, v17, v27, s[38:39]
	;; [unrolled: 1-line block ×3, first 2 shown]
	s_waitcnt lgkmcnt(0)
	v_max_f32_e32 v17, v29, v29
	v_max_f32_e32 v24, v24, v17
	v_sub_f32_e32 v17, v2, v24
	v_sub_f32_e32 v29, v3, v24
	;; [unrolled: 1-line block ×5, first 2 shown]
	v_mul_f32_e32 v6, 0x3fb8aa3b, v17
	v_sub_f32_e32 v33, v7, v24
	v_sub_f32_e32 v34, v8, v24
	;; [unrolled: 1-line block ×3, first 2 shown]
	v_mul_f32_e32 v7, 0x3fb8aa3b, v29
	v_mul_f32_e32 v8, 0x3fb8aa3b, v30
	s_waitcnt vmcnt(0)
	ds_write_b128 v144, v[10:13]
	flat_load_dwordx4 v[18:21], v[14:15]
	v_mul_f32_e32 v9, 0x3fb8aa3b, v31
	v_rndne_f32_e32 v37, v6
	v_fma_f32 v48, v29, s97, -v7
	v_rndne_f32_e32 v90, v7
	v_fma_f32 v92, v30, s97, -v8
	;; [unrolled: 2-line block ×3, first 2 shown]
	v_rndne_f32_e32 v95, v9
	v_fmac_f32_e32 v48, 0x32a5705f, v29
	v_sub_f32_e32 v7, v7, v90
	v_fmac_f32_e32 v92, 0x32a5705f, v30
	v_sub_f32_e32 v8, v8, v93
	;; [unrolled: 2-line block ×3, first 2 shown]
	v_add_f32_e32 v7, v7, v48
	v_add_f32_e32 v8, v8, v92
	;; [unrolled: 1-line block ×3, first 2 shown]
	v_cvt_i32_f32_e32 v90, v90
	v_cvt_i32_f32_e32 v93, v93
	;; [unrolled: 1-line block ×3, first 2 shown]
	v_exp_f32_e32 v7, v7
	v_exp_f32_e32 v8, v8
	;; [unrolled: 1-line block ×3, first 2 shown]
	v_cndmask_b32_e64 v26, v217, v26, s[38:39]
	v_cmp_ngt_f32_e64 s[36:37], s80, v17
	v_sub_f32_e32 v36, v218, v24
	v_ldexp_f32 v48, v9, v95
	v_mov_b32_e32 v1, s9
	v_mov_b32_e32 v10, s9
	;; [unrolled: 1-line block ×7, first 2 shown]
	v_add_u32_e32 v16, v145, v171
	s_cmp_lg_u64 s[94:95], 0
	v_readlane_b32 s38, v243, 53
	s_cselect_b64 s[2:3], -1, 0
	v_readlane_b32 s39, v243, 54
	s_and_b64 s[6:7], s[38:39], s[2:3]
	s_waitcnt vmcnt(0) lgkmcnt(0)
	ds_write_b128 v200, v[18:21]
	flat_load_dwordx4 v[2:5], v[22:23]
	v_fma_f32 v23, v17, s97, -v6
	v_fmac_f32_e32 v23, 0x32a5705f, v17
	v_sub_f32_e32 v6, v6, v37
	v_add_f32_e32 v6, v6, v23
	v_cvt_i32_f32_e32 v37, v37
	v_exp_f32_e32 v6, v6
	v_ldexp_f32 v23, v7, v90
	v_mul_f32_e32 v18, 0x3fb8aa3b, v32
	v_mul_f32_e32 v19, 0x3fb8aa3b, v33
	v_ldexp_f32 v6, v6, v37
	v_ldexp_f32 v37, v8, v93
	v_cndmask_b32_e64 v90, 0, v6, s[36:37]
	v_fma_f32 v96, v32, s97, -v18
	v_rndne_f32_e32 v97, v18
	v_mul_f32_e32 v20, 0x3fb8aa3b, v34
	v_fma_f32 v98, v33, s97, -v19
	v_rndne_f32_e32 v99, v19
	v_fmac_f32_e32 v96, 0x32a5705f, v32
	v_sub_f32_e32 v18, v18, v97
	v_mul_f32_e32 v21, 0x3fb8aa3b, v35
	v_fma_f32 v100, v34, s97, -v20
	v_rndne_f32_e32 v101, v20
	v_fmac_f32_e32 v98, 0x32a5705f, v33
	v_sub_f32_e32 v19, v19, v99
	v_add_f32_e32 v18, v18, v96
	v_mul_f32_e32 v22, 0x3fb8aa3b, v36
	v_fma_f32 v102, v35, s97, -v21
	v_rndne_f32_e32 v103, v21
	v_cvt_i32_f32_e32 v97, v97
	v_fmac_f32_e32 v100, 0x32a5705f, v34
	v_sub_f32_e32 v20, v20, v101
	v_add_f32_e32 v19, v19, v98
	v_exp_f32_e32 v18, v18
	v_fma_f32 v104, v36, s97, -v22
	v_rndne_f32_e32 v105, v22
	v_cvt_i32_f32_e32 v99, v99
	v_fmac_f32_e32 v102, 0x32a5705f, v35
	v_sub_f32_e32 v21, v21, v103
	v_add_f32_e32 v20, v20, v100
	v_exp_f32_e32 v19, v19
	v_cmp_ngt_f32_e64 s[36:37], s80, v29
	v_cvt_i32_f32_e32 v101, v101
	v_fmac_f32_e32 v104, 0x32a5705f, v36
	v_sub_f32_e32 v22, v22, v105
	v_add_f32_e32 v21, v21, v102
	v_exp_f32_e32 v20, v20
	v_cvt_i32_f32_e32 v103, v103
	v_add_f32_e32 v22, v22, v104
	v_exp_f32_e32 v21, v21
	v_cvt_i32_f32_e32 v105, v105
	v_exp_f32_e32 v22, v22
	v_ldexp_f32 v18, v18, v97
	v_ldexp_f32 v19, v19, v99
	;; [unrolled: 1-line block ×5, first 2 shown]
	s_waitcnt vmcnt(0) lgkmcnt(0)
	ds_write_b128 v202, v[2:5]
	flat_load_dwordx4 v[6:9], v[26:27]
	v_cndmask_b32_e64 v2, 0, v23, s[36:37]
	v_cmp_ngt_f32_e64 s[36:37], s80, v30
	s_waitcnt vmcnt(0) lgkmcnt(0)
	ds_write_b128 v204, v[6:9]
	v_cndmask_b32_e64 v3, 0, v37, s[36:37]
	v_cmp_ngt_f32_e64 s[36:37], s80, v31
	s_waitcnt lgkmcnt(0)
	s_barrier
	v_cndmask_b32_e64 v4, 0, v48, s[36:37]
	v_cmp_ngt_f32_e64 s[36:37], s80, v32
	s_nop 1
	v_cndmask_b32_e64 v5, 0, v18, s[36:37]
	v_cmp_ngt_f32_e64 s[36:37], s80, v33
	s_nop 1
	;; [unrolled: 3-line block ×5, first 2 shown]
	v_cndmask_b32_e64 v21, 0, v22, s[36:37]
	v_cmp_nlt_f32_e64 s[36:37], s73, v17
	s_nop 1
	v_cndmask_b32_e64 v17, v214, v90, s[36:37]
	v_cmp_nlt_f32_e64 s[36:37], s73, v29
	s_nop 1
	v_cndmask_b32_e64 v22, v214, v2, s[36:37]
	v_cmp_nlt_f32_e64 s[36:37], s73, v30
	v_cndmask_b32_e64 v2, 0, v17, s[52:53]
	v_cndmask_b32_e64 v1, v1, v22, s[42:43]
	;; [unrolled: 1-line block ×3, first 2 shown]
	v_cmp_nlt_f32_e64 s[36:37], s73, v31
	s_nop 1
	v_cndmask_b32_e64 v30, v214, v4, s[36:37]
	v_cmp_nlt_f32_e64 s[36:37], s73, v32
	v_cndmask_b32_e64 v4, v10, v29, s[48:49]
	v_cndmask_b32_e64 v11, v11, v30, s[50:51]
	;; [unrolled: 1-line block ×3, first 2 shown]
	v_cmp_nlt_f32_e64 s[36:37], s73, v33
	v_cndmask_b32_e32 v10, v12, v31, vcc
	v_cvt_pk_f16_f32 v23, v4, v11
	v_cndmask_b32_e64 v18, v214, v18, s[36:37]
	v_cmp_nlt_f32_e64 s[36:37], s73, v34
	v_cndmask_b32_e64 v3, v13, v18, s[40:41]
	v_cvt_pk_f16_f32 v26, v10, v3
	v_cndmask_b32_e64 v19, v214, v19, s[36:37]
	v_cmp_nlt_f32_e64 s[36:37], s73, v35
	v_cndmask_b32_e64 v12, v14, v19, s[44:45]
	s_nop 0
	v_cndmask_b32_e64 v20, v214, v20, s[36:37]
	v_cmp_nlt_f32_e64 s[36:37], s73, v36
	v_cndmask_b32_e64 v13, v15, v20, s[46:47]
	v_cvt_pk_f16_f32 v27, v12, v13
	v_cndmask_b32_e64 v5, v214, v21, s[36:37]
	v_cmp_le_f32_e64 s[36:37], s35, v36
	s_nop 1
	v_cndmask_b32_e64 v116, 0, v5, s[36:37]
	v_add_f32_e32 v5, v22, v2
	v_cvt_pk_f16_f32 v22, v2, v1
	v_cndmask_b32_e64 v1, v2, v5, s[42:43]
	v_add_f32_e32 v2, v1, v29
	v_cndmask_b32_e64 v2, v1, v2, s[48:49]
	v_add_f32_e32 v3, v2, v30
	;; [unrolled: 2-line block ×3, first 2 shown]
	v_cndmask_b32_e32 v10, v10, v11, vcc
	v_cvt_f16_f32_e32 v14, v116
	v_add_f32_e32 v11, v18, v10
	v_cndmask_b32_e64 v10, v10, v11, s[40:41]
	v_add_f32_e32 v11, v19, v10
	v_cndmask_b32_e64 v10, v10, v11, s[44:45]
	v_mul_u32_u24_e32 v1, 0x10001, v14
	v_add_f32_e32 v11, v20, v10
	v_pk_mul_f16 v15, v129, v1
	v_pk_mul_f16 v14, v128, v1
	;; [unrolled: 1-line block ×4, first 2 shown]
	v_cndmask_b32_e64 v29, v10, v11, s[46:47]
	ds_read_u16 v6, v172
	ds_read_u16 v122, v172 offset:32
	ds_read_u16 v111, v172 offset:64
	;; [unrolled: 1-line block ×23, first 2 shown]
	ds_read_u16 v9, v16
	ds_read_u16 v125, v16 offset:32
	ds_read_u16 v128, v16 offset:64
	;; [unrolled: 1-line block ×31, first 2 shown]
	v_pk_mul_f16 v2, v231, v1
	v_pk_mul_f16 v3, v230, v1
	s_waitcnt lgkmcnt(14)
	v_perm_b32 v6, v7, v6, s92
	v_perm_b32 v7, v9, v8, s92
	v_cvt_f32_f16_e32 v118, v2
	v_cvt_f32_f16_sdwa v119, v2 dst_sel:DWORD dst_unused:UNUSED_PAD src0_sel:WORD_1
	v_cvt_f32_f16_e32 v120, v3
	v_cvt_f32_f16_sdwa v121, v3 dst_sel:DWORD dst_unused:UNUSED_PAD src0_sel:WORD_1
	v_pk_mul_f16 v17, v41, v1
	ds_read_u16 v8, v16 offset:8704
	ds_read_u16 v224, v16 offset:8736
	;; [unrolled: 1-line block ×8, first 2 shown]
	v_pk_mul_f16 v4, v229, v1
	v_pk_mul_f16 v5, v228, v1
	v_perm_b32 v10, v11, v10, s92
	s_waitcnt lgkmcnt(7)
	v_perm_b32 v11, v8, v221, s92
	v_mfma_f32_16x16x16_f16 v[6:9], v[6:7], v[22:23], v[118:121]
	v_cvt_f32_f16_e32 v2, v4
	v_cvt_f32_f16_sdwa v3, v4 dst_sel:DWORD dst_unused:UNUSED_PAD src0_sel:WORD_1
	v_cvt_f32_f16_e32 v4, v5
	v_perm_b32 v118, v123, v122, s92
	v_perm_b32 v119, v125, v124, s92
	v_cvt_f32_f16_sdwa v5, v5 dst_sel:DWORD dst_unused:UNUSED_PAD src0_sel:WORD_1
	s_nop 1
	v_cvt_f16_f32_e32 v6, v6
	v_cvt_f16_f32_e32 v7, v7
	v_cvt_f16_f32_e32 v8, v8
	v_cvt_f16_f32_e32 v9, v9
	v_mfma_f32_16x16x16_f16 v[2:5], v[118:119], v[22:23], v[2:5]
	v_cvt_f32_f16_e32 v6, v6
	v_cvt_f32_f16_e32 v7, v7
	;; [unrolled: 1-line block ×5, first 2 shown]
	s_nop 2
	v_cvt_f16_f32_e32 v2, v2
	v_cvt_f16_f32_e32 v3, v3
	;; [unrolled: 1-line block ×4, first 2 shown]
	v_mfma_f32_16x16x16_f16 v[6:9], v[10:11], v[26:27], v[6:9]
	v_perm_b32 v10, v219, v129, s92
	s_waitcnt lgkmcnt(6)
	v_perm_b32 v11, v224, v222, s92
	v_cvt_f32_f16_e32 v2, v2
	v_cvt_f32_f16_e32 v3, v3
	;; [unrolled: 1-line block ×4, first 2 shown]
	v_cvt_f32_f16_sdwa v119, v15 dst_sel:DWORD dst_unused:UNUSED_PAD src0_sel:WORD_1
	v_cvt_f32_f16_e32 v120, v14
	v_mfma_f32_16x16x16_f16 v[2:5], v[10:11], v[26:27], v[2:5]
	v_perm_b32 v10, v114, v111, s92
	v_perm_b32 v11, v128, v117, s92
	v_cvt_f32_f16_sdwa v121, v14 dst_sel:DWORD dst_unused:UNUSED_PAD src0_sel:WORD_1
	v_fmac_f32_e32 v29, v91, v116
	v_pk_mul_f16 v40, v40, v1
	v_pk_mul_f16 v91, v39, v1
	;; [unrolled: 1-line block ×7, first 2 shown]
	v_cvt_f16_f32_e32 v1, v8
	v_cvt_f16_f32_e32 v16, v9
	v_mfma_f32_16x16x16_f16 v[8:11], v[10:11], v[22:23], v[118:121]
	v_perm_b32 v14, v220, v218, s92
	s_waitcnt lgkmcnt(5)
	v_perm_b32 v15, v225, v223, s92
	v_cvt_f32_f16_e32 v116, v13
	v_cvt_f32_f16_sdwa v117, v13 dst_sel:DWORD dst_unused:UNUSED_PAD src0_sel:WORD_1
	v_cvt_f32_f16_e32 v118, v12
	s_nop 1
	v_cvt_f16_f32_e32 v8, v8
	v_cvt_f16_f32_e32 v9, v9
	;; [unrolled: 1-line block ×4, first 2 shown]
	v_cvt_f32_f16_e32 v8, v8
	v_cvt_f32_f16_e32 v9, v9
	;; [unrolled: 1-line block ×4, first 2 shown]
	v_cvt_f32_f16_sdwa v119, v12 dst_sel:DWORD dst_unused:UNUSED_PAD src0_sel:WORD_1
	v_perm_b32 v1, v16, v1, s92
	v_mfma_f32_16x16x16_f16 v[8:11], v[14:15], v[26:27], v[8:11]
	v_perm_b32 v14, v106, v103, s92
	v_perm_b32 v15, v112, v108, s92
	;; [unrolled: 1-line block ×3, first 2 shown]
	v_cvt_f32_f16_e32 v112, v17
	v_mfma_f32_16x16x16_f16 v[12:15], v[14:15], v[22:23], v[116:119]
	v_cvt_f32_f16_sdwa v113, v17 dst_sel:DWORD dst_unused:UNUSED_PAD src0_sel:WORD_1
	v_perm_b32 v16, v98, v95, s92
	v_perm_b32 v17, v104, v100, s92
	s_nop 4
	v_cvt_f16_f32_e32 v12, v12
	v_cvt_f16_f32_e32 v13, v13
	;; [unrolled: 1-line block ×4, first 2 shown]
	s_waitcnt lgkmcnt(4)
	v_perm_b32 v39, v226, v115, s92
	v_cvt_f32_f16_e32 v114, v40
	v_cvt_f32_f16_sdwa v115, v40 dst_sel:DWORD dst_unused:UNUSED_PAD src0_sel:WORD_1
	v_cvt_f16_f32_e32 v4, v4
	v_cvt_f16_f32_e32 v5, v5
	v_cvt_f32_f16_e32 v12, v12
	v_cvt_f32_f16_e32 v13, v13
	;; [unrolled: 1-line block ×4, first 2 shown]
	v_mfma_f32_16x16x16_f16 v[112:115], v[16:17], v[22:23], v[112:115]
	v_perm_b32 v4, v5, v4, s92
	v_cvt_f16_f32_e32 v5, v10
	v_perm_b32 v18, v19, v18, s92
	v_mfma_f32_16x16x16_f16 v[12:15], v[38:39], v[26:27], v[12:15]
	v_cvt_f16_f32_e32 v38, v11
	s_nop 2
	v_cvt_f16_f32_e32 v10, v112
	v_cvt_f16_f32_e32 v11, v113
	v_perm_b32 v19, v96, v92, s92
	v_cvt_f32_f16_e32 v104, v91
	v_cvt_f32_f16_e32 v112, v10
	v_cvt_f32_f16_e32 v113, v11
	v_perm_b32 v10, v105, v101, s92
	s_waitcnt lgkmcnt(3)
	v_perm_b32 v11, v110, v107, s92
	v_cvt_f32_f16_sdwa v105, v91 dst_sel:DWORD dst_unused:UNUSED_PAD src0_sel:WORD_1
	v_cvt_f32_f16_e32 v106, v122
	v_cvt_f32_f16_sdwa v107, v122 dst_sel:DWORD dst_unused:UNUSED_PAD src0_sel:WORD_1
	v_cvt_f16_f32_e32 v16, v114
	v_cvt_f16_f32_e32 v17, v115
	v_mfma_f32_16x16x16_f16 v[104:107], v[18:19], v[22:23], v[104:107]
	v_cvt_f32_f16_e32 v114, v16
	v_cvt_f32_f16_e32 v115, v17
	v_perm_b32 v5, v38, v5, s92
	v_cvt_f16_f32_e32 v38, v14
	s_nop 3
	v_cvt_f16_f32_e32 v18, v105
	v_cvt_f16_f32_e32 v19, v106
	v_cvt_f16_f32_e32 v39, v15
	v_perm_b32 v20, v21, v20, s92
	v_perm_b32 v21, v45, v37, s92
	v_cvt_f32_f16_e32 v105, v18
	v_cvt_f32_f16_e32 v106, v19
	v_perm_b32 v18, v97, v93, s92
	s_waitcnt lgkmcnt(2)
	v_perm_b32 v19, v102, v99, s92
	v_cvt_f32_f16_e32 v96, v43
	v_cvt_f32_f16_sdwa v97, v43 dst_sel:DWORD dst_unused:UNUSED_PAD src0_sel:WORD_1
	v_cvt_f32_f16_e32 v98, v42
	v_cvt_f32_f16_sdwa v99, v42 dst_sel:DWORD dst_unused:UNUSED_PAD src0_sel:WORD_1
	v_mfma_f32_16x16x16_f16 v[14:17], v[10:11], v[26:27], v[112:115]
	v_perm_b32 v10, v39, v38, s92
	v_cvt_f16_f32_e32 v11, v104
	v_cvt_f16_f32_e32 v38, v107
	v_mfma_f32_16x16x16_f16 v[96:99], v[20:21], v[22:23], v[96:99]
	v_cvt_f32_f16_e32 v42, v123
	v_cvt_f32_f16_e32 v104, v11
	;; [unrolled: 1-line block ×3, first 2 shown]
	s_nop 0
	v_cvt_f16_f32_e32 v11, v16
	v_cvt_f16_f32_e32 v38, v17
	s_nop 1
	v_cvt_f16_f32_e32 v20, v96
	v_cvt_f16_f32_e32 v21, v97
	;; [unrolled: 1-line block ×3, first 2 shown]
	v_perm_b32 v11, v38, v11, s92
	v_cvt_f16_f32_e32 v38, v98
	v_cvt_f32_f16_e32 v96, v20
	v_cvt_f32_f16_e32 v97, v21
	v_perm_b32 v20, v48, v44, s92
	s_waitcnt lgkmcnt(1)
	v_perm_b32 v21, v94, v90, s92
	v_mfma_f32_16x16x16_f16 v[16:19], v[18:19], v[26:27], v[104:107]
	v_cvt_f32_f16_e32 v98, v38
	v_cvt_f32_f16_e32 v99, v39
	v_perm_b32 v38, v31, v30, s92
	v_perm_b32 v39, v35, v33, s92
	v_cvt_f32_f16_sdwa v43, v123 dst_sel:DWORD dst_unused:UNUSED_PAD src0_sel:WORD_1
	s_nop 2
	v_cvt_f16_f32_e32 v90, v18
	v_cvt_f16_f32_e32 v94, v19
	v_mfma_f32_16x16x16_f16 v[18:21], v[20:21], v[26:27], v[96:99]
	v_cvt_f32_f16_e32 v44, v111
	v_cvt_f32_f16_sdwa v45, v111 dst_sel:DWORD dst_unused:UNUSED_PAD src0_sel:WORD_1
	v_perm_b32 v32, v34, v32, s92
	s_waitcnt lgkmcnt(0)
	v_perm_b32 v33, v41, v36, s92
	ds_bpermute_b32 v25, v25, v29
	s_nop 1
	v_cvt_f16_f32_e32 v31, v20
	v_cvt_f16_f32_e32 v35, v21
	v_mfma_f32_16x16x16_f16 v[20:23], v[38:39], v[22:23], v[42:45]
	v_cvt_f16_f32_e32 v120, v6
	s_waitcnt lgkmcnt(0)
	v_add_f32_e32 v25, v29, v25
	ds_bpermute_b32 v29, v28, v25
	v_cvt_f16_f32_e32 v121, v7
	v_cvt_f16_f32_e32 v103, v2
	s_nop 1
	v_cvt_f16_f32_e32 v20, v20
	v_cvt_f16_f32_e32 v21, v21
	;; [unrolled: 1-line block ×4, first 2 shown]
	v_cvt_f32_f16_e32 v20, v20
	v_cvt_f32_f16_e32 v21, v21
	;; [unrolled: 1-line block ×4, first 2 shown]
	v_cvt_f16_f32_e32 v108, v3
	v_cvt_f16_f32_e32 v109, v8
	v_mfma_f32_16x16x16_f16 v[20:23], v[32:33], v[26:27], v[20:23]
	v_cvt_f16_f32_e32 v40, v9
	v_cvt_f16_f32_e32 v91, v12
	;; [unrolled: 1-line block ×13, first 2 shown]
	v_perm_b32 v30, v94, v90, s92
	v_perm_b32 v31, v35, v31, s92
	;; [unrolled: 1-line block ×3, first 2 shown]
	s_waitcnt lgkmcnt(0)
	v_add_f32_e32 v25, v25, v29
	v_perm_b32 v23, v27, v26, s92
	v_perm_b32 v26, v36, v34, s92
	;; [unrolled: 1-line block ×8, first 2 shown]
	s_barrier
	s_and_saveexec_b64 s[2:3], s[6:7]
	s_cbranch_execz .LBB25_363
; %bb.362:                              ;   in Loop: Header=BB25_14 Depth=1
	v_cvt_pk_f16_f32 v6, v6, v7
	v_cvt_pk_f16_f32 v7, v8, v9
	;; [unrolled: 1-line block ×3, first 2 shown]
	global_load_dword v15, v49, s[94:95]
	v_cvt_pk_f16_f32 v3, v2, v3
	v_cvt_pk_f16_f32 v8, v12, v13
	;; [unrolled: 1-line block ×3, first 2 shown]
	v_max_f32_e32 v16, v24, v24
	v_cvt_pk_f16_f32 v13, v18, v19
	v_cvt_pk_f16_f32 v14, v20, v21
	s_waitcnt vmcnt(0)
	v_max_f32_e32 v2, v15, v15
	v_max_f32_e32 v2, v16, v2
	v_sub_f32_e32 v16, v24, v2
	v_mul_f32_e32 v17, 0x3fb8aa3b, v16
	v_fma_f32 v18, v16, s97, -v17
	v_rndne_f32_e32 v19, v17
	v_fmac_f32_e32 v18, 0x32a5705f, v16
	v_sub_f32_e32 v17, v17, v19
	v_add_f32_e32 v17, v17, v18
	v_exp_f32_e32 v17, v17
	v_cvt_i32_f32_e32 v18, v19
	v_cmp_ngt_f32_e32 vcc, s80, v16
	v_sub_f32_e32 v15, v15, v2
	v_ldexp_f32 v17, v17, v18
	v_cndmask_b32_e32 v17, 0, v17, vcc
	v_cmp_nlt_f32_e32 vcc, s73, v16
	s_nop 1
	v_cndmask_b32_e32 v17, v214, v17, vcc
	v_cmp_le_f32_e32 vcc, s35, v16
	s_nop 1
	v_cndmask_b32_e32 v16, 0, v17, vcc
	v_cvt_f16_f32_e32 v17, v16
	v_cmp_ngt_f32_e32 vcc, s80, v15
	v_mul_u32_u24_e32 v17, 0x10001, v17
	v_pk_mul_f16 v34, v3, v17
	v_mul_f32_e32 v3, 0x3fb8aa3b, v15
	v_pk_mul_f16 v35, v6, v17
	v_pk_mul_f16 v33, v7, v17
	v_fma_f32 v6, v15, s97, -v3
	v_rndne_f32_e32 v7, v3
	v_fmac_f32_e32 v6, 0x32a5705f, v15
	v_sub_f32_e32 v3, v3, v7
	v_add_f32_e32 v3, v3, v6
	v_exp_f32_e32 v3, v3
	v_cvt_i32_f32_e32 v6, v7
	v_pk_mul_f16 v1, v1, v17
	v_pk_mul_f16 v4, v4, v17
	;; [unrolled: 1-line block ×3, first 2 shown]
	v_ldexp_f32 v3, v3, v6
	v_cndmask_b32_e32 v3, 0, v3, vcc
	v_cmp_nlt_f32_e32 vcc, s73, v15
	v_pk_mul_f16 v32, v8, v17
	v_pk_mul_f16 v10, v10, v17
	v_cndmask_b32_e32 v3, v214, v3, vcc
	v_fmac_f32_e32 v3, v25, v16
	v_pk_mul_f16 v29, v9, v17
	v_pk_mul_f16 v11, v11, v17
	;; [unrolled: 1-line block ×8, first 2 shown]
	v_mov_b64_e32 v[24:25], v[2:3]
.LBB25_363:                             ;   in Loop: Header=BB25_14 Depth=1
	s_or_b64 exec, exec, s[2:3]
	s_mov_b64 s[2:3], exec
	v_readlane_b32 s6, v242, 8
	v_readlane_b32 s7, v242, 9
	s_and_b64 s[6:7], s[2:3], s[6:7]
	s_mov_b32 s50, s34
	s_mov_b64 exec, s[6:7]
; %bb.364:                              ;   in Loop: Header=BB25_14 Depth=1
	v_add_u32_e32 v2, 0, v173
	ds_write2_b32 v2, v24, v25 offset0:64 offset1:65
; %bb.365:                              ;   in Loop: Header=BB25_14 Depth=1
	s_or_b64 exec, exec, s[2:3]
	s_waitcnt lgkmcnt(0)
	s_barrier
	s_mov_b64 s[2:3], exec
	v_readlane_b32 s6, v243, 55
	v_readlane_b32 s7, v243, 56
	s_and_b64 s[6:7], s[2:3], s[6:7]
	s_xor_b64 s[2:3], s[6:7], s[2:3]
	s_mov_b64 exec, s[6:7]
	s_cbranch_execz .LBB25_367
; %bb.366:                              ;   in Loop: Header=BB25_14 Depth=1
	s_barrier
                                        ; implicit-def: $vgpr28
.LBB25_367:                             ;   in Loop: Header=BB25_14 Depth=1
	s_andn2_saveexec_b64 s[2:3], s[2:3]
	s_cbranch_execz .LBB25_371
; %bb.368:                              ;   in Loop: Header=BB25_14 Depth=1
	v_add_u32_e32 v6, 0, v174
	ds_read_b64 v[2:3], v6 offset:256
	s_waitcnt lgkmcnt(0)
	s_barrier
	ds_bpermute_b32 v7, v28, v2
	v_max_f32_e32 v8, v2, v2
	s_waitcnt lgkmcnt(0)
	v_max_f32_e32 v7, v7, v7
	v_max_f32_e32 v7, v8, v7
	v_sub_f32_e32 v2, v2, v7
	v_mul_f32_e32 v7, 0x3fb8aa3b, v2
	v_fma_f32 v8, v2, s97, -v7
	v_rndne_f32_e32 v9, v7
	v_fmac_f32_e32 v8, 0x32a5705f, v2
	v_sub_f32_e32 v7, v7, v9
	v_add_f32_e32 v7, v7, v8
	v_cvt_i32_f32_e32 v9, v9
	v_exp_f32_e32 v7, v7
	v_cmp_ngt_f32_e32 vcc, s80, v2
	v_ldexp_f32 v7, v7, v9
	s_nop 0
	v_cndmask_b32_e32 v7, 0, v7, vcc
	v_cmp_nlt_f32_e32 vcc, s73, v2
	s_nop 1
	v_cndmask_b32_e32 v2, v214, v7, vcc
	v_mul_f32_e32 v3, v3, v2
	ds_bpermute_b32 v7, v28, v3
	s_mov_b64 s[6:7], exec
	v_readlane_b32 s36, v242, 10
	v_readlane_b32 s37, v242, 11
	s_and_b64 s[36:37], s[6:7], s[36:37]
	s_mov_b64 exec, s[36:37]
	s_cbranch_execz .LBB25_370
; %bb.369:                              ;   in Loop: Header=BB25_14 Depth=1
	s_waitcnt lgkmcnt(0)
	v_add_f32_e32 v3, v3, v7
	ds_write_b64 v6, v[2:3] offset:256
.LBB25_370:                             ;   in Loop: Header=BB25_14 Depth=1
	s_or_b64 exec, exec, s[6:7]
.LBB25_371:                             ;   in Loop: Header=BB25_14 Depth=1
	s_or_b64 exec, exec, s[2:3]
	ds_write2_b32 v146, v35, v1 offset1:1
	ds_write2_b32 v146, v34, v4 offset0:8 offset1:9
	ds_write2_b32 v146, v33, v5 offset0:16 offset1:17
	;; [unrolled: 1-line block ×7, first 2 shown]
	s_waitcnt lgkmcnt(0)
	s_barrier
	s_and_saveexec_b64 s[2:3], s[38:39]
	s_cbranch_execz .LBB25_12
; %bb.372:                              ;   in Loop: Header=BB25_14 Depth=1
	v_add_u32_e32 v1, s82, v147
	v_cmp_gt_i32_e32 vcc, s72, v1
	v_mov_b32_e32 v2, 0x47
	s_and_saveexec_b64 s[6:7], vcc
	s_cbranch_execz .LBB25_374
; %bb.373:                              ;   in Loop: Header=BB25_14 Depth=1
	v_add_u32_e32 v6, 0, v175
	v_add_u32_e32 v4, v140, v175
	ds_read2_b32 v[2:3], v6 offset0:64 offset1:65
	ds_read2st64_b32 v[4:5], v4 offset1:17
	ds_read_b32 v6, v6 offset:4608
	v_readlane_b32 s8, v243, 60
	s_waitcnt lgkmcnt(1)
	v_cvt_f32_f16_e32 v10, v4
	v_cvt_f32_f16_sdwa v11, v4 dst_sel:DWORD dst_unused:UNUSED_PAD src0_sel:WORD_1
	v_cvt_f32_f16_e32 v4, v5
	v_cvt_f32_f16_sdwa v5, v5 dst_sel:DWORD dst_unused:UNUSED_PAD src0_sel:WORD_1
	v_mad_u64_u32 v[8:9], s[36:37], s8, v1, v[46:47]
	v_readlane_b32 s36, v242, 19
	v_pk_fma_f32 v[10:11], v[2:3], v[10:11], 0 op_sel_hi:[0,1,0]
	v_ashrrev_i32_e32 v9, 31, v8
	v_readlane_b32 s37, v242, 20
	s_waitcnt lgkmcnt(0)
	v_pk_fma_f32 v[4:5], v[6:7], v[4:5], v[10:11] op_sel_hi:[0,1,1]
	v_lshl_add_u64 v[8:9], v[8:9], 3, s[36:37]
	v_div_scale_f32 v1, s[36:37], v3, v3, v5
	v_rcp_f32_e32 v2, v1
	s_nop 0
	v_fma_f32 v6, -v1, v2, 1.0
	v_fmac_f32_e32 v2, v6, v2
	v_div_scale_f32 v6, vcc, v5, v3, v5
	v_mul_f32_e32 v7, v6, v2
	v_fma_f32 v10, -v1, v7, v6
	v_fmac_f32_e32 v7, v10, v2
	v_fma_f32 v1, -v1, v7, v6
	v_div_fmas_f32 v1, v1, v2, v7
	v_div_fixup_f32 v5, v1, v3, v5
	v_div_scale_f32 v1, s[36:37], v3, v3, v4
	v_rcp_f32_e32 v2, v1
	s_nop 0
	v_fma_f32 v6, -v1, v2, 1.0
	v_fmac_f32_e32 v2, v6, v2
	v_div_scale_f32 v6, vcc, v4, v3, v4
	v_mul_f32_e32 v7, v6, v2
	v_fma_f32 v10, -v1, v7, v6
	v_fmac_f32_e32 v7, v10, v2
	v_fma_f32 v1, -v1, v7, v6
	v_div_fmas_f32 v1, v1, v2, v7
	v_div_fixup_f32 v4, v1, v3, v4
	v_mov_b32_e32 v2, 0
	global_store_dwordx2 v[8:9], v[4:5], off
.LBB25_374:                             ;   in Loop: Header=BB25_14 Depth=1
	s_or_b64 exec, exec, s[6:7]
	s_movk_i32 s6, 0x47
	v_cmp_gt_i32_e32 vcc, s6, v2
	s_mov_b64 s[6:7], -1
	s_and_saveexec_b64 s[36:37], vcc
; %bb.375:                              ;   in Loop: Header=BB25_14 Depth=1
	v_cmp_eq_u32_e32 vcc, 0, v2
	s_orn2_b64 s[6:7], vcc, exec
; %bb.376:                              ;   in Loop: Header=BB25_14 Depth=1
	s_or_b64 exec, exec, s[36:37]
	s_and_b64 exec, exec, s[6:7]
	s_cbranch_execz .LBB25_12
; %bb.377:                              ;   in Loop: Header=BB25_14 Depth=1
	v_add_u32_e32 v1, s82, v148
	v_cmp_gt_i32_e32 vcc, s72, v1
	v_mov_b32_e32 v2, 0x47
	s_and_saveexec_b64 s[6:7], vcc
	s_cbranch_execz .LBB25_379
; %bb.378:                              ;   in Loop: Header=BB25_14 Depth=1
	v_add_u32_e32 v6, 0, v176
	v_add_u32_e32 v4, v140, v176
	ds_read2_b32 v[2:3], v6 offset0:64 offset1:65
	ds_read2st64_b32 v[4:5], v4 offset1:17
	ds_read_b32 v6, v6 offset:4608
	v_readlane_b32 s8, v243, 60
	s_waitcnt lgkmcnt(1)
	v_cvt_f32_f16_e32 v10, v4
	v_cvt_f32_f16_sdwa v11, v4 dst_sel:DWORD dst_unused:UNUSED_PAD src0_sel:WORD_1
	v_cvt_f32_f16_e32 v4, v5
	v_cvt_f32_f16_sdwa v5, v5 dst_sel:DWORD dst_unused:UNUSED_PAD src0_sel:WORD_1
	v_mad_u64_u32 v[8:9], s[36:37], s8, v1, v[46:47]
	v_readlane_b32 s36, v242, 19
	v_pk_fma_f32 v[10:11], v[2:3], v[10:11], 0 op_sel_hi:[0,1,0]
	v_ashrrev_i32_e32 v9, 31, v8
	v_readlane_b32 s37, v242, 20
	s_waitcnt lgkmcnt(0)
	v_pk_fma_f32 v[4:5], v[6:7], v[4:5], v[10:11] op_sel_hi:[0,1,1]
	v_lshl_add_u64 v[8:9], v[8:9], 3, s[36:37]
	v_div_scale_f32 v1, s[36:37], v3, v3, v5
	v_rcp_f32_e32 v2, v1
	s_nop 0
	v_fma_f32 v6, -v1, v2, 1.0
	v_fmac_f32_e32 v2, v6, v2
	v_div_scale_f32 v6, vcc, v5, v3, v5
	v_mul_f32_e32 v7, v6, v2
	v_fma_f32 v10, -v1, v7, v6
	v_fmac_f32_e32 v7, v10, v2
	v_fma_f32 v1, -v1, v7, v6
	v_div_fmas_f32 v1, v1, v2, v7
	v_div_fixup_f32 v5, v1, v3, v5
	v_div_scale_f32 v1, s[36:37], v3, v3, v4
	v_rcp_f32_e32 v2, v1
	s_nop 0
	v_fma_f32 v6, -v1, v2, 1.0
	v_fmac_f32_e32 v2, v6, v2
	v_div_scale_f32 v6, vcc, v4, v3, v4
	v_mul_f32_e32 v7, v6, v2
	v_fma_f32 v10, -v1, v7, v6
	v_fmac_f32_e32 v7, v10, v2
	v_fma_f32 v1, -v1, v7, v6
	v_div_fmas_f32 v1, v1, v2, v7
	v_div_fixup_f32 v4, v1, v3, v4
	v_mov_b32_e32 v2, 0
	global_store_dwordx2 v[8:9], v[4:5], off
.LBB25_379:                             ;   in Loop: Header=BB25_14 Depth=1
	s_or_b64 exec, exec, s[6:7]
	s_movk_i32 s6, 0x47
	v_cmp_gt_i32_e32 vcc, s6, v2
	s_mov_b64 s[6:7], -1
	s_and_saveexec_b64 s[36:37], vcc
; %bb.380:                              ;   in Loop: Header=BB25_14 Depth=1
	v_cmp_eq_u32_e32 vcc, 0, v2
	s_orn2_b64 s[6:7], vcc, exec
; %bb.381:                              ;   in Loop: Header=BB25_14 Depth=1
	s_or_b64 exec, exec, s[36:37]
	s_and_b64 exec, exec, s[6:7]
	s_cbranch_execz .LBB25_12
; %bb.382:                              ;   in Loop: Header=BB25_14 Depth=1
	v_add_u32_e32 v1, s82, v149
	v_cmp_gt_i32_e32 vcc, s72, v1
	v_mov_b32_e32 v2, 0x47
	s_and_saveexec_b64 s[6:7], vcc
	s_cbranch_execz .LBB25_384
; %bb.383:                              ;   in Loop: Header=BB25_14 Depth=1
	v_add_u32_e32 v6, 0, v177
	v_add_u32_e32 v4, v140, v177
	ds_read2_b32 v[2:3], v6 offset0:64 offset1:65
	ds_read2st64_b32 v[4:5], v4 offset1:17
	ds_read_b32 v6, v6 offset:4608
	v_readlane_b32 s8, v243, 60
	s_waitcnt lgkmcnt(1)
	v_cvt_f32_f16_e32 v10, v4
	v_cvt_f32_f16_sdwa v11, v4 dst_sel:DWORD dst_unused:UNUSED_PAD src0_sel:WORD_1
	v_cvt_f32_f16_e32 v4, v5
	v_cvt_f32_f16_sdwa v5, v5 dst_sel:DWORD dst_unused:UNUSED_PAD src0_sel:WORD_1
	v_mad_u64_u32 v[8:9], s[36:37], s8, v1, v[46:47]
	v_readlane_b32 s36, v242, 19
	v_pk_fma_f32 v[10:11], v[2:3], v[10:11], 0 op_sel_hi:[0,1,0]
	v_ashrrev_i32_e32 v9, 31, v8
	v_readlane_b32 s37, v242, 20
	s_waitcnt lgkmcnt(0)
	v_pk_fma_f32 v[4:5], v[6:7], v[4:5], v[10:11] op_sel_hi:[0,1,1]
	v_lshl_add_u64 v[8:9], v[8:9], 3, s[36:37]
	v_div_scale_f32 v1, s[36:37], v3, v3, v5
	v_rcp_f32_e32 v2, v1
	s_nop 0
	v_fma_f32 v6, -v1, v2, 1.0
	v_fmac_f32_e32 v2, v6, v2
	v_div_scale_f32 v6, vcc, v5, v3, v5
	v_mul_f32_e32 v7, v6, v2
	v_fma_f32 v10, -v1, v7, v6
	v_fmac_f32_e32 v7, v10, v2
	v_fma_f32 v1, -v1, v7, v6
	v_div_fmas_f32 v1, v1, v2, v7
	v_div_fixup_f32 v5, v1, v3, v5
	v_div_scale_f32 v1, s[36:37], v3, v3, v4
	v_rcp_f32_e32 v2, v1
	s_nop 0
	v_fma_f32 v6, -v1, v2, 1.0
	v_fmac_f32_e32 v2, v6, v2
	v_div_scale_f32 v6, vcc, v4, v3, v4
	v_mul_f32_e32 v7, v6, v2
	v_fma_f32 v10, -v1, v7, v6
	v_fmac_f32_e32 v7, v10, v2
	v_fma_f32 v1, -v1, v7, v6
	v_div_fmas_f32 v1, v1, v2, v7
	v_div_fixup_f32 v4, v1, v3, v4
	v_mov_b32_e32 v2, 0
	global_store_dwordx2 v[8:9], v[4:5], off
.LBB25_384:                             ;   in Loop: Header=BB25_14 Depth=1
	s_or_b64 exec, exec, s[6:7]
	s_movk_i32 s6, 0x47
	v_cmp_gt_i32_e32 vcc, s6, v2
	s_mov_b64 s[6:7], -1
	s_and_saveexec_b64 s[36:37], vcc
; %bb.385:                              ;   in Loop: Header=BB25_14 Depth=1
	v_cmp_eq_u32_e32 vcc, 0, v2
	s_orn2_b64 s[6:7], vcc, exec
; %bb.386:                              ;   in Loop: Header=BB25_14 Depth=1
	s_or_b64 exec, exec, s[36:37]
	s_and_b64 exec, exec, s[6:7]
	s_cbranch_execz .LBB25_12
; %bb.387:                              ;   in Loop: Header=BB25_14 Depth=1
	v_add_u32_e32 v1, s82, v150
	v_cmp_gt_i32_e32 vcc, s72, v1
	v_mov_b32_e32 v2, 0x47
	s_and_saveexec_b64 s[6:7], vcc
	s_cbranch_execz .LBB25_389
; %bb.388:                              ;   in Loop: Header=BB25_14 Depth=1
	v_add_u32_e32 v6, 0, v178
	v_add_u32_e32 v4, v140, v178
	ds_read2_b32 v[2:3], v6 offset0:64 offset1:65
	ds_read2st64_b32 v[4:5], v4 offset1:17
	ds_read_b32 v6, v6 offset:4608
	v_readlane_b32 s8, v243, 60
	s_waitcnt lgkmcnt(1)
	v_cvt_f32_f16_e32 v10, v4
	v_cvt_f32_f16_sdwa v11, v4 dst_sel:DWORD dst_unused:UNUSED_PAD src0_sel:WORD_1
	v_cvt_f32_f16_e32 v4, v5
	v_cvt_f32_f16_sdwa v5, v5 dst_sel:DWORD dst_unused:UNUSED_PAD src0_sel:WORD_1
	v_mad_u64_u32 v[8:9], s[36:37], s8, v1, v[46:47]
	v_readlane_b32 s36, v242, 19
	v_pk_fma_f32 v[10:11], v[2:3], v[10:11], 0 op_sel_hi:[0,1,0]
	v_ashrrev_i32_e32 v9, 31, v8
	v_readlane_b32 s37, v242, 20
	s_waitcnt lgkmcnt(0)
	v_pk_fma_f32 v[4:5], v[6:7], v[4:5], v[10:11] op_sel_hi:[0,1,1]
	v_lshl_add_u64 v[8:9], v[8:9], 3, s[36:37]
	v_div_scale_f32 v1, s[36:37], v3, v3, v5
	v_rcp_f32_e32 v2, v1
	s_nop 0
	v_fma_f32 v6, -v1, v2, 1.0
	v_fmac_f32_e32 v2, v6, v2
	v_div_scale_f32 v6, vcc, v5, v3, v5
	v_mul_f32_e32 v7, v6, v2
	v_fma_f32 v10, -v1, v7, v6
	v_fmac_f32_e32 v7, v10, v2
	v_fma_f32 v1, -v1, v7, v6
	v_div_fmas_f32 v1, v1, v2, v7
	v_div_fixup_f32 v5, v1, v3, v5
	v_div_scale_f32 v1, s[36:37], v3, v3, v4
	v_rcp_f32_e32 v2, v1
	s_nop 0
	v_fma_f32 v6, -v1, v2, 1.0
	v_fmac_f32_e32 v2, v6, v2
	v_div_scale_f32 v6, vcc, v4, v3, v4
	v_mul_f32_e32 v7, v6, v2
	v_fma_f32 v10, -v1, v7, v6
	v_fmac_f32_e32 v7, v10, v2
	v_fma_f32 v1, -v1, v7, v6
	v_div_fmas_f32 v1, v1, v2, v7
	v_div_fixup_f32 v4, v1, v3, v4
	v_mov_b32_e32 v2, 0
	global_store_dwordx2 v[8:9], v[4:5], off
.LBB25_389:                             ;   in Loop: Header=BB25_14 Depth=1
	s_or_b64 exec, exec, s[6:7]
	s_movk_i32 s6, 0x47
	v_cmp_gt_i32_e32 vcc, s6, v2
	s_mov_b64 s[6:7], -1
	s_and_saveexec_b64 s[36:37], vcc
; %bb.390:                              ;   in Loop: Header=BB25_14 Depth=1
	v_cmp_eq_u32_e32 vcc, 0, v2
	s_orn2_b64 s[6:7], vcc, exec
; %bb.391:                              ;   in Loop: Header=BB25_14 Depth=1
	s_or_b64 exec, exec, s[36:37]
	s_and_b64 exec, exec, s[6:7]
	s_cbranch_execz .LBB25_12
; %bb.392:                              ;   in Loop: Header=BB25_14 Depth=1
	v_add_u32_e32 v1, s82, v151
	v_cmp_gt_i32_e32 vcc, s72, v1
	v_mov_b32_e32 v2, 0x47
	s_and_saveexec_b64 s[6:7], vcc
	s_cbranch_execz .LBB25_394
; %bb.393:                              ;   in Loop: Header=BB25_14 Depth=1
	v_add_u32_e32 v6, 0, v179
	v_add_u32_e32 v4, v140, v179
	ds_read2_b32 v[2:3], v6 offset0:64 offset1:65
	ds_read2st64_b32 v[4:5], v4 offset1:17
	ds_read_b32 v6, v6 offset:4608
	v_readlane_b32 s8, v243, 60
	s_waitcnt lgkmcnt(1)
	v_cvt_f32_f16_e32 v10, v4
	v_cvt_f32_f16_sdwa v11, v4 dst_sel:DWORD dst_unused:UNUSED_PAD src0_sel:WORD_1
	v_cvt_f32_f16_e32 v4, v5
	v_cvt_f32_f16_sdwa v5, v5 dst_sel:DWORD dst_unused:UNUSED_PAD src0_sel:WORD_1
	v_mad_u64_u32 v[8:9], s[36:37], s8, v1, v[46:47]
	v_readlane_b32 s36, v242, 19
	v_pk_fma_f32 v[10:11], v[2:3], v[10:11], 0 op_sel_hi:[0,1,0]
	v_ashrrev_i32_e32 v9, 31, v8
	v_readlane_b32 s37, v242, 20
	s_waitcnt lgkmcnt(0)
	v_pk_fma_f32 v[4:5], v[6:7], v[4:5], v[10:11] op_sel_hi:[0,1,1]
	v_lshl_add_u64 v[8:9], v[8:9], 3, s[36:37]
	v_div_scale_f32 v1, s[36:37], v3, v3, v5
	v_rcp_f32_e32 v2, v1
	s_nop 0
	v_fma_f32 v6, -v1, v2, 1.0
	v_fmac_f32_e32 v2, v6, v2
	v_div_scale_f32 v6, vcc, v5, v3, v5
	v_mul_f32_e32 v7, v6, v2
	v_fma_f32 v10, -v1, v7, v6
	v_fmac_f32_e32 v7, v10, v2
	v_fma_f32 v1, -v1, v7, v6
	v_div_fmas_f32 v1, v1, v2, v7
	v_div_fixup_f32 v5, v1, v3, v5
	v_div_scale_f32 v1, s[36:37], v3, v3, v4
	v_rcp_f32_e32 v2, v1
	s_nop 0
	v_fma_f32 v6, -v1, v2, 1.0
	v_fmac_f32_e32 v2, v6, v2
	v_div_scale_f32 v6, vcc, v4, v3, v4
	v_mul_f32_e32 v7, v6, v2
	v_fma_f32 v10, -v1, v7, v6
	v_fmac_f32_e32 v7, v10, v2
	v_fma_f32 v1, -v1, v7, v6
	v_div_fmas_f32 v1, v1, v2, v7
	v_div_fixup_f32 v4, v1, v3, v4
	v_mov_b32_e32 v2, 0
	global_store_dwordx2 v[8:9], v[4:5], off
.LBB25_394:                             ;   in Loop: Header=BB25_14 Depth=1
	s_or_b64 exec, exec, s[6:7]
	s_movk_i32 s6, 0x47
	v_cmp_gt_i32_e32 vcc, s6, v2
	s_mov_b64 s[6:7], -1
	s_and_saveexec_b64 s[36:37], vcc
; %bb.395:                              ;   in Loop: Header=BB25_14 Depth=1
	v_cmp_eq_u32_e32 vcc, 0, v2
	s_orn2_b64 s[6:7], vcc, exec
; %bb.396:                              ;   in Loop: Header=BB25_14 Depth=1
	s_or_b64 exec, exec, s[36:37]
	s_and_b64 exec, exec, s[6:7]
	s_cbranch_execz .LBB25_12
; %bb.397:                              ;   in Loop: Header=BB25_14 Depth=1
	v_add_u32_e32 v1, s82, v152
	v_cmp_gt_i32_e32 vcc, s72, v1
	v_mov_b32_e32 v2, 0x47
	s_and_saveexec_b64 s[6:7], vcc
	s_cbranch_execz .LBB25_399
; %bb.398:                              ;   in Loop: Header=BB25_14 Depth=1
	v_add_u32_e32 v6, 0, v180
	v_add_u32_e32 v4, v140, v180
	ds_read2_b32 v[2:3], v6 offset0:64 offset1:65
	ds_read2st64_b32 v[4:5], v4 offset1:17
	ds_read_b32 v6, v6 offset:4608
	v_readlane_b32 s8, v243, 60
	s_waitcnt lgkmcnt(1)
	v_cvt_f32_f16_e32 v10, v4
	v_cvt_f32_f16_sdwa v11, v4 dst_sel:DWORD dst_unused:UNUSED_PAD src0_sel:WORD_1
	v_cvt_f32_f16_e32 v4, v5
	v_cvt_f32_f16_sdwa v5, v5 dst_sel:DWORD dst_unused:UNUSED_PAD src0_sel:WORD_1
	v_mad_u64_u32 v[8:9], s[36:37], s8, v1, v[46:47]
	v_readlane_b32 s36, v242, 19
	v_pk_fma_f32 v[10:11], v[2:3], v[10:11], 0 op_sel_hi:[0,1,0]
	v_ashrrev_i32_e32 v9, 31, v8
	v_readlane_b32 s37, v242, 20
	s_waitcnt lgkmcnt(0)
	v_pk_fma_f32 v[4:5], v[6:7], v[4:5], v[10:11] op_sel_hi:[0,1,1]
	v_lshl_add_u64 v[8:9], v[8:9], 3, s[36:37]
	v_div_scale_f32 v1, s[36:37], v3, v3, v5
	v_rcp_f32_e32 v2, v1
	s_nop 0
	v_fma_f32 v6, -v1, v2, 1.0
	v_fmac_f32_e32 v2, v6, v2
	v_div_scale_f32 v6, vcc, v5, v3, v5
	v_mul_f32_e32 v7, v6, v2
	v_fma_f32 v10, -v1, v7, v6
	v_fmac_f32_e32 v7, v10, v2
	v_fma_f32 v1, -v1, v7, v6
	v_div_fmas_f32 v1, v1, v2, v7
	v_div_fixup_f32 v5, v1, v3, v5
	v_div_scale_f32 v1, s[36:37], v3, v3, v4
	v_rcp_f32_e32 v2, v1
	s_nop 0
	v_fma_f32 v6, -v1, v2, 1.0
	v_fmac_f32_e32 v2, v6, v2
	v_div_scale_f32 v6, vcc, v4, v3, v4
	v_mul_f32_e32 v7, v6, v2
	v_fma_f32 v10, -v1, v7, v6
	v_fmac_f32_e32 v7, v10, v2
	v_fma_f32 v1, -v1, v7, v6
	v_div_fmas_f32 v1, v1, v2, v7
	v_div_fixup_f32 v4, v1, v3, v4
	v_mov_b32_e32 v2, 0
	global_store_dwordx2 v[8:9], v[4:5], off
.LBB25_399:                             ;   in Loop: Header=BB25_14 Depth=1
	s_or_b64 exec, exec, s[6:7]
	s_movk_i32 s6, 0x47
	v_cmp_gt_i32_e32 vcc, s6, v2
	s_mov_b64 s[6:7], -1
	s_and_saveexec_b64 s[36:37], vcc
; %bb.400:                              ;   in Loop: Header=BB25_14 Depth=1
	v_cmp_eq_u32_e32 vcc, 0, v2
	s_orn2_b64 s[6:7], vcc, exec
; %bb.401:                              ;   in Loop: Header=BB25_14 Depth=1
	s_or_b64 exec, exec, s[36:37]
	s_and_b64 exec, exec, s[6:7]
	s_cbranch_execz .LBB25_12
; %bb.402:                              ;   in Loop: Header=BB25_14 Depth=1
	v_add_u32_e32 v1, s82, v153
	v_cmp_gt_i32_e32 vcc, s72, v1
	v_mov_b32_e32 v2, 0x47
	s_and_saveexec_b64 s[6:7], vcc
	s_cbranch_execz .LBB25_404
; %bb.403:                              ;   in Loop: Header=BB25_14 Depth=1
	v_add_u32_e32 v6, 0, v181
	v_add_u32_e32 v4, v140, v181
	ds_read2_b32 v[2:3], v6 offset0:64 offset1:65
	ds_read2st64_b32 v[4:5], v4 offset1:17
	ds_read_b32 v6, v6 offset:4608
	v_readlane_b32 s8, v243, 60
	s_waitcnt lgkmcnt(1)
	v_cvt_f32_f16_e32 v10, v4
	v_cvt_f32_f16_sdwa v11, v4 dst_sel:DWORD dst_unused:UNUSED_PAD src0_sel:WORD_1
	v_cvt_f32_f16_e32 v4, v5
	v_cvt_f32_f16_sdwa v5, v5 dst_sel:DWORD dst_unused:UNUSED_PAD src0_sel:WORD_1
	v_mad_u64_u32 v[8:9], s[36:37], s8, v1, v[46:47]
	v_readlane_b32 s36, v242, 19
	v_pk_fma_f32 v[10:11], v[2:3], v[10:11], 0 op_sel_hi:[0,1,0]
	v_ashrrev_i32_e32 v9, 31, v8
	v_readlane_b32 s37, v242, 20
	s_waitcnt lgkmcnt(0)
	v_pk_fma_f32 v[4:5], v[6:7], v[4:5], v[10:11] op_sel_hi:[0,1,1]
	v_lshl_add_u64 v[8:9], v[8:9], 3, s[36:37]
	v_div_scale_f32 v1, s[36:37], v3, v3, v5
	v_rcp_f32_e32 v2, v1
	s_nop 0
	v_fma_f32 v6, -v1, v2, 1.0
	v_fmac_f32_e32 v2, v6, v2
	v_div_scale_f32 v6, vcc, v5, v3, v5
	v_mul_f32_e32 v7, v6, v2
	v_fma_f32 v10, -v1, v7, v6
	v_fmac_f32_e32 v7, v10, v2
	v_fma_f32 v1, -v1, v7, v6
	v_div_fmas_f32 v1, v1, v2, v7
	v_div_fixup_f32 v5, v1, v3, v5
	v_div_scale_f32 v1, s[36:37], v3, v3, v4
	v_rcp_f32_e32 v2, v1
	s_nop 0
	v_fma_f32 v6, -v1, v2, 1.0
	v_fmac_f32_e32 v2, v6, v2
	v_div_scale_f32 v6, vcc, v4, v3, v4
	v_mul_f32_e32 v7, v6, v2
	v_fma_f32 v10, -v1, v7, v6
	v_fmac_f32_e32 v7, v10, v2
	v_fma_f32 v1, -v1, v7, v6
	v_div_fmas_f32 v1, v1, v2, v7
	v_div_fixup_f32 v4, v1, v3, v4
	v_mov_b32_e32 v2, 0
	global_store_dwordx2 v[8:9], v[4:5], off
.LBB25_404:                             ;   in Loop: Header=BB25_14 Depth=1
	s_or_b64 exec, exec, s[6:7]
	s_movk_i32 s6, 0x47
	v_cmp_gt_i32_e32 vcc, s6, v2
	s_mov_b64 s[6:7], -1
	s_and_saveexec_b64 s[36:37], vcc
; %bb.405:                              ;   in Loop: Header=BB25_14 Depth=1
	v_cmp_eq_u32_e32 vcc, 0, v2
	s_orn2_b64 s[6:7], vcc, exec
; %bb.406:                              ;   in Loop: Header=BB25_14 Depth=1
	s_or_b64 exec, exec, s[36:37]
	s_and_b64 exec, exec, s[6:7]
	s_cbranch_execz .LBB25_12
; %bb.407:                              ;   in Loop: Header=BB25_14 Depth=1
	v_add_u32_e32 v1, s82, v154
	v_cmp_gt_i32_e32 vcc, s72, v1
	v_mov_b32_e32 v2, 0x47
	s_and_saveexec_b64 s[6:7], vcc
	s_cbranch_execz .LBB25_409
; %bb.408:                              ;   in Loop: Header=BB25_14 Depth=1
	v_add_u32_e32 v6, 0, v182
	v_add_u32_e32 v4, v140, v182
	ds_read2_b32 v[2:3], v6 offset0:64 offset1:65
	ds_read2st64_b32 v[4:5], v4 offset1:17
	ds_read_b32 v6, v6 offset:4608
	v_readlane_b32 s8, v243, 60
	s_waitcnt lgkmcnt(1)
	v_cvt_f32_f16_e32 v10, v4
	v_cvt_f32_f16_sdwa v11, v4 dst_sel:DWORD dst_unused:UNUSED_PAD src0_sel:WORD_1
	v_cvt_f32_f16_e32 v4, v5
	v_cvt_f32_f16_sdwa v5, v5 dst_sel:DWORD dst_unused:UNUSED_PAD src0_sel:WORD_1
	v_mad_u64_u32 v[8:9], s[36:37], s8, v1, v[46:47]
	v_readlane_b32 s36, v242, 19
	v_pk_fma_f32 v[10:11], v[2:3], v[10:11], 0 op_sel_hi:[0,1,0]
	v_ashrrev_i32_e32 v9, 31, v8
	v_readlane_b32 s37, v242, 20
	s_waitcnt lgkmcnt(0)
	v_pk_fma_f32 v[4:5], v[6:7], v[4:5], v[10:11] op_sel_hi:[0,1,1]
	v_lshl_add_u64 v[8:9], v[8:9], 3, s[36:37]
	v_div_scale_f32 v1, s[36:37], v3, v3, v5
	v_rcp_f32_e32 v2, v1
	s_nop 0
	v_fma_f32 v6, -v1, v2, 1.0
	v_fmac_f32_e32 v2, v6, v2
	v_div_scale_f32 v6, vcc, v5, v3, v5
	v_mul_f32_e32 v7, v6, v2
	v_fma_f32 v10, -v1, v7, v6
	v_fmac_f32_e32 v7, v10, v2
	v_fma_f32 v1, -v1, v7, v6
	v_div_fmas_f32 v1, v1, v2, v7
	v_div_fixup_f32 v5, v1, v3, v5
	v_div_scale_f32 v1, s[36:37], v3, v3, v4
	v_rcp_f32_e32 v2, v1
	s_nop 0
	v_fma_f32 v6, -v1, v2, 1.0
	v_fmac_f32_e32 v2, v6, v2
	v_div_scale_f32 v6, vcc, v4, v3, v4
	v_mul_f32_e32 v7, v6, v2
	v_fma_f32 v10, -v1, v7, v6
	v_fmac_f32_e32 v7, v10, v2
	v_fma_f32 v1, -v1, v7, v6
	v_div_fmas_f32 v1, v1, v2, v7
	v_div_fixup_f32 v4, v1, v3, v4
	v_mov_b32_e32 v2, 0
	global_store_dwordx2 v[8:9], v[4:5], off
.LBB25_409:                             ;   in Loop: Header=BB25_14 Depth=1
	s_or_b64 exec, exec, s[6:7]
	s_movk_i32 s6, 0x47
	v_cmp_gt_i32_e32 vcc, s6, v2
	s_mov_b64 s[6:7], -1
	s_and_saveexec_b64 s[36:37], vcc
; %bb.410:                              ;   in Loop: Header=BB25_14 Depth=1
	v_cmp_eq_u32_e32 vcc, 0, v2
	s_orn2_b64 s[6:7], vcc, exec
; %bb.411:                              ;   in Loop: Header=BB25_14 Depth=1
	s_or_b64 exec, exec, s[36:37]
	s_and_b64 exec, exec, s[6:7]
	s_cbranch_execz .LBB25_12
; %bb.412:                              ;   in Loop: Header=BB25_14 Depth=1
	v_add_u32_e32 v1, s82, v155
	v_cmp_gt_i32_e32 vcc, s72, v1
	v_mov_b32_e32 v2, 0x47
	s_and_saveexec_b64 s[6:7], vcc
	s_cbranch_execz .LBB25_414
; %bb.413:                              ;   in Loop: Header=BB25_14 Depth=1
	v_add_u32_e32 v6, 0, v183
	v_add_u32_e32 v4, v140, v183
	ds_read2_b32 v[2:3], v6 offset0:64 offset1:65
	ds_read2st64_b32 v[4:5], v4 offset1:17
	ds_read_b32 v6, v6 offset:4608
	v_readlane_b32 s8, v243, 60
	s_waitcnt lgkmcnt(1)
	v_cvt_f32_f16_e32 v10, v4
	v_cvt_f32_f16_sdwa v11, v4 dst_sel:DWORD dst_unused:UNUSED_PAD src0_sel:WORD_1
	v_cvt_f32_f16_e32 v4, v5
	v_cvt_f32_f16_sdwa v5, v5 dst_sel:DWORD dst_unused:UNUSED_PAD src0_sel:WORD_1
	v_mad_u64_u32 v[8:9], s[36:37], s8, v1, v[46:47]
	v_readlane_b32 s36, v242, 19
	v_pk_fma_f32 v[10:11], v[2:3], v[10:11], 0 op_sel_hi:[0,1,0]
	v_ashrrev_i32_e32 v9, 31, v8
	v_readlane_b32 s37, v242, 20
	s_waitcnt lgkmcnt(0)
	v_pk_fma_f32 v[4:5], v[6:7], v[4:5], v[10:11] op_sel_hi:[0,1,1]
	v_lshl_add_u64 v[8:9], v[8:9], 3, s[36:37]
	v_div_scale_f32 v1, s[36:37], v3, v3, v5
	v_rcp_f32_e32 v2, v1
	s_nop 0
	v_fma_f32 v6, -v1, v2, 1.0
	v_fmac_f32_e32 v2, v6, v2
	v_div_scale_f32 v6, vcc, v5, v3, v5
	v_mul_f32_e32 v7, v6, v2
	v_fma_f32 v10, -v1, v7, v6
	v_fmac_f32_e32 v7, v10, v2
	v_fma_f32 v1, -v1, v7, v6
	v_div_fmas_f32 v1, v1, v2, v7
	v_div_fixup_f32 v5, v1, v3, v5
	v_div_scale_f32 v1, s[36:37], v3, v3, v4
	v_rcp_f32_e32 v2, v1
	s_nop 0
	v_fma_f32 v6, -v1, v2, 1.0
	v_fmac_f32_e32 v2, v6, v2
	v_div_scale_f32 v6, vcc, v4, v3, v4
	v_mul_f32_e32 v7, v6, v2
	v_fma_f32 v10, -v1, v7, v6
	v_fmac_f32_e32 v7, v10, v2
	v_fma_f32 v1, -v1, v7, v6
	v_div_fmas_f32 v1, v1, v2, v7
	v_div_fixup_f32 v4, v1, v3, v4
	v_mov_b32_e32 v2, 0
	global_store_dwordx2 v[8:9], v[4:5], off
.LBB25_414:                             ;   in Loop: Header=BB25_14 Depth=1
	s_or_b64 exec, exec, s[6:7]
	s_movk_i32 s6, 0x47
	v_cmp_gt_i32_e32 vcc, s6, v2
	s_mov_b64 s[6:7], -1
	s_and_saveexec_b64 s[36:37], vcc
; %bb.415:                              ;   in Loop: Header=BB25_14 Depth=1
	v_cmp_eq_u32_e32 vcc, 0, v2
	s_orn2_b64 s[6:7], vcc, exec
; %bb.416:                              ;   in Loop: Header=BB25_14 Depth=1
	s_or_b64 exec, exec, s[36:37]
	s_and_b64 exec, exec, s[6:7]
	s_cbranch_execz .LBB25_12
; %bb.417:                              ;   in Loop: Header=BB25_14 Depth=1
	v_add_u32_e32 v1, s82, v156
	v_cmp_gt_i32_e32 vcc, s72, v1
	v_mov_b32_e32 v2, 0x47
	s_and_saveexec_b64 s[6:7], vcc
	s_cbranch_execz .LBB25_419
; %bb.418:                              ;   in Loop: Header=BB25_14 Depth=1
	v_add_u32_e32 v6, 0, v184
	v_add_u32_e32 v4, v140, v184
	ds_read2_b32 v[2:3], v6 offset0:64 offset1:65
	ds_read2st64_b32 v[4:5], v4 offset1:17
	ds_read_b32 v6, v6 offset:4608
	v_readlane_b32 s8, v243, 60
	s_waitcnt lgkmcnt(1)
	v_cvt_f32_f16_e32 v10, v4
	v_cvt_f32_f16_sdwa v11, v4 dst_sel:DWORD dst_unused:UNUSED_PAD src0_sel:WORD_1
	v_cvt_f32_f16_e32 v4, v5
	v_cvt_f32_f16_sdwa v5, v5 dst_sel:DWORD dst_unused:UNUSED_PAD src0_sel:WORD_1
	v_mad_u64_u32 v[8:9], s[36:37], s8, v1, v[46:47]
	v_readlane_b32 s36, v242, 19
	v_pk_fma_f32 v[10:11], v[2:3], v[10:11], 0 op_sel_hi:[0,1,0]
	v_ashrrev_i32_e32 v9, 31, v8
	v_readlane_b32 s37, v242, 20
	s_waitcnt lgkmcnt(0)
	v_pk_fma_f32 v[4:5], v[6:7], v[4:5], v[10:11] op_sel_hi:[0,1,1]
	v_lshl_add_u64 v[8:9], v[8:9], 3, s[36:37]
	v_div_scale_f32 v1, s[36:37], v3, v3, v5
	v_rcp_f32_e32 v2, v1
	s_nop 0
	v_fma_f32 v6, -v1, v2, 1.0
	v_fmac_f32_e32 v2, v6, v2
	v_div_scale_f32 v6, vcc, v5, v3, v5
	v_mul_f32_e32 v7, v6, v2
	v_fma_f32 v10, -v1, v7, v6
	v_fmac_f32_e32 v7, v10, v2
	v_fma_f32 v1, -v1, v7, v6
	v_div_fmas_f32 v1, v1, v2, v7
	v_div_fixup_f32 v5, v1, v3, v5
	v_div_scale_f32 v1, s[36:37], v3, v3, v4
	v_rcp_f32_e32 v2, v1
	s_nop 0
	v_fma_f32 v6, -v1, v2, 1.0
	v_fmac_f32_e32 v2, v6, v2
	v_div_scale_f32 v6, vcc, v4, v3, v4
	v_mul_f32_e32 v7, v6, v2
	v_fma_f32 v10, -v1, v7, v6
	v_fmac_f32_e32 v7, v10, v2
	v_fma_f32 v1, -v1, v7, v6
	v_div_fmas_f32 v1, v1, v2, v7
	v_div_fixup_f32 v4, v1, v3, v4
	v_mov_b32_e32 v2, 0
	global_store_dwordx2 v[8:9], v[4:5], off
.LBB25_419:                             ;   in Loop: Header=BB25_14 Depth=1
	s_or_b64 exec, exec, s[6:7]
	s_movk_i32 s6, 0x47
	v_cmp_gt_i32_e32 vcc, s6, v2
	s_mov_b64 s[6:7], -1
	s_and_saveexec_b64 s[36:37], vcc
; %bb.420:                              ;   in Loop: Header=BB25_14 Depth=1
	v_cmp_eq_u32_e32 vcc, 0, v2
	s_orn2_b64 s[6:7], vcc, exec
; %bb.421:                              ;   in Loop: Header=BB25_14 Depth=1
	s_or_b64 exec, exec, s[36:37]
	s_and_b64 exec, exec, s[6:7]
	s_cbranch_execz .LBB25_12
; %bb.422:                              ;   in Loop: Header=BB25_14 Depth=1
	v_add_u32_e32 v1, s82, v157
	v_cmp_gt_i32_e32 vcc, s72, v1
	v_mov_b32_e32 v2, 0x47
	s_and_saveexec_b64 s[6:7], vcc
	s_cbranch_execz .LBB25_424
; %bb.423:                              ;   in Loop: Header=BB25_14 Depth=1
	v_add_u32_e32 v6, 0, v185
	v_add_u32_e32 v4, v140, v185
	ds_read2_b32 v[2:3], v6 offset0:64 offset1:65
	ds_read2st64_b32 v[4:5], v4 offset1:17
	ds_read_b32 v6, v6 offset:4608
	v_readlane_b32 s8, v243, 60
	s_waitcnt lgkmcnt(1)
	v_cvt_f32_f16_e32 v10, v4
	v_cvt_f32_f16_sdwa v11, v4 dst_sel:DWORD dst_unused:UNUSED_PAD src0_sel:WORD_1
	v_cvt_f32_f16_e32 v4, v5
	v_cvt_f32_f16_sdwa v5, v5 dst_sel:DWORD dst_unused:UNUSED_PAD src0_sel:WORD_1
	v_mad_u64_u32 v[8:9], s[36:37], s8, v1, v[46:47]
	v_readlane_b32 s36, v242, 19
	v_pk_fma_f32 v[10:11], v[2:3], v[10:11], 0 op_sel_hi:[0,1,0]
	v_ashrrev_i32_e32 v9, 31, v8
	v_readlane_b32 s37, v242, 20
	s_waitcnt lgkmcnt(0)
	v_pk_fma_f32 v[4:5], v[6:7], v[4:5], v[10:11] op_sel_hi:[0,1,1]
	v_lshl_add_u64 v[8:9], v[8:9], 3, s[36:37]
	v_div_scale_f32 v1, s[36:37], v3, v3, v5
	v_rcp_f32_e32 v2, v1
	s_nop 0
	v_fma_f32 v6, -v1, v2, 1.0
	v_fmac_f32_e32 v2, v6, v2
	v_div_scale_f32 v6, vcc, v5, v3, v5
	v_mul_f32_e32 v7, v6, v2
	v_fma_f32 v10, -v1, v7, v6
	v_fmac_f32_e32 v7, v10, v2
	v_fma_f32 v1, -v1, v7, v6
	v_div_fmas_f32 v1, v1, v2, v7
	v_div_fixup_f32 v5, v1, v3, v5
	v_div_scale_f32 v1, s[36:37], v3, v3, v4
	v_rcp_f32_e32 v2, v1
	s_nop 0
	v_fma_f32 v6, -v1, v2, 1.0
	v_fmac_f32_e32 v2, v6, v2
	v_div_scale_f32 v6, vcc, v4, v3, v4
	v_mul_f32_e32 v7, v6, v2
	v_fma_f32 v10, -v1, v7, v6
	v_fmac_f32_e32 v7, v10, v2
	v_fma_f32 v1, -v1, v7, v6
	v_div_fmas_f32 v1, v1, v2, v7
	v_div_fixup_f32 v4, v1, v3, v4
	v_mov_b32_e32 v2, 0
	global_store_dwordx2 v[8:9], v[4:5], off
.LBB25_424:                             ;   in Loop: Header=BB25_14 Depth=1
	s_or_b64 exec, exec, s[6:7]
	s_movk_i32 s6, 0x47
	v_cmp_gt_i32_e32 vcc, s6, v2
	s_mov_b64 s[6:7], -1
	s_and_saveexec_b64 s[36:37], vcc
; %bb.425:                              ;   in Loop: Header=BB25_14 Depth=1
	v_cmp_eq_u32_e32 vcc, 0, v2
	s_orn2_b64 s[6:7], vcc, exec
; %bb.426:                              ;   in Loop: Header=BB25_14 Depth=1
	s_or_b64 exec, exec, s[36:37]
	s_and_b64 exec, exec, s[6:7]
	s_cbranch_execz .LBB25_12
; %bb.427:                              ;   in Loop: Header=BB25_14 Depth=1
	v_add_u32_e32 v1, s82, v158
	v_cmp_gt_i32_e32 vcc, s72, v1
	v_mov_b32_e32 v2, 0x47
	s_and_saveexec_b64 s[6:7], vcc
	s_cbranch_execz .LBB25_429
; %bb.428:                              ;   in Loop: Header=BB25_14 Depth=1
	v_add_u32_e32 v6, 0, v186
	v_add_u32_e32 v4, v140, v186
	ds_read2_b32 v[2:3], v6 offset0:64 offset1:65
	ds_read2st64_b32 v[4:5], v4 offset1:17
	ds_read_b32 v6, v6 offset:4608
	v_readlane_b32 s8, v243, 60
	s_waitcnt lgkmcnt(1)
	v_cvt_f32_f16_e32 v10, v4
	v_cvt_f32_f16_sdwa v11, v4 dst_sel:DWORD dst_unused:UNUSED_PAD src0_sel:WORD_1
	v_cvt_f32_f16_e32 v4, v5
	v_cvt_f32_f16_sdwa v5, v5 dst_sel:DWORD dst_unused:UNUSED_PAD src0_sel:WORD_1
	v_mad_u64_u32 v[8:9], s[36:37], s8, v1, v[46:47]
	v_readlane_b32 s36, v242, 19
	v_pk_fma_f32 v[10:11], v[2:3], v[10:11], 0 op_sel_hi:[0,1,0]
	v_ashrrev_i32_e32 v9, 31, v8
	v_readlane_b32 s37, v242, 20
	s_waitcnt lgkmcnt(0)
	v_pk_fma_f32 v[4:5], v[6:7], v[4:5], v[10:11] op_sel_hi:[0,1,1]
	v_lshl_add_u64 v[8:9], v[8:9], 3, s[36:37]
	v_div_scale_f32 v1, s[36:37], v3, v3, v5
	v_rcp_f32_e32 v2, v1
	s_nop 0
	v_fma_f32 v6, -v1, v2, 1.0
	v_fmac_f32_e32 v2, v6, v2
	v_div_scale_f32 v6, vcc, v5, v3, v5
	v_mul_f32_e32 v7, v6, v2
	v_fma_f32 v10, -v1, v7, v6
	v_fmac_f32_e32 v7, v10, v2
	v_fma_f32 v1, -v1, v7, v6
	v_div_fmas_f32 v1, v1, v2, v7
	v_div_fixup_f32 v5, v1, v3, v5
	v_div_scale_f32 v1, s[36:37], v3, v3, v4
	v_rcp_f32_e32 v2, v1
	s_nop 0
	v_fma_f32 v6, -v1, v2, 1.0
	v_fmac_f32_e32 v2, v6, v2
	v_div_scale_f32 v6, vcc, v4, v3, v4
	v_mul_f32_e32 v7, v6, v2
	v_fma_f32 v10, -v1, v7, v6
	v_fmac_f32_e32 v7, v10, v2
	v_fma_f32 v1, -v1, v7, v6
	v_div_fmas_f32 v1, v1, v2, v7
	v_div_fixup_f32 v4, v1, v3, v4
	v_mov_b32_e32 v2, 0
	global_store_dwordx2 v[8:9], v[4:5], off
.LBB25_429:                             ;   in Loop: Header=BB25_14 Depth=1
	s_or_b64 exec, exec, s[6:7]
	s_movk_i32 s6, 0x47
	v_cmp_gt_i32_e32 vcc, s6, v2
	s_mov_b64 s[6:7], -1
	s_and_saveexec_b64 s[36:37], vcc
; %bb.430:                              ;   in Loop: Header=BB25_14 Depth=1
	v_cmp_eq_u32_e32 vcc, 0, v2
	s_orn2_b64 s[6:7], vcc, exec
; %bb.431:                              ;   in Loop: Header=BB25_14 Depth=1
	s_or_b64 exec, exec, s[36:37]
	s_and_b64 exec, exec, s[6:7]
	s_cbranch_execz .LBB25_12
; %bb.432:                              ;   in Loop: Header=BB25_14 Depth=1
	v_add_u32_e32 v1, s82, v159
	v_cmp_gt_i32_e32 vcc, s72, v1
	v_mov_b32_e32 v2, 0x47
	s_and_saveexec_b64 s[6:7], vcc
	s_cbranch_execz .LBB25_434
; %bb.433:                              ;   in Loop: Header=BB25_14 Depth=1
	v_add_u32_e32 v6, 0, v187
	v_add_u32_e32 v4, v140, v187
	ds_read2_b32 v[2:3], v6 offset0:64 offset1:65
	ds_read2st64_b32 v[4:5], v4 offset1:17
	ds_read_b32 v6, v6 offset:4608
	v_readlane_b32 s8, v243, 60
	s_waitcnt lgkmcnt(1)
	v_cvt_f32_f16_e32 v10, v4
	v_cvt_f32_f16_sdwa v11, v4 dst_sel:DWORD dst_unused:UNUSED_PAD src0_sel:WORD_1
	v_cvt_f32_f16_e32 v4, v5
	v_cvt_f32_f16_sdwa v5, v5 dst_sel:DWORD dst_unused:UNUSED_PAD src0_sel:WORD_1
	v_mad_u64_u32 v[8:9], s[36:37], s8, v1, v[46:47]
	v_readlane_b32 s36, v242, 19
	v_pk_fma_f32 v[10:11], v[2:3], v[10:11], 0 op_sel_hi:[0,1,0]
	v_ashrrev_i32_e32 v9, 31, v8
	v_readlane_b32 s37, v242, 20
	s_waitcnt lgkmcnt(0)
	v_pk_fma_f32 v[4:5], v[6:7], v[4:5], v[10:11] op_sel_hi:[0,1,1]
	v_lshl_add_u64 v[8:9], v[8:9], 3, s[36:37]
	v_div_scale_f32 v1, s[36:37], v3, v3, v5
	v_rcp_f32_e32 v2, v1
	s_nop 0
	v_fma_f32 v6, -v1, v2, 1.0
	v_fmac_f32_e32 v2, v6, v2
	v_div_scale_f32 v6, vcc, v5, v3, v5
	v_mul_f32_e32 v7, v6, v2
	v_fma_f32 v10, -v1, v7, v6
	v_fmac_f32_e32 v7, v10, v2
	v_fma_f32 v1, -v1, v7, v6
	v_div_fmas_f32 v1, v1, v2, v7
	v_div_fixup_f32 v5, v1, v3, v5
	v_div_scale_f32 v1, s[36:37], v3, v3, v4
	v_rcp_f32_e32 v2, v1
	s_nop 0
	v_fma_f32 v6, -v1, v2, 1.0
	v_fmac_f32_e32 v2, v6, v2
	v_div_scale_f32 v6, vcc, v4, v3, v4
	v_mul_f32_e32 v7, v6, v2
	v_fma_f32 v10, -v1, v7, v6
	v_fmac_f32_e32 v7, v10, v2
	v_fma_f32 v1, -v1, v7, v6
	v_div_fmas_f32 v1, v1, v2, v7
	v_div_fixup_f32 v4, v1, v3, v4
	v_mov_b32_e32 v2, 0
	global_store_dwordx2 v[8:9], v[4:5], off
.LBB25_434:                             ;   in Loop: Header=BB25_14 Depth=1
	s_or_b64 exec, exec, s[6:7]
	s_movk_i32 s6, 0x47
	v_cmp_gt_i32_e32 vcc, s6, v2
	s_mov_b64 s[6:7], -1
	s_and_saveexec_b64 s[36:37], vcc
; %bb.435:                              ;   in Loop: Header=BB25_14 Depth=1
	v_cmp_eq_u32_e32 vcc, 0, v2
	s_orn2_b64 s[6:7], vcc, exec
; %bb.436:                              ;   in Loop: Header=BB25_14 Depth=1
	s_or_b64 exec, exec, s[36:37]
	s_and_b64 exec, exec, s[6:7]
	s_cbranch_execz .LBB25_12
; %bb.437:                              ;   in Loop: Header=BB25_14 Depth=1
	v_add_u32_e32 v1, s82, v160
	v_cmp_gt_i32_e32 vcc, s72, v1
	v_mov_b32_e32 v2, 0x47
	s_and_saveexec_b64 s[6:7], vcc
	s_cbranch_execz .LBB25_439
; %bb.438:                              ;   in Loop: Header=BB25_14 Depth=1
	v_add_u32_e32 v6, 0, v188
	v_add_u32_e32 v4, v140, v188
	ds_read2_b32 v[2:3], v6 offset0:64 offset1:65
	ds_read2st64_b32 v[4:5], v4 offset1:17
	ds_read_b32 v6, v6 offset:4608
	v_readlane_b32 s8, v243, 60
	s_waitcnt lgkmcnt(1)
	v_cvt_f32_f16_e32 v10, v4
	v_cvt_f32_f16_sdwa v11, v4 dst_sel:DWORD dst_unused:UNUSED_PAD src0_sel:WORD_1
	v_cvt_f32_f16_e32 v4, v5
	v_cvt_f32_f16_sdwa v5, v5 dst_sel:DWORD dst_unused:UNUSED_PAD src0_sel:WORD_1
	v_mad_u64_u32 v[8:9], s[36:37], s8, v1, v[46:47]
	v_readlane_b32 s36, v242, 19
	v_pk_fma_f32 v[10:11], v[2:3], v[10:11], 0 op_sel_hi:[0,1,0]
	v_ashrrev_i32_e32 v9, 31, v8
	v_readlane_b32 s37, v242, 20
	s_waitcnt lgkmcnt(0)
	v_pk_fma_f32 v[4:5], v[6:7], v[4:5], v[10:11] op_sel_hi:[0,1,1]
	v_lshl_add_u64 v[8:9], v[8:9], 3, s[36:37]
	v_div_scale_f32 v1, s[36:37], v3, v3, v5
	v_rcp_f32_e32 v2, v1
	s_nop 0
	v_fma_f32 v6, -v1, v2, 1.0
	v_fmac_f32_e32 v2, v6, v2
	v_div_scale_f32 v6, vcc, v5, v3, v5
	v_mul_f32_e32 v7, v6, v2
	v_fma_f32 v10, -v1, v7, v6
	v_fmac_f32_e32 v7, v10, v2
	v_fma_f32 v1, -v1, v7, v6
	v_div_fmas_f32 v1, v1, v2, v7
	v_div_fixup_f32 v5, v1, v3, v5
	v_div_scale_f32 v1, s[36:37], v3, v3, v4
	v_rcp_f32_e32 v2, v1
	s_nop 0
	v_fma_f32 v6, -v1, v2, 1.0
	v_fmac_f32_e32 v2, v6, v2
	v_div_scale_f32 v6, vcc, v4, v3, v4
	v_mul_f32_e32 v7, v6, v2
	v_fma_f32 v10, -v1, v7, v6
	v_fmac_f32_e32 v7, v10, v2
	v_fma_f32 v1, -v1, v7, v6
	v_div_fmas_f32 v1, v1, v2, v7
	v_div_fixup_f32 v4, v1, v3, v4
	v_mov_b32_e32 v2, 0
	global_store_dwordx2 v[8:9], v[4:5], off
.LBB25_439:                             ;   in Loop: Header=BB25_14 Depth=1
	s_or_b64 exec, exec, s[6:7]
	s_movk_i32 s6, 0x47
	v_cmp_gt_i32_e32 vcc, s6, v2
	s_mov_b64 s[6:7], -1
	s_and_saveexec_b64 s[36:37], vcc
; %bb.440:                              ;   in Loop: Header=BB25_14 Depth=1
	v_cmp_eq_u32_e32 vcc, 0, v2
	s_orn2_b64 s[6:7], vcc, exec
; %bb.441:                              ;   in Loop: Header=BB25_14 Depth=1
	s_or_b64 exec, exec, s[36:37]
	s_and_b64 exec, exec, s[6:7]
	s_cbranch_execz .LBB25_12
; %bb.442:                              ;   in Loop: Header=BB25_14 Depth=1
	v_add_u32_e32 v1, s82, v161
	v_cmp_gt_i32_e32 vcc, s72, v1
	v_mov_b32_e32 v2, 0x47
	s_and_saveexec_b64 s[6:7], vcc
	s_cbranch_execz .LBB25_444
; %bb.443:                              ;   in Loop: Header=BB25_14 Depth=1
	v_add_u32_e32 v6, 0, v189
	v_add_u32_e32 v4, v140, v189
	ds_read2_b32 v[2:3], v6 offset0:64 offset1:65
	ds_read2st64_b32 v[4:5], v4 offset1:17
	ds_read_b32 v6, v6 offset:4608
	v_readlane_b32 s8, v243, 60
	s_waitcnt lgkmcnt(1)
	v_cvt_f32_f16_e32 v10, v4
	v_cvt_f32_f16_sdwa v11, v4 dst_sel:DWORD dst_unused:UNUSED_PAD src0_sel:WORD_1
	v_cvt_f32_f16_e32 v4, v5
	v_cvt_f32_f16_sdwa v5, v5 dst_sel:DWORD dst_unused:UNUSED_PAD src0_sel:WORD_1
	v_mad_u64_u32 v[8:9], s[36:37], s8, v1, v[46:47]
	v_readlane_b32 s36, v242, 19
	v_pk_fma_f32 v[10:11], v[2:3], v[10:11], 0 op_sel_hi:[0,1,0]
	v_ashrrev_i32_e32 v9, 31, v8
	v_readlane_b32 s37, v242, 20
	s_waitcnt lgkmcnt(0)
	v_pk_fma_f32 v[4:5], v[6:7], v[4:5], v[10:11] op_sel_hi:[0,1,1]
	v_lshl_add_u64 v[8:9], v[8:9], 3, s[36:37]
	v_div_scale_f32 v1, s[36:37], v3, v3, v5
	v_rcp_f32_e32 v2, v1
	s_nop 0
	v_fma_f32 v6, -v1, v2, 1.0
	v_fmac_f32_e32 v2, v6, v2
	v_div_scale_f32 v6, vcc, v5, v3, v5
	v_mul_f32_e32 v7, v6, v2
	v_fma_f32 v10, -v1, v7, v6
	v_fmac_f32_e32 v7, v10, v2
	v_fma_f32 v1, -v1, v7, v6
	v_div_fmas_f32 v1, v1, v2, v7
	v_div_fixup_f32 v5, v1, v3, v5
	v_div_scale_f32 v1, s[36:37], v3, v3, v4
	v_rcp_f32_e32 v2, v1
	s_nop 0
	v_fma_f32 v6, -v1, v2, 1.0
	v_fmac_f32_e32 v2, v6, v2
	v_div_scale_f32 v6, vcc, v4, v3, v4
	v_mul_f32_e32 v7, v6, v2
	v_fma_f32 v10, -v1, v7, v6
	v_fmac_f32_e32 v7, v10, v2
	v_fma_f32 v1, -v1, v7, v6
	v_div_fmas_f32 v1, v1, v2, v7
	v_div_fixup_f32 v4, v1, v3, v4
	v_mov_b32_e32 v2, 0
	global_store_dwordx2 v[8:9], v[4:5], off
.LBB25_444:                             ;   in Loop: Header=BB25_14 Depth=1
	s_or_b64 exec, exec, s[6:7]
	s_movk_i32 s6, 0x47
	v_cmp_gt_i32_e32 vcc, s6, v2
	s_mov_b64 s[6:7], -1
	s_and_saveexec_b64 s[36:37], vcc
; %bb.445:                              ;   in Loop: Header=BB25_14 Depth=1
	v_cmp_eq_u32_e32 vcc, 0, v2
	s_orn2_b64 s[6:7], vcc, exec
; %bb.446:                              ;   in Loop: Header=BB25_14 Depth=1
	s_or_b64 exec, exec, s[36:37]
	s_and_b64 exec, exec, s[6:7]
	s_cbranch_execz .LBB25_12
; %bb.447:                              ;   in Loop: Header=BB25_14 Depth=1
	v_add_u32_e32 v1, s82, v162
	v_cmp_gt_i32_e32 vcc, s72, v1
	s_and_b64 exec, exec, vcc
	s_cbranch_execz .LBB25_12
; %bb.448:                              ;   in Loop: Header=BB25_14 Depth=1
	v_add_u32_e32 v2, v140, v190
	ds_read2st64_b32 v[2:3], v2 offset1:17
	v_add_u32_e32 v6, 0, v190
	ds_read2_b32 v[4:5], v6 offset0:64 offset1:65
	ds_read_b32 v6, v6 offset:4608
	s_waitcnt lgkmcnt(2)
	v_cvt_f32_f16_e32 v8, v2
	v_cvt_f32_f16_sdwa v9, v2 dst_sel:DWORD dst_unused:UNUSED_PAD src0_sel:WORD_1
	v_cvt_f32_f16_e32 v2, v3
	v_cvt_f32_f16_sdwa v3, v3 dst_sel:DWORD dst_unused:UNUSED_PAD src0_sel:WORD_1
	s_waitcnt lgkmcnt(1)
	v_pk_fma_f32 v[8:9], v[4:5], v[8:9], 0 op_sel_hi:[0,1,0]
	s_waitcnt lgkmcnt(0)
	v_pk_fma_f32 v[2:3], v[6:7], v[2:3], v[8:9] op_sel_hi:[0,1,1]
	v_div_scale_f32 v4, s[6:7], v5, v5, v3
	v_rcp_f32_e32 v8, v4
	v_readlane_b32 s6, v243, 60
	s_nop 1
	v_mad_u64_u32 v[6:7], s[6:7], s6, v1, v[46:47]
	v_fma_f32 v1, -v4, v8, 1.0
	v_fmac_f32_e32 v8, v1, v8
	v_div_scale_f32 v1, vcc, v3, v5, v3
	v_mul_f32_e32 v9, v1, v8
	v_readlane_b32 s6, v242, 19
	v_fma_f32 v10, -v4, v9, v1
	v_ashrrev_i32_e32 v7, 31, v6
	v_readlane_b32 s7, v242, 20
	v_fmac_f32_e32 v9, v10, v8
	v_fma_f32 v1, -v4, v9, v1
	v_lshl_add_u64 v[6:7], v[6:7], 3, s[6:7]
	v_div_scale_f32 v4, s[6:7], v5, v5, v2
	v_rcp_f32_e32 v10, v4
	v_div_fmas_f32 v1, v1, v8, v9
	v_div_fixup_f32 v3, v1, v5, v3
	v_fma_f32 v1, -v4, v10, 1.0
	v_fmac_f32_e32 v10, v1, v10
	v_div_scale_f32 v1, vcc, v2, v5, v2
	v_mul_f32_e32 v8, v1, v10
	v_fma_f32 v9, -v4, v8, v1
	v_fmac_f32_e32 v8, v9, v10
	v_fma_f32 v1, -v4, v8, v1
	v_div_fmas_f32 v1, v1, v10, v8
	v_div_fixup_f32 v2, v1, v5, v2
	global_store_dwordx2 v[6:7], v[2:3], off
	s_branch .LBB25_12
.LBB25_449:                             ;   in Loop: Header=BB25_14 Depth=1
                                        ; implicit-def: $vgpr2_vgpr3_vgpr4_vgpr5
                                        ; implicit-def: $vgpr6_vgpr7_vgpr8_vgpr9
	s_mov_b32 s34, s83
	s_branch .LBB25_145
.LBB25_450:                             ;   in Loop: Header=BB25_14 Depth=1
                                        ; implicit-def: $vgpr2_vgpr3_vgpr4_vgpr5
                                        ; implicit-def: $vgpr6_vgpr7_vgpr8_vgpr9
	s_mov_b32 s34, s50
	s_branch .LBB25_360
.LBB25_451:
	v_readlane_b32 s12, v243, 45
	v_readlane_b32 s49, v243, 57
	;; [unrolled: 1-line block ×10, first 2 shown]
	s_andn2_b64 vcc, exec, s[2:3]
	s_cbranch_vccnz .LBB25_10
.LBB25_452:
	v_readlane_b32 s7, v243, 7
	s_abs_i32 s0, s7
	v_cvt_f32_u32_e32 v1, s0
	s_sub_i32 s3, 0, s0
	s_abs_i32 s2, s34
	s_xor_b32 s1, s34, s7
	v_rcp_iflag_f32_e32 v1, v1
	s_ashr_i32 s1, s1, 31
	v_readlane_b32 s8, v243, 6
	v_readlane_b32 s9, v243, 3
	v_mul_f32_e32 v1, 0x4f7ffffe, v1
	v_cvt_u32_f32_e32 v1, v1
	v_readlane_b32 s56, v243, 23
	v_readlane_b32 s62, v243, 29
	;; [unrolled: 1-line block ×3, first 2 shown]
	v_readfirstlane_b32 s4, v1
	s_mul_i32 s3, s3, s4
	s_mul_hi_u32 s3, s4, s3
	s_add_i32 s4, s4, s3
	s_mul_hi_u32 s3, s2, s4
	s_mul_i32 s4, s3, s0
	s_sub_i32 s2, s2, s4
	s_add_i32 s5, s3, 1
	s_sub_i32 s4, s2, s0
	s_cmp_ge_u32 s2, s0
	s_cselect_b32 s3, s5, s3
	s_cselect_b32 s2, s4, s2
	s_add_i32 s4, s3, 1
	s_cmp_ge_u32 s2, s0
	s_cselect_b32 s0, s4, s3
	s_abs_i32 s2, s8
	v_cvt_f32_u32_e32 v1, s2
	s_xor_b32 s0, s0, s1
	s_sub_i32 s3, 0, s2
	s_sub_i32 s6, s0, s1
	v_rcp_iflag_f32_e32 v1, v1
	s_mul_i32 s0, s6, s7
	s_sub_i32 s0, s34, s0
	s_abs_i32 s4, s0
	v_mul_f32_e32 v1, 0x4f7ffffe, v1
	v_cvt_u32_f32_e32 v1, v1
	s_xor_b32 s1, s0, s8
	s_ashr_i32 s1, s1, 31
	v_readlane_b32 s57, v243, 24
	v_readfirstlane_b32 s5, v1
	s_mul_i32 s3, s3, s5
	s_mul_hi_u32 s3, s5, s3
	s_add_i32 s5, s5, s3
	s_mul_hi_u32 s3, s4, s5
	s_mul_i32 s5, s3, s2
	s_sub_i32 s4, s4, s5
	s_add_i32 s7, s3, 1
	s_sub_i32 s5, s4, s2
	s_cmp_ge_u32 s4, s2
	s_cselect_b32 s3, s7, s3
	s_cselect_b32 s4, s5, s4
	s_add_i32 s5, s3, 1
	s_cmp_ge_u32 s4, s2
	s_cselect_b32 s2, s5, s3
	s_abs_i32 s3, s9
	v_cvt_f32_u32_e32 v1, s3
	s_xor_b32 s2, s2, s1
	s_sub_i32 s4, 0, s3
	s_sub_i32 s7, s2, s1
	v_rcp_iflag_f32_e32 v1, v1
	s_mul_i32 s1, s7, s8
	s_sub_i32 s1, s0, s1
	s_abs_i32 s2, s1
	v_mul_f32_e32 v1, 0x4f7ffffe, v1
	v_cvt_u32_f32_e32 v1, v1
	s_xor_b32 s0, s1, s9
	s_ashr_i32 s0, s0, 31
	v_readlane_b32 s58, v243, 25
	v_readfirstlane_b32 s5, v1
	s_mul_i32 s4, s4, s5
	s_mul_hi_u32 s4, s5, s4
	s_add_i32 s5, s5, s4
	s_mul_hi_u32 s4, s2, s5
	s_mul_i32 s5, s4, s3
	s_sub_i32 s2, s2, s5
	s_add_i32 s8, s4, 1
	s_sub_i32 s5, s2, s3
	s_cmp_ge_u32 s2, s3
	s_cselect_b32 s4, s8, s4
	s_cselect_b32 s2, s5, s2
	s_add_i32 s5, s4, 1
	s_cmp_ge_u32 s2, s3
	s_cselect_b32 s2, s5, s4
	s_xor_b32 s2, s2, s0
	s_sub_i32 s0, s2, s0
	s_mul_i32 s2, s0, s9
	s_sub_i32 s1, s1, s2
	s_abs_i32 s10, s1
	s_ashr_i32 s8, s6, 31
	s_mul_hi_u32 s9, s10, s50
	v_readlane_b32 s59, v243, 26
	v_readlane_b32 s60, v243, 27
	;; [unrolled: 1-line block ×7, first 2 shown]
	s_cmp_eq_u64 s[62:63], 0
	s_mov_b64 s[2:3], 0
	v_readlane_b32 s64, v243, 31
	v_readlane_b32 s65, v243, 32
	;; [unrolled: 1-line block ×4, first 2 shown]
	s_cbranch_scc1 .LBB25_454
; %bb.453:
	s_abs_i32 s2, s16
	v_cvt_f32_u32_e32 v1, s2
	s_sub_i32 s4, 0, s2
	s_abs_i32 s3, s6
	v_readlane_b32 s16, v243, 14
	v_rcp_iflag_f32_e32 v1, v1
	v_readlane_b32 s17, v243, 15
	v_mul_f32_e32 v1, 0x4f7ffffe, v1
	v_cvt_u32_f32_e32 v1, v1
	s_nop 0
	v_readfirstlane_b32 s5, v1
	s_mul_i32 s4, s4, s5
	s_mul_hi_u32 s4, s5, s4
	s_add_i32 s5, s5, s4
	s_mul_hi_u32 s4, s3, s5
	s_mul_i32 s4, s4, s2
	s_sub_i32 s3, s3, s4
	s_sub_i32 s4, s3, s2
	s_cmp_ge_u32 s3, s2
	s_cselect_b32 s3, s4, s3
	s_sub_i32 s4, s3, s2
	s_cmp_ge_u32 s3, s2
	s_cselect_b32 s2, s4, s3
	s_xor_b32 s2, s2, s8
	s_sub_i32 s2, s2, s8
	s_ashr_i32 s3, s2, 31
	s_mul_hi_u32 s4, s16, s2
	s_mul_i32 s3, s16, s3
	s_mul_i32 s5, s17, s2
	s_add_i32 s3, s4, s3
	s_add_i32 s3, s3, s5
	s_mul_i32 s2, s16, s2
	s_add_u32 s2, s62, s2
	s_addc_u32 s3, s63, s3
.LBB25_454:
	s_ashr_i32 s12, s1, 31
	v_readlane_b32 s1, v243, 2
	s_mul_i32 s11, s7, s1
	s_add_i32 s11, s11, s0
	v_cmp_le_f32_e64 s[0:1], s13, 0
	s_and_b64 vcc, exec, s[0:1]
	v_mov_b32_e32 v36, 1.0
	s_cbranch_vccnz .LBB25_456
; %bb.455:
	v_mov_b32_e32 v1, s84
	v_sub_co_u32_e32 v1, vcc, s11, v1
	v_mov_b32_e32 v2, s15
	v_mov_b32_e32 v3, s14
	s_add_i32 s0, s11, 1
	v_lshlrev_b32_e32 v1, 1, v1
	v_cndmask_b32_e32 v2, v2, v3, vcc
	v_or_b32_e32 v1, 1, v1
	v_mov_b32_e32 v3, s0
	v_cndmask_b32_e32 v1, v1, v3, vcc
	v_cvt_f32_i32_e32 v1, v1
	v_cmp_neq_f32_e32 vcc, 1.0, v2
	s_mov_b32 s0, 0x3f2aaaab
	s_movk_i32 s4, 0x204
	v_cndmask_b32_e32 v1, 1.0, v1, vcc
	v_cmp_neq_f32_e32 vcc, 0, v1
	s_mov_b32 s1, 0x42b17218
	s_mov_b32 s5, 0x3fb8aa3b
	v_cndmask_b32_e32 v18, 1.0, v2, vcc
	v_frexp_mant_f32_e64 v2, |v18|
	v_cmp_gt_f32_e32 vcc, s0, v2
	s_mov_b32 s0, 0x3f317218
	s_brev_b32 s13, -2
	v_cndmask_b32_e64 v3, 1.0, 2.0, vcc
	v_mul_f32_e32 v2, v2, v3
	v_add_f32_e32 v5, 1.0, v2
	v_rcp_f32_e32 v10, v5
	v_add_f32_e32 v3, -1.0, v5
	v_sub_f32_e32 v7, v2, v3
	v_add_f32_e32 v3, -1.0, v2
	v_mul_f32_e32 v11, v3, v10
	v_mul_f32_e32 v4, v5, v11
	v_fma_f32 v6, v11, v5, -v4
	v_fmac_f32_e32 v6, v11, v7
	v_add_f32_e32 v2, v4, v6
	v_sub_f32_e32 v5, v3, v2
	v_pk_add_f32 v[8:9], v[2:3], v[4:5] neg_lo:[0,1] neg_hi:[0,1]
	v_mov_b32_e32 v7, v2
	v_pk_add_f32 v[2:3], v[8:9], v[6:7] neg_lo:[0,1] neg_hi:[0,1]
	v_mov_b32_e32 v6, 0x3e91f4c4
	v_add_f32_e32 v2, v2, v3
	v_add_f32_e32 v2, v5, v2
	v_mul_f32_e32 v3, v10, v2
	v_add_f32_e32 v2, v11, v3
	v_sub_f32_e32 v4, v2, v11
	v_sub_f32_e32 v12, v3, v4
	v_mul_f32_e32 v3, v2, v2
	v_fma_f32 v5, v2, v2, -v3
	v_add_f32_e32 v4, v12, v12
	v_fmac_f32_e32 v5, v2, v4
	v_add_f32_e32 v4, v3, v5
	v_fmac_f32_e32 v6, 0x3e76c4e1, v4
	v_fmaak_f32 v6, v4, v6, 0x3ecccdef
	v_sub_f32_e32 v3, v4, v3
	v_sub_f32_e32 v13, v5, v3
	v_mul_f32_e32 v3, v4, v6
	v_fma_f32 v5, v4, v6, -v3
	v_fmac_f32_e32 v5, v13, v6
	v_add_f32_e32 v6, v3, v5
	v_add_f32_e32 v7, 0x3f2aaaaa, v6
	v_sub_f32_e32 v3, v6, v3
	v_sub_f32_e32 v3, v5, v3
	v_add_f32_e32 v5, 0xbf2aaaaa, v7
	v_add_f32_e32 v3, 0x31739010, v3
	v_sub_f32_e32 v5, v6, v5
	v_pk_mul_f32 v[8:9], v[2:3], v[4:5]
	v_pk_add_f32 v[10:11], v[2:3], v[4:5]
	v_fma_f32 v6, v4, v2, -v8
	v_fmac_f32_e32 v6, v4, v12
	v_mov_b32_e32 v9, v11
	v_fmac_f32_e32 v6, v13, v2
	v_pk_add_f32 v[4:5], v[8:9], v[6:7]
	v_ldexp_f32 v14, v12, 1
	v_sub_f32_e32 v3, v4, v8
	v_sub_f32_e32 v3, v6, v3
	;; [unrolled: 1-line block ×3, first 2 shown]
	v_add_f32_e32 v9, v11, v6
	v_pk_mul_f32 v[6:7], v[4:5], v[4:5] op_sel:[0,1] op_sel_hi:[1,0]
	v_cvt_f64_f32_e64 v[10:11], |v18|
	v_frexp_exp_i32_f64_e32 v7, v[10:11]
	v_subbrev_co_u32_e32 v7, vcc, 0, v7, vcc
	v_cvt_f32_i32_e32 v7, v7
	v_fma_f32 v8, v4, v5, -v6
	v_fmac_f32_e32 v8, v4, v9
	v_fmac_f32_e32 v8, v3, v5
	v_mul_f32_e32 v4, 0x3f317218, v7
	v_fma_f32 v3, v7, s0, -v4
	v_fmamk_f32 v10, v7, 0xb102e308, v3
	v_ldexp_f32 v11, v2, 1
	v_add_f32_e32 v5, v6, v8
	v_pk_add_f32 v[2:3], v[4:5], v[10:11]
	v_mov_b32_e32 v12, v5
	v_mov_b32_e32 v13, v3
	;; [unrolled: 1-line block ×3, first 2 shown]
	v_pk_add_f32 v[6:7], v[12:13], v[6:7] neg_lo:[0,1] neg_hi:[0,1]
	v_mov_b32_e32 v9, v5
	v_pk_add_f32 v[6:7], v[8:9], v[6:7] neg_lo:[0,1] neg_hi:[0,1]
	v_mov_b32_e32 v11, v2
	v_add_f32_e32 v5, v14, v6
	v_add_f32_e32 v5, v5, v7
	v_pk_add_f32 v[6:7], v[2:3], v[4:5] neg_lo:[0,1] neg_hi:[0,1]
	v_pk_add_f32 v[8:9], v[2:3], v[4:5]
	v_mov_b32_e32 v16, v3
	v_mov_b32_e32 v7, v9
	v_pk_add_f32 v[12:13], v[10:11], v[6:7] neg_lo:[0,1] neg_hi:[0,1]
	v_pk_add_f32 v[6:7], v[10:11], v[6:7]
	v_mov_b32_e32 v4, v5
	v_pk_add_f32 v[10:11], v[6:7], v[2:3] op_sel:[1,0] op_sel_hi:[0,1] neg_lo:[0,1] neg_hi:[0,1]
	v_pk_add_f32 v[14:15], v[8:9], v[10:11] op_sel_hi:[1,0] neg_lo:[0,1] neg_hi:[0,1]
	v_mov_b32_e32 v8, v9
	v_mov_b32_e32 v9, v7
	;; [unrolled: 1-line block ×3, first 2 shown]
	v_pk_add_f32 v[8:9], v[8:9], v[16:17] neg_lo:[0,1] neg_hi:[0,1]
	v_mov_b32_e32 v5, v2
	v_pk_add_f32 v[2:3], v[4:5], v[8:9] neg_lo:[0,1] neg_hi:[0,1]
	v_mov_b32_e32 v14, v12
	v_pk_add_f32 v[4:5], v[14:15], v[2:3]
	v_mov_b32_e32 v13, v7
	v_pk_add_f32 v[8:9], v[4:5], v[4:5] op_sel:[0,1] op_sel_hi:[1,0]
	s_mov_b32 s0, 0x7f800000
	v_pk_add_f32 v[6:7], v[6:7], v[8:9] op_sel:[1,0] op_sel_hi:[0,1]
	v_mov_b32_e32 v5, v6
	v_pk_add_f32 v[10:11], v[4:5], v[12:13] neg_lo:[0,1] neg_hi:[0,1]
	v_mov_b32_e32 v3, v8
	v_sub_f32_e32 v4, v4, v10
	v_pk_add_f32 v[2:3], v[2:3], v[10:11] neg_lo:[0,1] neg_hi:[0,1]
	v_sub_f32_e32 v4, v12, v4
	v_add_f32_e32 v2, v2, v4
	v_add_f32_e32 v2, v2, v3
	v_add_f32_e32 v3, v6, v2
	v_sub_f32_e32 v4, v3, v6
	v_sub_f32_e32 v2, v2, v4
	v_mul_f32_e32 v4, v1, v3
	v_fma_f32 v3, v1, v3, -v4
	v_fmac_f32_e32 v3, v1, v2
	v_add_f32_e32 v2, v4, v3
	v_cmp_class_f32_e64 vcc, v4, s4
	v_sub_f32_e32 v5, v2, v4
	v_sub_f32_e32 v3, v3, v5
	v_cndmask_b32_e32 v2, v2, v4, vcc
	v_mov_b32_e32 v4, 0x37000000
	v_cmp_eq_f32_e32 vcc, s1, v2
	v_cmp_class_f32_e64 s[14:15], v18, s4
	s_nop 0
	v_cndmask_b32_e32 v4, 0, v4, vcc
	v_sub_f32_e32 v5, v2, v4
	v_mul_f32_e32 v6, 0x3fb8aa3b, v5
	v_fma_f32 v7, v5, s5, -v6
	v_rndne_f32_e32 v8, v6
	v_fmamk_f32 v7, v5, 0x32a5705f, v7
	v_sub_f32_e32 v6, v6, v8
	v_add_f32_e32 v6, v6, v7
	v_exp_f32_e32 v6, v6
	v_cvt_i32_f32_e32 v7, v8
	v_cmp_neq_f32_e64 vcc, |v2|, s0
	s_mov_b32 s0, 0xc2ce8ed0
	s_nop 0
	v_cndmask_b32_e32 v2, 0, v3, vcc
	v_ldexp_f32 v3, v6, v7
	v_cmp_ngt_f32_e32 vcc, s0, v5
	v_add_f32_e32 v2, v4, v2
	v_mov_b32_e32 v4, 0x7f800000
	v_cndmask_b32_e32 v3, 0, v3, vcc
	v_cmp_nlt_f32_e32 vcc, s1, v5
	v_mov_b32_e32 v5, 0x7fc00000
	s_nop 0
	v_cndmask_b32_e32 v3, v4, v3, vcc
	v_fma_f32 v2, v3, v2, v3
	v_cmp_class_f32_e64 vcc, v3, s4
	v_cmp_gt_f32_e64 s[4:5], 0, v1
	s_nop 0
	v_cndmask_b32_e32 v2, v2, v3, vcc
	v_trunc_f32_e32 v3, v1
	v_cmp_eq_f32_e32 vcc, v3, v1
	v_mul_f32_e32 v3, 0.5, v1
	v_trunc_f32_e32 v6, v3
	v_cmp_neq_f32_e64 s[0:1], v6, v3
	s_and_b64 s[0:1], vcc, s[0:1]
	s_nop 0
	v_cndmask_b32_e64 v3, 1.0, v18, s[0:1]
	v_bfi_b32 v2, s13, v2, v3
	v_cndmask_b32_e32 v3, v5, v2, vcc
	v_cmp_gt_f32_e32 vcc, 0, v18
	s_nop 1
	v_cndmask_b32_e32 v2, v2, v3, vcc
	v_cmp_eq_f32_e32 vcc, 0, v18
	s_xor_b64 s[4:5], s[4:5], vcc
	v_cndmask_b32_e64 v1, v4, 0, s[4:5]
	v_cndmask_b32_e64 v3, 0, v18, s[0:1]
	v_bfi_b32 v1, s13, v1, v3
	s_or_b64 vcc, vcc, s[14:15]
	v_cndmask_b32_e32 v1, v2, v1, vcc
	v_cmp_o_f32_e32 vcc, v18, v18
	s_nop 1
	v_cndmask_b32_e32 v36, v5, v1, vcc
.LBB25_456:
	s_mul_i32 s1, s9, s33
	v_readlane_b32 s0, v243, 22
	s_sub_i32 s1, s10, s1
	s_xor_b32 s0, s12, s0
	s_add_i32 s4, s9, 1
	s_sub_i32 s5, s1, s33
	s_cmp_ge_u32 s1, s33
	s_cselect_b32 s4, s4, s9
	s_cselect_b32 s1, s5, s1
	s_add_i32 s5, s4, 1
	s_cmp_ge_u32 s1, s33
	s_cselect_b32 s1, s5, s4
	s_xor_b32 s1, s1, s0
	s_sub_i32 s4, s1, s0
	s_cmp_eq_u64 s[66:67], 0
	v_mov_b32_e32 v16, s94
	s_cbranch_scc1 .LBB25_458
; %bb.457:
	v_readlane_b32 s0, v243, 0
	s_mul_i32 s0, s6, s0
	s_add_i32 s0, s4, s0
	s_ashr_i32 s1, s0, 31
	s_lshl_b64 s[0:1], s[0:1], 2
	s_add_u32 s0, s66, s0
	s_addc_u32 s1, s67, s1
	v_mov_b32_e32 v1, 0
	global_load_dword v1, v1, s[0:1]
	s_waitcnt vmcnt(0)
	v_ashrrev_i32_e32 v2, 31, v1
	v_lshrrev_b32_e32 v2, 26, v2
	v_add_u32_e32 v1, v1, v2
	v_ashrrev_i32_e32 v1, 6, v1
	v_min_i32_e32 v16, s94, v1
.LBB25_458:
	v_readlane_b32 s12, v243, 8
	v_readlane_b32 s13, v243, 9
	s_mul_i32 s0, s6, s13
	s_ashr_i32 s1, s0, 31
	s_add_u32 s0, s56, s0
	s_mul_i32 s11, s11, s12
	s_addc_u32 s1, s57, s1
	s_ashr_i32 s5, s11, 31
	s_add_u32 s0, s0, s11
	s_addc_u32 s1, s1, s5
	s_lshl_b32 s9, s4, 5
	v_and_b32_e32 v34, 0x3ff, v0
	v_add_u32_e32 v102, s9, v130
	s_mov_b32 s10, 0x10001
	v_lshl_add_u32 v35, v34, 2, 0
	v_cmp_le_i32_e32 vcc, s72, v102
	s_and_saveexec_b64 s[4:5], vcc
	s_xor_b64 s[4:5], exec, s[4:5]
; %bb.459:
	s_movk_i32 s11, 0x110
	v_mad_u32_u24 v0, v130, s11, v35
	v_mov_b32_e32 v1, 0
	ds_write_b32 v0, v1
; %bb.460:
	s_or_saveexec_b64 s[4:5], s[4:5]
	v_mul_lo_u32 v0, v139, s10
	s_xor_b64 exec, exec, s[4:5]
	s_cbranch_execz .LBB25_462
; %bb.461:
	v_mad_u64_u32 v[2:3], s[10:11], v102, s83, v[34:35]
	v_ashrrev_i32_e32 v3, 31, v2
	v_lshl_add_u64 v[2:3], v[2:3], 3, s[0:1]
	global_load_dwordx2 v[2:3], v[2:3], off
	s_movk_i32 s10, 0x110
	s_waitcnt vmcnt(0)
	v_cvt_pk_f16_f32 v1, v2, v3
	v_pk_mul_f16 v1, v1, v0
	v_mad_u32_u24 v2, v130, s10, v35
	ds_write_b32 v2, v1
.LBB25_462:
	s_or_b64 exec, exec, s[4:5]
	v_add_u32_e32 v103, s9, v138
	v_cmp_le_i32_e32 vcc, s72, v103
	s_and_saveexec_b64 s[4:5], vcc
	s_xor_b64 s[4:5], exec, s[4:5]
; %bb.463:
	s_movk_i32 s10, 0x110
	v_mad_u32_u24 v1, v138, s10, v35
	v_mov_b32_e32 v2, 0
	ds_write_b32 v1, v2
                                        ; implicit-def: $vgpr138
; %bb.464:
	s_andn2_saveexec_b64 s[4:5], s[4:5]
	s_cbranch_execz .LBB25_466
; %bb.465:
	v_mad_u64_u32 v[2:3], s[10:11], v103, s83, v[34:35]
	v_ashrrev_i32_e32 v3, 31, v2
	v_lshl_add_u64 v[2:3], v[2:3], 3, s[0:1]
	global_load_dwordx2 v[2:3], v[2:3], off
	s_movk_i32 s10, 0x110
	s_waitcnt vmcnt(0)
	v_cvt_pk_f16_f32 v1, v2, v3
	v_pk_mul_f16 v1, v1, v0
	v_mad_u32_u24 v2, v138, s10, v35
	ds_write_b32 v2, v1
.LBB25_466:
	s_or_b64 exec, exec, s[4:5]
	v_add_u32_e32 v104, s9, v137
	v_cmp_le_i32_e32 vcc, s72, v104
	s_and_saveexec_b64 s[4:5], vcc
	s_xor_b64 s[4:5], exec, s[4:5]
; %bb.467:
	s_movk_i32 s10, 0x110
	v_mad_u32_u24 v1, v137, s10, v35
	v_mov_b32_e32 v2, 0
	ds_write_b32 v1, v2
                                        ; implicit-def: $vgpr137
; %bb.468:
	s_andn2_saveexec_b64 s[4:5], s[4:5]
	s_cbranch_execz .LBB25_470
; %bb.469:
	v_mad_u64_u32 v[2:3], s[10:11], v104, s83, v[34:35]
	v_ashrrev_i32_e32 v3, 31, v2
	v_lshl_add_u64 v[2:3], v[2:3], 3, s[0:1]
	global_load_dwordx2 v[2:3], v[2:3], off
	s_movk_i32 s10, 0x110
	s_waitcnt vmcnt(0)
	v_cvt_pk_f16_f32 v1, v2, v3
	v_pk_mul_f16 v1, v1, v0
	v_mad_u32_u24 v2, v137, s10, v35
	ds_write_b32 v2, v1
.LBB25_470:
	s_or_b64 exec, exec, s[4:5]
	v_add_u32_e32 v105, s9, v136
	v_cmp_le_i32_e32 vcc, s72, v105
	s_and_saveexec_b64 s[4:5], vcc
	s_xor_b64 s[4:5], exec, s[4:5]
; %bb.471:
	s_movk_i32 s10, 0x110
	v_mad_u32_u24 v1, v136, s10, v35
	v_mov_b32_e32 v2, 0
	ds_write_b32 v1, v2
                                        ; implicit-def: $vgpr136
; %bb.472:
	s_andn2_saveexec_b64 s[4:5], s[4:5]
	s_cbranch_execz .LBB25_474
; %bb.473:
	v_mad_u64_u32 v[2:3], s[10:11], v105, s83, v[34:35]
	v_ashrrev_i32_e32 v3, 31, v2
	v_lshl_add_u64 v[2:3], v[2:3], 3, s[0:1]
	global_load_dwordx2 v[2:3], v[2:3], off
	s_movk_i32 s10, 0x110
	s_waitcnt vmcnt(0)
	v_cvt_pk_f16_f32 v1, v2, v3
	v_pk_mul_f16 v1, v1, v0
	v_mad_u32_u24 v2, v136, s10, v35
	ds_write_b32 v2, v1
.LBB25_474:
	s_or_b64 exec, exec, s[4:5]
	v_add_u32_e32 v106, s9, v135
	v_cmp_le_i32_e32 vcc, s72, v106
	s_and_saveexec_b64 s[4:5], vcc
	s_xor_b64 s[4:5], exec, s[4:5]
; %bb.475:
	s_movk_i32 s10, 0x110
	v_mad_u32_u24 v1, v135, s10, v35
	v_mov_b32_e32 v2, 0
	ds_write_b32 v1, v2
                                        ; implicit-def: $vgpr135
; %bb.476:
	s_andn2_saveexec_b64 s[4:5], s[4:5]
	s_cbranch_execz .LBB25_478
; %bb.477:
	v_mad_u64_u32 v[2:3], s[10:11], v106, s83, v[34:35]
	v_ashrrev_i32_e32 v3, 31, v2
	v_lshl_add_u64 v[2:3], v[2:3], 3, s[0:1]
	global_load_dwordx2 v[2:3], v[2:3], off
	s_movk_i32 s10, 0x110
	s_waitcnt vmcnt(0)
	v_cvt_pk_f16_f32 v1, v2, v3
	v_pk_mul_f16 v1, v1, v0
	v_mad_u32_u24 v2, v135, s10, v35
	ds_write_b32 v2, v1
.LBB25_478:
	s_or_b64 exec, exec, s[4:5]
	v_add_u32_e32 v108, s9, v134
	v_cmp_le_i32_e32 vcc, s72, v108
	s_and_saveexec_b64 s[4:5], vcc
	s_xor_b64 s[4:5], exec, s[4:5]
; %bb.479:
	s_movk_i32 s10, 0x110
	v_mad_u32_u24 v1, v134, s10, v35
	v_mov_b32_e32 v2, 0
	ds_write_b32 v1, v2
                                        ; implicit-def: $vgpr134
; %bb.480:
	s_andn2_saveexec_b64 s[4:5], s[4:5]
	s_cbranch_execz .LBB25_482
; %bb.481:
	v_mad_u64_u32 v[2:3], s[10:11], v108, s83, v[34:35]
	v_ashrrev_i32_e32 v3, 31, v2
	v_lshl_add_u64 v[2:3], v[2:3], 3, s[0:1]
	global_load_dwordx2 v[2:3], v[2:3], off
	s_movk_i32 s10, 0x110
	s_waitcnt vmcnt(0)
	v_cvt_pk_f16_f32 v1, v2, v3
	v_pk_mul_f16 v1, v1, v0
	v_mad_u32_u24 v2, v134, s10, v35
	ds_write_b32 v2, v1
.LBB25_482:
	s_or_b64 exec, exec, s[4:5]
	v_add_u32_e32 v109, s9, v53
	v_cmp_le_i32_e32 vcc, s72, v109
	s_and_saveexec_b64 s[4:5], vcc
	s_xor_b64 s[4:5], exec, s[4:5]
; %bb.483:
	s_movk_i32 s10, 0x110
	v_mad_u32_u24 v1, v53, s10, v35
	v_mov_b32_e32 v2, 0
	ds_write_b32 v1, v2
                                        ; implicit-def: $vgpr53
; %bb.484:
	s_andn2_saveexec_b64 s[4:5], s[4:5]
	s_cbranch_execz .LBB25_486
; %bb.485:
	v_mad_u64_u32 v[2:3], s[10:11], v109, s83, v[34:35]
	v_ashrrev_i32_e32 v3, 31, v2
	v_lshl_add_u64 v[2:3], v[2:3], 3, s[0:1]
	global_load_dwordx2 v[2:3], v[2:3], off
	s_movk_i32 s10, 0x110
	s_waitcnt vmcnt(0)
	v_cvt_pk_f16_f32 v1, v2, v3
	v_pk_mul_f16 v1, v1, v0
	v_mad_u32_u24 v2, v53, s10, v35
	ds_write_b32 v2, v1
.LBB25_486:
	s_or_b64 exec, exec, s[4:5]
	v_add_u32_e32 v110, s9, v47
	v_cmp_le_i32_e32 vcc, s72, v110
	s_and_saveexec_b64 s[4:5], vcc
	s_xor_b64 s[4:5], exec, s[4:5]
; %bb.487:
	s_movk_i32 s9, 0x110
	v_mad_u32_u24 v0, v47, s9, v35
	v_mov_b32_e32 v1, 0
	ds_write_b32 v0, v1
                                        ; implicit-def: $vgpr0
                                        ; implicit-def: $vgpr47
; %bb.488:
	s_andn2_saveexec_b64 s[4:5], s[4:5]
	s_cbranch_execz .LBB25_490
; %bb.489:
	v_mad_u64_u32 v[2:3], s[10:11], v110, s83, v[34:35]
	v_ashrrev_i32_e32 v3, 31, v2
	v_lshl_add_u64 v[2:3], v[2:3], 3, s[0:1]
	global_load_dwordx2 v[2:3], v[2:3], off
	s_movk_i32 s0, 0x110
	s_waitcnt vmcnt(0)
	v_cvt_pk_f16_f32 v1, v2, v3
	v_pk_mul_f16 v0, v1, v0
	v_mad_u32_u24 v1, v47, s0, v35
	ds_write_b32 v1, v0
.LBB25_490:
	s_or_b64 exec, exec, s[4:5]
	v_readlane_b32 s4, v243, 12
	v_readlane_b32 s5, v243, 13
	s_mul_i32 s0, s4, s8
	s_mul_hi_u32 s1, s4, s6
	s_add_i32 s0, s1, s0
	s_mul_i32 s1, s5, s6
	v_readlane_b32 s12, v243, 18
	s_add_i32 s0, s0, s1
	s_mul_i32 s1, s4, s6
	v_readlane_b32 s15, v243, 21
	v_lshrrev_b32_e32 v1, 3, v34
	s_add_u32 s1, s60, s1
	s_mul_i32 s4, s7, s15
	v_and_b32_e32 v17, 0x1ff0, v132
	s_movk_i32 s34, 0x110
	v_and_b32_e32 v82, 15, v34
	v_and_b32_e32 v1, 0x7e, v1
	s_addc_u32 s0, s61, s0
	s_ashr_i32 s5, s4, 31
	v_mad_u32_u24 v0, v17, s34, 0
	v_mul_u32_u24_e32 v107, 0x110, v82
	v_lshlrev_b32_e32 v83, 2, v1
	s_add_u32 s33, s1, s4
	v_add3_u32 v0, v0, v107, v83
	v_readlane_b32 s13, v243, 19
	s_addc_u32 s38, s0, s5
	s_mul_i32 s0, s12, s8
	s_mul_hi_u32 s1, s12, s6
	s_waitcnt lgkmcnt(0)
	s_barrier
	ds_read2_b64 v[12:15], v0 offset1:4
	ds_read2_b64 v[8:11], v0 offset0:8 offset1:12
	ds_read2_b64 v[4:7], v0 offset0:16 offset1:20
	ds_read2_b64 v[0:3], v0 offset0:24 offset1:28
	s_add_i32 s0, s1, s0
	s_mul_i32 s1, s13, s6
	v_readlane_b32 s4, v243, 16
	s_add_i32 s0, s0, s1
	s_mul_i32 s1, s12, s6
	v_readlane_b32 s5, v243, 17
	s_add_u32 s1, s58, s1
	s_mul_i32 s7, s7, s5
	s_addc_u32 s0, s59, s0
	s_ashr_i32 s4, s7, 31
	v_add_u32_e32 v113, -1, v16
	s_add_u32 s39, s1, s7
	v_cmp_ge_i32_e32 vcc, s42, v113
	s_addc_u32 s40, s0, s4
	s_mov_b32 s41, 0
	s_and_b64 vcc, exec, vcc
	v_or_b32_e32 v101, v17, v82
	v_lshlrev_b32_e32 v38, 1, v34
	v_and_b32_e32 v93, 8, v132
	v_lshrrev_b32_e32 v112, 4, v34
	v_lshlrev_b32_e32 v111, 2, v34
	v_lshrrev_b32_e32 v97, 2, v34
	v_lshlrev_b32_e32 v92, 1, v82
	v_readlane_b32 s14, v243, 20
	s_waitcnt lgkmcnt(0)
	s_barrier
	s_cbranch_vccnz .LBB25_536
; %bb.491:
	v_mov_b32_e32 v41, 0
	v_mov_b32_e32 v39, v41
	v_mul_u32_u24_e32 v16, 0x90, v130
	v_lshl_add_u64 v[42:43], s[2:3], 0, v[38:39]
	v_add3_u32 v39, 0, v16, v38
	v_mul_hi_u32 v16, s90, v102
	v_add_u32_e32 v16, v102, v16
	v_lshrrev_b32_e32 v16, s91, v16
	v_mul_lo_u32 v16, v16, s72
	v_sub_u32_e32 v16, v102, v16
	v_mad_i64_i32 v[44:45], s[4:5], v16, s76, 0
	v_mul_hi_u32 v16, s90, v103
	v_add_u32_e32 v16, v103, v16
	v_lshrrev_b32_e32 v16, s91, v16
	v_mul_lo_u32 v16, v16, s72
	v_sub_u32_e32 v16, v103, v16
	v_mad_i64_i32 v[46:47], s[4:5], v16, s76, 0
	;; [unrolled: 6-line block ×8, first 2 shown]
	v_mbcnt_hi_u32_b32 v16, -1, v133
	v_and_b32_e32 v19, 64, v16
	v_add_u32_e32 v19, 64, v19
	v_xor_b32_e32 v20, 32, v16
	v_cmp_lt_i32_e32 vcc, v20, v19
	s_cmp_lg_u64 s[2:3], 0
	s_movk_i32 s10, 0x90
	v_cndmask_b32_e32 v20, v16, v20, vcc
	v_lshlrev_b32_e32 v121, 2, v20
	v_xor_b32_e32 v20, 16, v16
	v_cmp_lt_i32_e32 vcc, v20, v19
	s_cselect_b64 s[30:31], -1, 0
	v_and_b32_e32 v17, 16, v131
	v_cndmask_b32_e32 v16, v16, v20, vcc
	v_lshlrev_b32_e32 v122, 2, v16
	v_lshl_add_u32 v20, v130, 2, v112
	v_and_b32_e32 v16, 60, v111
	v_mul_u32_u24_e32 v21, 0x110, v20
	v_lshlrev_b32_e32 v22, 2, v16
	v_add3_u32 v123, 0, v21, v22
	v_lshrrev_b32_e32 v22, 2, v34
	v_mul_lo_u32 v60, s88, v20
	s_lshl_b32 s11, s88, 4
	v_and_b32_e32 v23, 0xfc, v22
	v_mad_u32_u24 v25, v101, s10, 0
	v_mul_lo_u32 v68, s74, v20
	s_lshl_b32 s10, s74, 4
	v_mul_u32_u24_e32 v18, 0x110, v17
	v_add_u32_e32 v62, s11, v60
	v_add_u32_e32 v24, v23, v17
	v_add_u16_e32 v17, v23, v17
	v_add_u32_e32 v70, s10, v68
	v_mul_u32_u24_e32 v19, 0x220, v93
	v_cmp_gt_u32_e64 s[26:27], 64, v20
	v_cmp_gt_u32_e64 s[4:5], 48, v20
	;; [unrolled: 1-line block ×3, first 2 shown]
	v_add_u32_e32 v64, s11, v62
	v_cmp_gt_u32_e64 s[8:9], 16, v20
	v_lshrrev_b16_e32 v17, 1, v17
	v_add_u32_e32 v72, s10, v70
	v_or_b32_e32 v20, 3, v22
	s_mov_b64 s[28:29], src_private_base
	v_add_u32_e32 v66, s11, v64
	v_add3_u32 v21, 0, v107, v83
	v_lshl_add_u32 v17, v17, 2, v25
	v_lshl_add_u32 v25, v24, 1, v25
	v_add_u32_e32 v74, s10, v72
	v_add3_u32 v19, 0, v19, v92
	v_mul_u32_u24_e32 v20, 0x110, v20
	v_cmp_lt_u32_e64 s[0:1], 63, v34
	v_add_u32_e32 v114, 0x240, v39
	v_add_u32_e32 v115, 0x480, v39
	;; [unrolled: 1-line block ×7, first 2 shown]
	v_ashrrev_i32_e32 v61, 31, v60
	v_add_u32_e32 v124, 0x1100, v123
	v_ashrrev_i32_e32 v63, 31, v62
	v_add_u32_e32 v125, 0x2200, v123
	;; [unrolled: 2-line block ×4, first 2 shown]
	v_add_u32_e32 v128, 0x44, v25
	v_ashrrev_i32_e32 v69, 31, v68
	v_ashrrev_i32_e32 v71, 31, v70
	;; [unrolled: 1-line block ×4, first 2 shown]
	v_cmp_gt_u32_e64 s[10:11], 64, v24
	v_cmp_gt_u32_e64 s[12:13], 63, v24
	;; [unrolled: 1-line block ×8, first 2 shown]
	v_mad_u32_u24 v129, v23, s34, v19
	v_mov_b32_e32 v76, v36
	v_mov_b32_e32 v77, v36
	s_lshl_b32 s34, s42, 6
	v_mov_b32_e32 v78, 0xfeffffff
	v_lshlrev_b32_e32 v40, 2, v16
	v_add_u32_e32 v134, v21, v18
	s_mov_b32 s28, 0x3f200000
	s_mov_b32 s43, 0x3fb8aa3b
	;; [unrolled: 1-line block ×4, first 2 shown]
	v_mov_b32_e32 v135, 0x3ca908c9
	s_brev_b32 s46, -2
	v_add_u32_e32 v136, 0x4400, v17
	s_mov_b32 s47, 0xc1a00000
	v_add_u32_e32 v137, v19, v20
	s_mov_b32 s48, 0x5040100
	v_mov_b32_e32 v138, 0
	v_mov_b32_e32 v144, v41
	;; [unrolled: 1-line block ×23, first 2 shown]
                                        ; implicit-def: $vgpr16
                                        ; implicit-def: $vgpr16
	;; [unrolled: 1-line block ×3, first 2 shown]
	s_andn2_b64 vcc, exec, s[30:31]
	s_ashr_i32 s35, s34, 31
	s_cbranch_vccnz .LBB25_497
.LBB25_492:
	s_and_saveexec_b64 s[36:37], s[0:1]
	s_xor_b64 s[36:37], exec, s[36:37]
	s_cbranch_execz .LBB25_494
; %bb.493:
	ds_write_b16 v39, v41 offset:17408
	ds_write_b16 v114, v41 offset:17408
	;; [unrolled: 1-line block ×4, first 2 shown]
.LBB25_494:
	s_or_saveexec_b64 s[36:37], s[36:37]
	v_mov_b32_e32 v16, 0
	v_mov_b32_e32 v17, 0
	;; [unrolled: 1-line block ×4, first 2 shown]
	s_xor_b64 exec, exec, s[36:37]
	s_cbranch_execz .LBB25_496
; %bb.495:
	v_lshl_add_u64 v[16:17], s[34:35], 1, v[42:43]
	v_lshl_add_u64 v[18:19], v[44:45], 1, v[16:17]
	;; [unrolled: 1-line block ×9, first 2 shown]
	global_load_ushort v37, v[18:19], off
	s_nop 0
	global_load_ushort v20, v[20:21], off
	s_nop 0
	;; [unrolled: 2-line block ×3, first 2 shown]
	global_load_ushort v22, v[24:25], off
	global_load_ushort v16, v[26:27], off
	;; [unrolled: 1-line block ×5, first 2 shown]
	s_waitcnt vmcnt(7)
	ds_write_b16 v39, v37 offset:17408
	s_waitcnt vmcnt(6)
	ds_write_b16 v114, v20 offset:17408
	;; [unrolled: 2-line block ×4, first 2 shown]
.LBB25_496:
	s_or_b64 exec, exec, s[36:37]
	s_waitcnt vmcnt(3)
	ds_write_b16 v117, v16 offset:17408
	s_waitcnt vmcnt(2)
	ds_write_b16 v118, v17 offset:17408
	;; [unrolled: 2-line block ×4, first 2 shown]
.LBB25_497:                             ; =>This Inner Loop Header: Depth=1
	s_mul_hi_i32 s37, s34, s88
	s_mul_i32 s36, s34, s88
	s_lshl_b64 s[36:37], s[36:37], 2
	s_add_u32 s36, s39, s36
	s_addc_u32 s37, s40, s37
	v_lshl_add_u64 v[16:17], v[60:61], 2, s[36:37]
	v_lshl_add_u64 v[16:17], v[16:17], 0, v[40:41]
	v_mov_b32_e32 v22, s29
	v_cndmask_b32_e64 v17, v22, v17, s[26:27]
	v_cndmask_b32_e64 v16, v138, v16, s[26:27]
	scratch_store_dwordx4 off, v[144:147], off
	flat_load_dwordx4 v[16:19], v[16:17]
	v_lshl_add_u64 v[20:21], v[62:63], 2, s[36:37]
	v_lshl_add_u64 v[20:21], v[20:21], 0, v[40:41]
	v_cndmask_b32_e64 v21, v22, v21, s[4:5]
	v_cndmask_b32_e64 v20, v138, v20, s[4:5]
	v_add_u32_e32 v37, 0x2000, v134
	s_waitcnt vmcnt(0) lgkmcnt(0)
	ds_write_b128 v123, v[16:19]
	flat_load_dwordx4 v[16:19], v[20:21]
	v_lshl_add_u64 v[20:21], v[64:65], 2, s[36:37]
	v_lshl_add_u64 v[20:21], v[20:21], 0, v[40:41]
	v_cndmask_b32_e64 v21, v22, v21, s[6:7]
	v_cndmask_b32_e64 v20, v138, v20, s[6:7]
	s_waitcnt vmcnt(0) lgkmcnt(0)
	ds_write_b128 v124, v[16:19]
	flat_load_dwordx4 v[16:19], v[20:21]
	v_lshl_add_u64 v[20:21], v[66:67], 2, s[36:37]
	v_lshl_add_u64 v[20:21], v[20:21], 0, v[40:41]
	v_cndmask_b32_e64 v21, v22, v21, s[8:9]
	v_cndmask_b32_e64 v20, v138, v20, s[8:9]
	s_waitcnt vmcnt(0) lgkmcnt(0)
	ds_write_b128 v125, v[16:19]
	flat_load_dwordx4 v[16:19], v[20:21]
	s_waitcnt vmcnt(0) lgkmcnt(0)
	ds_write_b128 v126, v[16:19]
	s_waitcnt lgkmcnt(0)
	s_barrier
	ds_read2_b64 v[16:19], v134 offset1:4
	ds_read2_b64 v[24:27], v37 offset0:64 offset1:68
	s_waitcnt lgkmcnt(1)
	v_mfma_f32_16x16x16_f16 v[20:23], v[16:17], v[12:13], 0
	s_waitcnt lgkmcnt(0)
	v_mfma_f32_16x16x16_f16 v[28:31], v[24:25], v[12:13], 0
	v_mfma_f32_16x16x16_f16 v[16:19], v[18:19], v[14:15], v[20:23]
	;; [unrolled: 1-line block ×3, first 2 shown]
	ds_read2_b64 v[24:27], v134 offset0:8 offset1:12
	s_nop 4
	ds_read2_b64 v[28:31], v37 offset0:72 offset1:76
	s_waitcnt lgkmcnt(1)
	v_mfma_f32_16x16x16_f16 v[16:19], v[24:25], v[8:9], v[16:19]
	s_waitcnt lgkmcnt(0)
	v_mfma_f32_16x16x16_f16 v[20:23], v[28:29], v[8:9], v[20:23]
	v_mfma_f32_16x16x16_f16 v[16:19], v[26:27], v[10:11], v[16:19]
	ds_read2_b64 v[24:27], v134 offset0:16 offset1:20
	v_mfma_f32_16x16x16_f16 v[20:23], v[30:31], v[10:11], v[20:23]
	ds_read2_b64 v[28:31], v37 offset0:80 offset1:84
	s_waitcnt lgkmcnt(1)
	v_mfma_f32_16x16x16_f16 v[16:19], v[24:25], v[4:5], v[16:19]
	s_waitcnt lgkmcnt(0)
	v_mfma_f32_16x16x16_f16 v[20:23], v[28:29], v[4:5], v[20:23]
	v_mfma_f32_16x16x16_f16 v[16:19], v[26:27], v[6:7], v[16:19]
	ds_read2_b64 v[24:27], v134 offset0:24 offset1:28
	v_mfma_f32_16x16x16_f16 v[20:23], v[30:31], v[6:7], v[20:23]
	ds_read2_b64 v[28:31], v37 offset0:88 offset1:92
	s_waitcnt lgkmcnt(0)
	s_barrier
	v_mfma_f32_16x16x16_f16 v[16:19], v[24:25], v[0:1], v[16:19]
	v_mfma_f32_16x16x16_f16 v[148:151], v[28:29], v[0:1], v[20:23]
	;; [unrolled: 1-line block ×3, first 2 shown]
                                        ; implicit-def: $vgpr27
	v_mfma_f32_16x16x16_f16 v[16:19], v[30:31], v[2:3], v[148:151]
	s_nop 6
	v_cmp_nlt_f32_e64 s[36:37], |v20|, s28
	s_and_saveexec_b64 s[50:51], s[36:37]
	s_xor_b64 s[36:37], exec, s[50:51]
	s_cbranch_execz .LBB25_499
; %bb.498:                              ;   in Loop: Header=BB25_497 Depth=1
	v_add_f32_e64 v24, |v20|, |v20|
	v_mul_f32_e32 v25, 0x3fb8aa3b, v24
	v_rndne_f32_e32 v26, v25
	v_sub_f32_e32 v27, v25, v26
	v_fma_f32 v25, v24, s43, -v25
	v_fmac_f32_e32 v25, 0x32a5705f, v24
	v_add_f32_e32 v25, v27, v25
	v_cvt_i32_f32_e32 v26, v26
	v_exp_f32_e32 v25, v25
	v_cmp_ngt_f32_e32 vcc, s44, v24
	v_ldexp_f32 v25, v25, v26
	s_nop 0
	v_cndmask_b32_e32 v25, 0, v25, vcc
	v_cmp_nlt_f32_e32 vcc, s45, v24
	s_nop 1
	v_cndmask_b32_e32 v24, v139, v25, vcc
	v_add_f32_e32 v24, 1.0, v24
	v_rcp_f32_e32 v24, v24
	s_nop 0
	v_fma_f32 v27, v24, -2.0, 1.0
.LBB25_499:                             ;   in Loop: Header=BB25_497 Depth=1
	s_andn2_saveexec_b64 s[36:37], s[36:37]
; %bb.500:                              ;   in Loop: Header=BB25_497 Depth=1
	v_mul_f32_e32 v24, v20, v20
	v_fmamk_f32 v25, v24, 0xbbbac73d, v135
	v_fmaak_f32 v25, v24, v25, 0xbd5c1c4e
	v_fmaak_f32 v25, v24, v25, 0x3e088382
	;; [unrolled: 1-line block ×3, first 2 shown]
	v_mul_f32_e64 v25, |v20|, v25
	v_fma_f32 v27, v24, v25, |v20|
; %bb.501:                              ;   in Loop: Header=BB25_497 Depth=1
	s_or_b64 exec, exec, s[36:37]
	v_cmp_nlt_f32_e64 s[36:37], |v21|, s28
                                        ; implicit-def: $vgpr29
	s_and_saveexec_b64 s[50:51], s[36:37]
	s_xor_b64 s[36:37], exec, s[50:51]
	s_cbranch_execz .LBB25_503
; %bb.502:                              ;   in Loop: Header=BB25_497 Depth=1
	v_add_f32_e64 v24, |v21|, |v21|
	v_mul_f32_e32 v25, 0x3fb8aa3b, v24
	v_rndne_f32_e32 v26, v25
	v_sub_f32_e32 v28, v25, v26
	v_fma_f32 v25, v24, s43, -v25
	v_fmac_f32_e32 v25, 0x32a5705f, v24
	v_add_f32_e32 v25, v28, v25
	v_cvt_i32_f32_e32 v26, v26
	v_exp_f32_e32 v25, v25
	v_cmp_ngt_f32_e32 vcc, s44, v24
	v_ldexp_f32 v25, v25, v26
	s_nop 0
	v_cndmask_b32_e32 v25, 0, v25, vcc
	v_cmp_nlt_f32_e32 vcc, s45, v24
	s_nop 1
	v_cndmask_b32_e32 v24, v139, v25, vcc
	v_add_f32_e32 v24, 1.0, v24
	v_rcp_f32_e32 v24, v24
	s_nop 0
	v_fma_f32 v29, v24, -2.0, 1.0
.LBB25_503:                             ;   in Loop: Header=BB25_497 Depth=1
	s_andn2_saveexec_b64 s[36:37], s[36:37]
; %bb.504:                              ;   in Loop: Header=BB25_497 Depth=1
	v_mul_f32_e32 v24, v21, v21
	v_fmamk_f32 v25, v24, 0xbbbac73d, v135
	v_fmaak_f32 v25, v24, v25, 0xbd5c1c4e
	v_fmaak_f32 v25, v24, v25, 0x3e088382
	;; [unrolled: 1-line block ×3, first 2 shown]
	v_mul_f32_e64 v25, |v21|, v25
	v_fma_f32 v29, v24, v25, |v21|
; %bb.505:                              ;   in Loop: Header=BB25_497 Depth=1
	s_or_b64 exec, exec, s[36:37]
	v_cmp_nlt_f32_e64 s[36:37], |v22|, s28
                                        ; implicit-def: $vgpr30
	s_and_saveexec_b64 s[50:51], s[36:37]
	s_xor_b64 s[36:37], exec, s[50:51]
	s_cbranch_execz .LBB25_507
; %bb.506:                              ;   in Loop: Header=BB25_497 Depth=1
	v_add_f32_e64 v24, |v22|, |v22|
	v_mul_f32_e32 v25, 0x3fb8aa3b, v24
	v_rndne_f32_e32 v26, v25
	v_sub_f32_e32 v28, v25, v26
	v_fma_f32 v25, v24, s43, -v25
	v_fmac_f32_e32 v25, 0x32a5705f, v24
	v_add_f32_e32 v25, v28, v25
	v_cvt_i32_f32_e32 v26, v26
	v_exp_f32_e32 v25, v25
	v_cmp_ngt_f32_e32 vcc, s44, v24
	v_ldexp_f32 v25, v25, v26
	s_nop 0
	v_cndmask_b32_e32 v25, 0, v25, vcc
	v_cmp_nlt_f32_e32 vcc, s45, v24
	s_nop 1
	v_cndmask_b32_e32 v24, v139, v25, vcc
	v_add_f32_e32 v24, 1.0, v24
	v_rcp_f32_e32 v24, v24
	s_nop 0
	v_fma_f32 v30, v24, -2.0, 1.0
.LBB25_507:                             ;   in Loop: Header=BB25_497 Depth=1
	s_andn2_saveexec_b64 s[36:37], s[36:37]
; %bb.508:                              ;   in Loop: Header=BB25_497 Depth=1
	v_mul_f32_e32 v24, v22, v22
	v_fmamk_f32 v25, v24, 0xbbbac73d, v135
	v_fmaak_f32 v25, v24, v25, 0xbd5c1c4e
	v_fmaak_f32 v25, v24, v25, 0x3e088382
	;; [unrolled: 1-line block ×3, first 2 shown]
	v_mul_f32_e64 v25, |v22|, v25
	v_fma_f32 v30, v24, v25, |v22|
; %bb.509:                              ;   in Loop: Header=BB25_497 Depth=1
	s_or_b64 exec, exec, s[36:37]
	v_cmp_nlt_f32_e64 s[36:37], |v23|, s28
                                        ; implicit-def: $vgpr31
	s_and_saveexec_b64 s[50:51], s[36:37]
	s_xor_b64 s[36:37], exec, s[50:51]
	s_cbranch_execz .LBB25_511
; %bb.510:                              ;   in Loop: Header=BB25_497 Depth=1
	v_add_f32_e64 v24, |v23|, |v23|
	v_mul_f32_e32 v25, 0x3fb8aa3b, v24
	v_rndne_f32_e32 v26, v25
	v_sub_f32_e32 v28, v25, v26
	v_fma_f32 v25, v24, s43, -v25
	v_fmac_f32_e32 v25, 0x32a5705f, v24
	v_add_f32_e32 v25, v28, v25
	v_cvt_i32_f32_e32 v26, v26
	v_exp_f32_e32 v25, v25
	v_cmp_ngt_f32_e32 vcc, s44, v24
	v_ldexp_f32 v25, v25, v26
	s_nop 0
	v_cndmask_b32_e32 v25, 0, v25, vcc
	v_cmp_nlt_f32_e32 vcc, s45, v24
	s_nop 1
	v_cndmask_b32_e32 v24, v139, v25, vcc
	v_add_f32_e32 v24, 1.0, v24
	v_rcp_f32_e32 v24, v24
	s_nop 0
	v_fma_f32 v31, v24, -2.0, 1.0
.LBB25_511:                             ;   in Loop: Header=BB25_497 Depth=1
	s_andn2_saveexec_b64 s[36:37], s[36:37]
; %bb.512:                              ;   in Loop: Header=BB25_497 Depth=1
	v_mul_f32_e32 v24, v23, v23
	v_fmamk_f32 v25, v24, 0xbbbac73d, v135
	v_fmaak_f32 v25, v24, v25, 0xbd5c1c4e
	v_fmaak_f32 v25, v24, v25, 0x3e088382
	;; [unrolled: 1-line block ×3, first 2 shown]
	v_mul_f32_e64 v25, |v23|, v25
	v_fma_f32 v31, v24, v25, |v23|
; %bb.513:                              ;   in Loop: Header=BB25_497 Depth=1
	s_or_b64 exec, exec, s[36:37]
	v_cmp_nlt_f32_e64 s[36:37], |v16|, s28
                                        ; implicit-def: $vgpr24
	s_and_saveexec_b64 s[50:51], s[36:37]
	s_xor_b64 s[36:37], exec, s[50:51]
	s_cbranch_execz .LBB25_515
; %bb.514:                              ;   in Loop: Header=BB25_497 Depth=1
	v_add_f32_e64 v24, |v16|, |v16|
	v_mul_f32_e32 v25, 0x3fb8aa3b, v24
	v_rndne_f32_e32 v26, v25
	v_sub_f32_e32 v28, v25, v26
	v_fma_f32 v25, v24, s43, -v25
	v_fmac_f32_e32 v25, 0x32a5705f, v24
	v_add_f32_e32 v25, v28, v25
	v_cvt_i32_f32_e32 v26, v26
	v_exp_f32_e32 v25, v25
	v_cmp_ngt_f32_e32 vcc, s44, v24
	v_ldexp_f32 v25, v25, v26
	s_nop 0
	v_cndmask_b32_e32 v25, 0, v25, vcc
	v_cmp_nlt_f32_e32 vcc, s45, v24
	s_nop 1
	v_cndmask_b32_e32 v24, v139, v25, vcc
	v_add_f32_e32 v24, 1.0, v24
	v_rcp_f32_e32 v24, v24
	s_nop 0
	v_fma_f32 v24, v24, -2.0, 1.0
.LBB25_515:                             ;   in Loop: Header=BB25_497 Depth=1
	s_andn2_saveexec_b64 s[36:37], s[36:37]
; %bb.516:                              ;   in Loop: Header=BB25_497 Depth=1
	v_mul_f32_e32 v24, v16, v16
	v_fmamk_f32 v25, v24, 0xbbbac73d, v135
	v_fmaak_f32 v25, v24, v25, 0xbd5c1c4e
	v_fmaak_f32 v25, v24, v25, 0x3e088382
	;; [unrolled: 1-line block ×3, first 2 shown]
	v_mul_f32_e64 v25, |v16|, v25
	v_fma_f32 v24, v24, v25, |v16|
; %bb.517:                              ;   in Loop: Header=BB25_497 Depth=1
	s_or_b64 exec, exec, s[36:37]
	v_cmp_nlt_f32_e64 s[36:37], |v17|, s28
                                        ; implicit-def: $vgpr25
	s_and_saveexec_b64 s[50:51], s[36:37]
	s_xor_b64 s[36:37], exec, s[50:51]
	s_cbranch_execz .LBB25_519
; %bb.518:                              ;   in Loop: Header=BB25_497 Depth=1
	v_add_f32_e64 v25, |v17|, |v17|
	v_mul_f32_e32 v26, 0x3fb8aa3b, v25
	v_rndne_f32_e32 v28, v26
	v_sub_f32_e32 v37, v26, v28
	v_fma_f32 v26, v25, s43, -v26
	v_fmac_f32_e32 v26, 0x32a5705f, v25
	v_add_f32_e32 v26, v37, v26
	v_cvt_i32_f32_e32 v28, v28
	v_exp_f32_e32 v26, v26
	v_cmp_ngt_f32_e32 vcc, s44, v25
	v_ldexp_f32 v26, v26, v28
	s_nop 0
	v_cndmask_b32_e32 v26, 0, v26, vcc
	v_cmp_nlt_f32_e32 vcc, s45, v25
	s_nop 1
	v_cndmask_b32_e32 v25, v139, v26, vcc
	v_add_f32_e32 v25, 1.0, v25
	v_rcp_f32_e32 v25, v25
	s_nop 0
	v_fma_f32 v25, v25, -2.0, 1.0
.LBB25_519:                             ;   in Loop: Header=BB25_497 Depth=1
	s_andn2_saveexec_b64 s[36:37], s[36:37]
; %bb.520:                              ;   in Loop: Header=BB25_497 Depth=1
	v_mul_f32_e32 v25, v17, v17
	v_fmamk_f32 v26, v25, 0xbbbac73d, v135
	v_fmaak_f32 v26, v25, v26, 0xbd5c1c4e
	v_fmaak_f32 v26, v25, v26, 0x3e088382
	;; [unrolled: 1-line block ×3, first 2 shown]
	v_mul_f32_e64 v26, |v17|, v26
	v_fma_f32 v25, v25, v26, |v17|
; %bb.521:                              ;   in Loop: Header=BB25_497 Depth=1
	s_or_b64 exec, exec, s[36:37]
	v_cmp_nlt_f32_e64 s[36:37], |v18|, s28
                                        ; implicit-def: $vgpr26
	s_and_saveexec_b64 s[50:51], s[36:37]
	s_xor_b64 s[36:37], exec, s[50:51]
	s_cbranch_execz .LBB25_523
; %bb.522:                              ;   in Loop: Header=BB25_497 Depth=1
	v_add_f32_e64 v26, |v18|, |v18|
	v_mul_f32_e32 v28, 0x3fb8aa3b, v26
	v_rndne_f32_e32 v37, v28
	v_sub_f32_e32 v79, v28, v37
	v_fma_f32 v28, v26, s43, -v28
	v_fmac_f32_e32 v28, 0x32a5705f, v26
	v_add_f32_e32 v28, v79, v28
	v_cvt_i32_f32_e32 v37, v37
	v_exp_f32_e32 v28, v28
	v_cmp_ngt_f32_e32 vcc, s44, v26
	v_ldexp_f32 v28, v28, v37
	s_nop 0
	v_cndmask_b32_e32 v28, 0, v28, vcc
	v_cmp_nlt_f32_e32 vcc, s45, v26
	s_nop 1
	v_cndmask_b32_e32 v26, v139, v28, vcc
	v_add_f32_e32 v26, 1.0, v26
	v_rcp_f32_e32 v26, v26
	s_nop 0
	v_fma_f32 v26, v26, -2.0, 1.0
.LBB25_523:                             ;   in Loop: Header=BB25_497 Depth=1
	s_andn2_saveexec_b64 s[36:37], s[36:37]
; %bb.524:                              ;   in Loop: Header=BB25_497 Depth=1
	v_mul_f32_e32 v26, v18, v18
	v_fmamk_f32 v28, v26, 0xbbbac73d, v135
	v_fmaak_f32 v28, v26, v28, 0xbd5c1c4e
	v_fmaak_f32 v28, v26, v28, 0x3e088382
	;; [unrolled: 1-line block ×3, first 2 shown]
	v_mul_f32_e64 v28, |v18|, v28
	v_fma_f32 v26, v26, v28, |v18|
; %bb.525:                              ;   in Loop: Header=BB25_497 Depth=1
	s_or_b64 exec, exec, s[36:37]
	v_cmp_nlt_f32_e64 s[36:37], |v19|, s28
                                        ; implicit-def: $vgpr37
	s_and_saveexec_b64 s[50:51], s[36:37]
	s_xor_b64 s[36:37], exec, s[50:51]
	s_cbranch_execz .LBB25_527
; %bb.526:                              ;   in Loop: Header=BB25_497 Depth=1
	v_add_f32_e64 v28, |v19|, |v19|
	v_mul_f32_e32 v37, 0x3fb8aa3b, v28
	v_rndne_f32_e32 v79, v37
	v_sub_f32_e32 v80, v37, v79
	v_fma_f32 v37, v28, s43, -v37
	v_fmac_f32_e32 v37, 0x32a5705f, v28
	v_add_f32_e32 v37, v80, v37
	v_cvt_i32_f32_e32 v79, v79
	v_exp_f32_e32 v37, v37
	v_cmp_ngt_f32_e32 vcc, s44, v28
	v_ldexp_f32 v37, v37, v79
	s_nop 0
	v_cndmask_b32_e32 v37, 0, v37, vcc
	v_cmp_nlt_f32_e32 vcc, s45, v28
	s_nop 1
	v_cndmask_b32_e32 v28, v139, v37, vcc
	v_add_f32_e32 v28, 1.0, v28
	v_rcp_f32_e32 v28, v28
	s_nop 0
	v_fma_f32 v37, v28, -2.0, 1.0
.LBB25_527:                             ;   in Loop: Header=BB25_497 Depth=1
	s_andn2_saveexec_b64 s[36:37], s[36:37]
; %bb.528:                              ;   in Loop: Header=BB25_497 Depth=1
	v_mul_f32_e32 v28, v19, v19
	v_fmamk_f32 v37, v28, 0xbbbac73d, v135
	v_fmaak_f32 v37, v28, v37, 0xbd5c1c4e
	v_fmaak_f32 v37, v28, v37, 0x3e088382
	v_fmaak_f32 v37, v28, v37, 0xbeaaaa99
	v_mul_f32_e64 v37, |v19|, v37
	v_fma_f32 v37, v28, v37, |v19|
; %bb.529:                              ;   in Loop: Header=BB25_497 Depth=1
	s_or_b64 exec, exec, s[36:37]
	v_bfi_b32 v16, s46, v24, v16
	v_mul_f32_e32 v24, s85, v16
	v_bfi_b32 v16, s46, v25, v17
	v_mul_f32_e32 v25, s85, v16
	;; [unrolled: 2-line block ×8, first 2 shown]
	s_and_b64 vcc, exec, s[30:31]
	s_cbranch_vccz .LBB25_534
; %bb.530:                              ;   in Loop: Header=BB25_497 Depth=1
	ds_read2_b32 v[16:17], v136 offset1:1
	ds_read_b32 v20, v127 offset:17408
	ds_read_b32 v21, v128 offset:17408
	v_mov_b32_e32 v37, v36
	s_waitcnt lgkmcnt(2)
	v_cvt_f32_f16_e32 v18, v16
	v_cvt_f32_f16_sdwa v19, v16 dst_sel:DWORD dst_unused:UNUSED_PAD src0_sel:WORD_1
	v_cvt_f32_f16_e32 v16, v17
	v_cvt_f32_f16_sdwa v17, v17 dst_sel:DWORD dst_unused:UNUSED_PAD src0_sel:WORD_1
	s_waitcnt lgkmcnt(1)
	v_cvt_f32_f16_sdwa v81, v20 dst_sel:DWORD dst_unused:UNUSED_PAD src0_sel:WORD_1
	s_waitcnt lgkmcnt(0)
	v_cvt_f32_f16_sdwa v143, v21 dst_sel:DWORD dst_unused:UNUSED_PAD src0_sel:WORD_1
	v_cvt_f32_f16_e32 v142, v21
	v_cvt_f32_f16_e32 v80, v20
	v_pk_fma_f32 v[22:23], v[36:37], v[16:17], v[30:31]
	v_pk_fma_f32 v[20:21], v[76:77], v[18:19], v[28:29]
	;; [unrolled: 1-line block ×4, first 2 shown]
	s_cbranch_execnz .LBB25_532
.LBB25_531:                             ;   in Loop: Header=BB25_497 Depth=1
	v_mov_b64_e32 v[16:17], v[24:25]
	v_mov_b64_e32 v[20:21], v[28:29]
	;; [unrolled: 1-line block ×4, first 2 shown]
.LBB25_532:                             ;   in Loop: Header=BB25_497 Depth=1
	s_mul_hi_i32 s37, s34, s74
	s_mul_i32 s36, s34, s74
	s_lshl_b64 s[36:37], s[36:37], 2
	s_add_u32 s36, s33, s36
	s_addc_u32 s37, s38, s37
	v_lshl_add_u64 v[24:25], v[68:69], 2, s[36:37]
	v_lshl_add_u64 v[24:25], v[24:25], 0, v[40:41]
	v_mov_b32_e32 v37, s29
	v_cndmask_b32_e64 v25, v37, v25, s[26:27]
	v_cndmask_b32_e64 v24, v138, v24, s[26:27]
	scratch_store_dwordx4 off, v[144:147], off
	flat_load_dwordx4 v[24:27], v[24:25]
	v_lshl_add_u64 v[28:29], v[70:71], 2, s[36:37]
	v_lshl_add_u64 v[28:29], v[28:29], 0, v[40:41]
	v_cndmask_b32_e64 v29, v37, v29, s[4:5]
	v_cndmask_b32_e64 v28, v138, v28, s[4:5]
	v_add_f32_e32 v141, 0x40051340, v20
	v_max_f32_e32 v142, v78, v78
	v_max_f32_e32 v141, v142, v141
	v_cndmask_b32_e64 v141, v78, v141, s[10:11]
	v_add_f32_e32 v143, 0x40051340, v21
	v_max_f32_e32 v142, v141, v141
	v_max_f32_e32 v154, v142, v143
	;; [unrolled: 4-line block ×8, first 2 shown]
	v_cndmask_b32_e64 v141, v141, v148, s[24:25]
	ds_bpermute_b32 v150, v121, v141
	v_max_f32_e32 v141, v141, v141
	v_lshl_add_u64 v[142:143], v[72:73], 2, s[36:37]
	v_lshl_add_u64 v[148:149], v[74:75], 2, s[36:37]
	;; [unrolled: 1-line block ×3, first 2 shown]
	s_waitcnt lgkmcnt(0)
	v_max_f32_e32 v150, v150, v150
	v_max_f32_e32 v141, v141, v150
	ds_bpermute_b32 v150, v122, v141
	v_lshl_add_u64 v[148:149], v[148:149], 0, v[40:41]
	v_cndmask_b32_e64 v143, v37, v143, s[6:7]
	v_cndmask_b32_e64 v149, v37, v149, s[8:9]
	;; [unrolled: 1-line block ×3, first 2 shown]
	s_waitcnt lgkmcnt(0)
	v_max_f32_e32 v37, v150, v150
	v_max_f32_e32 v37, v141, v37
	v_sub_f32_e32 v141, v20, v37
	v_sub_f32_e32 v152, v21, v37
	v_sub_f32_e32 v153, v22, v37
	v_sub_f32_e32 v154, v23, v37
	v_sub_f32_e32 v18, v18, v37
	v_sub_f32_e32 v19, v19, v37
	v_mul_f32_e32 v150, 0x3fb8aa3b, v18
	v_mul_f32_e32 v151, 0x3fb8aa3b, v19
	v_fma_f32 v168, v18, s43, -v150
	v_rndne_f32_e32 v169, v150
	v_fma_f32 v170, v19, s43, -v151
	v_rndne_f32_e32 v171, v151
	v_fmac_f32_e32 v168, 0x32a5705f, v18
	v_sub_f32_e32 v150, v150, v169
	v_fmac_f32_e32 v170, 0x32a5705f, v19
	v_sub_f32_e32 v151, v151, v171
	v_cndmask_b32_e64 v148, v138, v148, s[8:9]
	v_add_f32_e32 v150, v150, v168
	v_add_f32_e32 v151, v151, v170
	v_sub_f32_e32 v16, v16, v37
	v_sub_f32_e32 v17, v17, v37
	v_cmp_ngt_f32_e32 vcc, s44, v141
	v_cvt_i32_f32_e32 v169, v169
	v_cvt_i32_f32_e32 v171, v171
	v_mov_b32_e32 v31, s41
	v_mov_b32_e32 v30, s41
	;; [unrolled: 1-line block ×5, first 2 shown]
	s_waitcnt vmcnt(0)
	ds_write_b128 v123, v[24:27]
	flat_load_dwordx4 v[24:27], v[28:29]
	v_mov_b32_e32 v29, s41
	v_mov_b32_e32 v28, s41
	s_add_i32 s42, s42, 1
	s_add_i32 s34, s34, 64
	s_waitcnt vmcnt(0) lgkmcnt(0)
	ds_write_b128 v124, v[24:27]
	flat_load_dwordx4 v[20:23], v[142:143]
	v_mul_f32_e32 v25, 0x3fb8aa3b, v141
	v_mul_f32_e32 v26, 0x3fb8aa3b, v152
	v_fma_f32 v156, v141, s43, -v25
	v_rndne_f32_e32 v157, v25
	v_fma_f32 v158, v152, s43, -v26
	v_rndne_f32_e32 v159, v26
	v_fmac_f32_e32 v156, 0x32a5705f, v141
	v_sub_f32_e32 v25, v25, v157
	v_fmac_f32_e32 v158, 0x32a5705f, v152
	v_sub_f32_e32 v26, v26, v159
	v_add_f32_e32 v25, v25, v156
	v_add_f32_e32 v26, v26, v158
	v_exp_f32_e32 v156, v150
	v_exp_f32_e32 v158, v151
	v_mul_f32_e32 v27, 0x3fb8aa3b, v153
	v_sub_f32_e32 v24, v78, v37
	v_mul_f32_e32 v78, 0x3fb8aa3b, v154
	v_fma_f32 v160, v153, s43, -v27
	v_rndne_f32_e32 v161, v27
	v_mul_f32_e32 v142, 0x3fb8aa3b, v16
	v_fma_f32 v162, v154, s43, -v78
	v_rndne_f32_e32 v163, v78
	v_cvt_i32_f32_e32 v157, v157
	v_fmac_f32_e32 v160, 0x32a5705f, v153
	v_sub_f32_e32 v27, v27, v161
	v_exp_f32_e32 v25, v25
	v_mul_f32_e32 v143, 0x3fb8aa3b, v17
	v_fma_f32 v164, v16, s43, -v142
	v_rndne_f32_e32 v165, v142
	v_cvt_i32_f32_e32 v159, v159
	v_fmac_f32_e32 v162, 0x32a5705f, v154
	v_sub_f32_e32 v78, v78, v163
	v_add_f32_e32 v27, v27, v160
	v_exp_f32_e32 v26, v26
	v_fma_f32 v166, v17, s43, -v143
	v_rndne_f32_e32 v167, v143
	v_cvt_i32_f32_e32 v161, v161
	v_fmac_f32_e32 v164, 0x32a5705f, v16
	v_sub_f32_e32 v142, v142, v165
	v_add_f32_e32 v78, v78, v162
	v_exp_f32_e32 v27, v27
	v_cvt_i32_f32_e32 v163, v163
	v_fmac_f32_e32 v166, 0x32a5705f, v17
	v_sub_f32_e32 v143, v143, v167
	v_add_f32_e32 v142, v142, v164
	v_exp_f32_e32 v78, v78
	v_mul_f32_e32 v155, 0x3fb8aa3b, v24
	v_cvt_i32_f32_e32 v165, v165
	v_add_f32_e32 v143, v143, v166
	v_exp_f32_e32 v142, v142
	v_ldexp_f32 v25, v25, v157
	v_fma_f32 v172, v24, s43, -v155
	v_rndne_f32_e32 v173, v155
	v_cvt_i32_f32_e32 v167, v167
	v_exp_f32_e32 v143, v143
	v_ldexp_f32 v26, v26, v159
	v_cndmask_b32_e32 v25, 0, v25, vcc
	v_cmp_ngt_f32_e32 vcc, s44, v152
	v_fmac_f32_e32 v172, 0x32a5705f, v24
	v_sub_f32_e32 v155, v155, v173
	v_ldexp_f32 v27, v27, v161
	v_cndmask_b32_e32 v26, 0, v26, vcc
	v_cmp_ngt_f32_e32 vcc, s44, v153
	v_add_f32_e32 v155, v155, v172
	v_ldexp_f32 v78, v78, v163
	v_cndmask_b32_e32 v27, 0, v27, vcc
	v_cmp_ngt_f32_e32 vcc, s44, v154
	v_cvt_i32_f32_e32 v173, v173
	v_exp_f32_e32 v155, v155
	v_cndmask_b32_e32 v78, 0, v78, vcc
	v_cmp_ngt_f32_e32 vcc, s44, v16
	s_waitcnt vmcnt(0) lgkmcnt(0)
	ds_write_b128 v125, v[20:23]
	flat_load_dwordx4 v[148:151], v[148:149]
	v_ldexp_f32 v20, v142, v165
	v_ldexp_f32 v21, v143, v167
	v_cndmask_b32_e32 v20, 0, v20, vcc
	v_cmp_ngt_f32_e32 vcc, s44, v17
	v_ldexp_f32 v22, v156, v169
	v_ldexp_f32 v23, v158, v171
	v_cndmask_b32_e32 v21, 0, v21, vcc
	v_cmp_ngt_f32_e32 vcc, s44, v18
	v_ldexp_f32 v142, v155, v173
	s_waitcnt vmcnt(0) lgkmcnt(0)
	ds_write_b128 v126, v[148:151]
	v_cndmask_b32_e32 v22, 0, v22, vcc
	v_cmp_ngt_f32_e32 vcc, s44, v19
	s_waitcnt lgkmcnt(0)
	s_barrier
	v_cndmask_b32_e32 v23, 0, v23, vcc
	v_cmp_ngt_f32_e32 vcc, s44, v24
	s_nop 1
	v_cndmask_b32_e32 v155, 0, v142, vcc
	v_cmp_nlt_f32_e32 vcc, s45, v141
	s_nop 1
	v_cndmask_b32_e32 v25, v139, v25, vcc
	v_cmp_nlt_f32_e32 vcc, s45, v152
	;; [unrolled: 3-line block ×5, first 2 shown]
	v_cndmask_b32_e64 v16, 0, v25, s[10:11]
	v_cndmask_b32_e64 v25, v31, v154, s[16:17]
	v_cndmask_b32_e32 v156, v139, v20, vcc
	v_cmp_nlt_f32_e32 vcc, s45, v17
	v_cndmask_b32_e64 v20, v30, v156, s[18:19]
	s_nop 0
	v_cndmask_b32_e32 v143, v139, v21, vcc
	v_cmp_nlt_f32_e32 vcc, s45, v18
	v_cndmask_b32_e64 v18, v28, v153, s[14:15]
	v_cndmask_b32_e64 v21, v79, v143, s[20:21]
	v_cndmask_b32_e32 v142, v139, v22, vcc
	v_cmp_nlt_f32_e32 vcc, s45, v19
	v_cndmask_b32_e64 v19, v29, v152, s[12:13]
	v_cndmask_b32_e64 v22, v80, v142, s[22:23]
	v_cndmask_b32_e32 v17, v139, v23, vcc
	v_cmp_nlt_f32_e32 vcc, s45, v24
	v_cvt_pk_f16_f32 v79, v18, v25
	v_cvt_pk_f16_f32 v78, v16, v19
	v_cndmask_b32_e32 v23, v139, v155, vcc
	v_cmp_le_f32_e32 vcc, s47, v24
	v_cvt_pk_f16_f32 v80, v20, v21
	v_cndmask_b32_e64 v26, v81, v17, s[24:25]
	v_cndmask_b32_e32 v141, 0, v23, vcc
	v_cvt_f16_f32_e32 v23, v141
	v_cvt_pk_f16_f32 v81, v22, v26
	v_cmp_lt_i32_e32 vcc, s42, v113
	s_and_b64 vcc, exec, vcc
	v_mul_u32_u24_e32 v157, 0x10001, v23
	v_pk_mul_f16 v19, v100, v157
	v_pk_mul_f16 v21, v99, v157
	;; [unrolled: 1-line block ×8, first 2 shown]
	ds_read_u16 v32, v129
	ds_read_u16 v98, v129 offset:32
	ds_read_u16 v100, v129 offset:64
	ds_read_u16 v150, v129 offset:96
	ds_read_u16 v155, v129 offset:128
	ds_read_u16 v158, v129 offset:160
	ds_read_u16 v159, v129 offset:192
	ds_read_u16 v160, v129 offset:224
	ds_read_u16 v33, v129 offset:272
	ds_read_u16 v99, v129 offset:304
	ds_read_u16 v148, v129 offset:336
	ds_read_u16 v151, v129 offset:368
	ds_read_u16 v161, v129 offset:400
	ds_read_u16 v162, v129 offset:432
	ds_read_u16 v163, v129 offset:464
	ds_read_u16 v164, v129 offset:496
	ds_read_u16 v94, v129 offset:544
	ds_read_u16 v149, v129 offset:576
	ds_read_u16 v165, v129 offset:608
	ds_read_u16 v166, v129 offset:640
	ds_read_u16 v167, v129 offset:672
	ds_read_u16 v168, v129 offset:704
	ds_read_u16 v169, v129 offset:736
	ds_read_u16 v170, v129 offset:768
	ds_read_u16 v95, v137
	ds_read_u16 v171, v137 offset:32
	ds_read_u16 v172, v137 offset:64
	;; [unrolled: 1-line block ×39, first 2 shown]
	s_waitcnt lgkmcnt(14)
	v_perm_b32 v32, v33, v32, s48
	v_perm_b32 v33, v95, v94, s48
	v_cvt_f32_f16_e32 v18, v19
	v_cvt_f32_f16_sdwa v19, v19 dst_sel:DWORD dst_unused:UNUSED_PAD src0_sel:WORD_1
	v_cvt_f32_f16_e32 v20, v21
	v_cvt_f32_f16_sdwa v21, v21 dst_sel:DWORD dst_unused:UNUSED_PAD src0_sel:WORD_1
	v_perm_b32 v98, v99, v98, s48
	v_perm_b32 v99, v171, v149, s48
	v_cvt_f32_f16_e32 v22, v23
	v_cvt_f32_f16_sdwa v23, v23 dst_sel:DWORD dst_unused:UNUSED_PAD src0_sel:WORD_1
	v_cvt_f32_f16_e32 v24, v25
	v_cvt_f32_f16_sdwa v25, v25 dst_sel:DWORD dst_unused:UNUSED_PAD src0_sel:WORD_1
	v_mfma_f32_16x16x16_f16 v[18:21], v[32:33], v[78:79], v[18:21]
	v_perm_b32 v94, v186, v178, s48
	s_waitcnt lgkmcnt(7)
	v_perm_b32 v95, v202, v194, s48
	v_perm_b32 v32, v187, v179, s48
	v_mfma_f32_16x16x16_f16 v[22:25], v[98:99], v[78:79], v[22:25]
	s_waitcnt lgkmcnt(6)
	v_perm_b32 v33, v203, v195, s48
	s_nop 0
	v_cvt_f16_f32_e32 v18, v18
	v_cvt_f16_f32_e32 v19, v19
	;; [unrolled: 1-line block ×4, first 2 shown]
	s_nop 0
	v_cvt_f16_f32_e32 v22, v22
	v_cvt_f16_f32_e32 v23, v23
	;; [unrolled: 1-line block ×4, first 2 shown]
	v_cvt_f32_f16_e32 v18, v18
	v_cvt_f32_f16_e32 v19, v19
	;; [unrolled: 1-line block ×8, first 2 shown]
	v_mfma_f32_16x16x16_f16 v[18:21], v[94:95], v[80:81], v[18:21]
	v_perm_b32 v94, v151, v150, s48
	v_perm_b32 v95, v173, v166, s48
	v_cvt_f32_f16_e32 v30, v31
	v_cvt_f32_f16_sdwa v31, v31 dst_sel:DWORD dst_unused:UNUSED_PAD src0_sel:WORD_1
	v_mfma_f32_16x16x16_f16 v[22:25], v[32:33], v[80:81], v[22:25]
	v_cvt_f32_f16_e32 v32, v96
	v_cvt_f32_f16_sdwa v33, v96 dst_sel:DWORD dst_unused:UNUSED_PAD src0_sel:WORD_1
	v_perm_b32 v148, v148, v100, s48
	v_perm_b32 v149, v172, v165, s48
	v_mfma_f32_16x16x16_f16 v[30:33], v[94:95], v[78:79], v[30:33]
	v_perm_b32 v94, v189, v181, s48
	s_waitcnt lgkmcnt(4)
	v_perm_b32 v95, v205, v197, s48
	v_cvt_f32_f16_e32 v26, v27
	v_cvt_f32_f16_sdwa v27, v27 dst_sel:DWORD dst_unused:UNUSED_PAD src0_sel:WORD_1
	s_nop 2
	v_cvt_f16_f32_e32 v30, v30
	v_cvt_f16_f32_e32 v31, v31
	;; [unrolled: 1-line block ×4, first 2 shown]
	v_cvt_f32_f16_e32 v28, v29
	v_cvt_f32_f16_sdwa v29, v29 dst_sel:DWORD dst_unused:UNUSED_PAD src0_sel:WORD_1
	v_cvt_f32_f16_e32 v30, v30
	v_cvt_f32_f16_e32 v31, v31
	v_cvt_f32_f16_e32 v32, v32
	v_cvt_f32_f16_e32 v33, v33
	v_pk_mul_f16 v91, v91, v157
	v_mfma_f32_16x16x16_f16 v[26:29], v[148:149], v[78:79], v[26:29]
	v_pk_mul_f16 v96, v90, v157
	v_perm_b32 v90, v161, v155, s48
	v_perm_b32 v98, v188, v180, s48
	v_mfma_f32_16x16x16_f16 v[148:151], v[94:95], v[80:81], v[30:33]
	v_perm_b32 v99, v204, v196, s48
	s_nop 2
	v_cvt_f16_f32_e32 v26, v26
	v_cvt_f16_f32_e32 v27, v27
	v_cvt_f32_f16_e32 v30, v91
	v_cvt_f32_f16_sdwa v31, v91 dst_sel:DWORD dst_unused:UNUSED_PAD src0_sel:WORD_1
	v_perm_b32 v91, v174, v167, s48
	v_cvt_f32_f16_e32 v32, v96
	v_cvt_f32_f16_sdwa v33, v96 dst_sel:DWORD dst_unused:UNUSED_PAD src0_sel:WORD_1
	v_cvt_f16_f32_e32 v28, v28
	v_cvt_f16_f32_e32 v29, v29
	v_mfma_f32_16x16x16_f16 v[30:33], v[90:91], v[78:79], v[30:33]
	v_cvt_f32_f16_e32 v26, v26
	v_cvt_f32_f16_e32 v27, v27
	;; [unrolled: 1-line block ×4, first 2 shown]
	s_nop 3
	v_cvt_f16_f32_e32 v30, v30
	v_cvt_f16_f32_e32 v31, v31
	;; [unrolled: 1-line block ×4, first 2 shown]
	v_perm_b32 v90, v190, v182, s48
	s_waitcnt lgkmcnt(3)
	v_perm_b32 v91, v206, v198, s48
	v_cvt_f32_f16_e32 v30, v30
	v_cvt_f32_f16_e32 v31, v31
	;; [unrolled: 1-line block ×4, first 2 shown]
	v_mfma_f32_16x16x16_f16 v[26:29], v[98:99], v[80:81], v[26:29]
	v_pk_mul_f16 v89, v89, v157
	v_pk_mul_f16 v98, v88, v157
	v_perm_b32 v94, v162, v158, s48
	v_perm_b32 v95, v175, v168, s48
	v_mfma_f32_16x16x16_f16 v[30:33], v[90:91], v[80:81], v[30:33]
	v_cvt_f32_f16_e32 v88, v89
	v_cvt_f32_f16_sdwa v89, v89 dst_sel:DWORD dst_unused:UNUSED_PAD src0_sel:WORD_1
	v_cvt_f32_f16_e32 v90, v98
	v_cvt_f32_f16_sdwa v91, v98 dst_sel:DWORD dst_unused:UNUSED_PAD src0_sel:WORD_1
	v_add_f32_e32 v96, v152, v16
	v_cndmask_b32_e64 v16, v16, v96, s[12:13]
	v_mfma_f32_16x16x16_f16 v[88:91], v[94:95], v[78:79], v[88:91]
	v_add_f32_e32 v96, v16, v153
	v_pk_mul_f16 v87, v87, v157
	v_cndmask_b32_e64 v16, v16, v96, s[14:15]
	v_pk_mul_f16 v98, v86, v157
	v_cvt_f32_f16_e32 v152, v87
	v_cvt_f32_f16_sdwa v153, v87 dst_sel:DWORD dst_unused:UNUSED_PAD src0_sel:WORD_1
	v_perm_b32 v86, v163, v159, s48
	v_perm_b32 v87, v176, v169, s48
	v_cvt_f16_f32_e32 v88, v88
	v_cvt_f16_f32_e32 v89, v89
	;; [unrolled: 1-line block ×4, first 2 shown]
	v_add_f32_e32 v96, v16, v154
	v_cvt_f32_f16_e32 v154, v98
	v_cvt_f32_f16_sdwa v155, v98 dst_sel:DWORD dst_unused:UNUSED_PAD src0_sel:WORD_1
	v_perm_b32 v94, v191, v183, s48
	s_waitcnt lgkmcnt(2)
	v_perm_b32 v95, v207, v199, s48
	v_cvt_f32_f16_e32 v88, v88
	v_cvt_f32_f16_e32 v89, v89
	v_cvt_f32_f16_e32 v90, v90
	v_cvt_f32_f16_e32 v91, v91
	v_mfma_f32_16x16x16_f16 v[152:155], v[86:87], v[78:79], v[152:155]
	v_cndmask_b32_e64 v16, v16, v96, s[16:17]
	v_pk_mul_f16 v85, v85, v157
	v_pk_mul_f16 v98, v84, v157
	v_mfma_f32_16x16x16_f16 v[88:91], v[94:95], v[80:81], v[88:91]
	v_add_f32_e32 v94, v156, v16
	s_nop 2
	v_cvt_f16_f32_e32 v86, v152
	v_cvt_f16_f32_e32 v87, v153
	v_cndmask_b32_e64 v16, v16, v94, s[18:19]
	v_cvt_f16_f32_e32 v94, v154
	v_cvt_f16_f32_e32 v95, v155
	v_cvt_f32_f16_e32 v152, v86
	v_cvt_f32_f16_e32 v153, v87
	v_perm_b32 v86, v192, v184, s48
	s_waitcnt lgkmcnt(1)
	v_perm_b32 v87, v208, v200, s48
	v_cvt_f32_f16_e32 v154, v94
	v_cvt_f32_f16_e32 v155, v95
	v_perm_b32 v94, v164, v160, s48
	v_perm_b32 v95, v177, v170, s48
	v_mfma_f32_16x16x16_f16 v[152:155], v[86:87], v[80:81], v[152:155]
	v_cvt_f32_f16_e32 v84, v85
	v_cvt_f32_f16_sdwa v85, v85 dst_sel:DWORD dst_unused:UNUSED_PAD src0_sel:WORD_1
	v_cvt_f32_f16_e32 v86, v98
	v_cvt_f32_f16_sdwa v87, v98 dst_sel:DWORD dst_unused:UNUSED_PAD src0_sel:WORD_1
	v_add_f32_e32 v96, v143, v16
	v_cndmask_b32_e64 v16, v16, v96, s[20:21]
	v_mfma_f32_16x16x16_f16 v[84:87], v[94:95], v[78:79], v[84:87]
	v_perm_b32 v94, v193, v185, s48
	s_waitcnt lgkmcnt(0)
	v_perm_b32 v95, v209, v201, s48
	v_add_f32_e32 v96, v142, v16
	v_cndmask_b32_e64 v16, v16, v96, s[22:23]
	s_nop 2
	v_cvt_f16_f32_e32 v78, v84
	v_cvt_f16_f32_e32 v79, v85
	;; [unrolled: 1-line block ×4, first 2 shown]
	v_cvt_f32_f16_e32 v84, v78
	v_cvt_f32_f16_e32 v85, v79
	;; [unrolled: 1-line block ×4, first 2 shown]
	v_add_f32_e32 v17, v17, v16
	v_cndmask_b32_e64 v78, v16, v17, s[24:25]
	v_mfma_f32_16x16x16_f16 v[84:87], v[94:95], v[80:81], v[84:87]
	v_fmac_f32_e32 v78, v140, v141
	v_cvt_pk_f16_f32 v89, v88, v89
	v_cvt_pk_f16_f32 v88, v90, v91
	;; [unrolled: 1-line block ×3, first 2 shown]
	s_nop 3
	v_cvt_pk_f16_f32 v85, v84, v85
	v_cvt_pk_f16_f32 v84, v86, v87
	;; [unrolled: 1-line block ×13, first 2 shown]
	s_barrier
	s_cbranch_vccz .LBB25_537
; %bb.533:                              ;   in Loop: Header=BB25_497 Depth=1
	v_mov_b32_e32 v140, v78
	v_mov_b32_e32 v78, v37
	s_andn2_b64 vcc, exec, s[30:31]
	s_ashr_i32 s35, s34, 31
	s_cbranch_vccz .LBB25_492
	s_branch .LBB25_497
.LBB25_534:                             ;   in Loop: Header=BB25_497 Depth=1
                                        ; implicit-def: $vgpr20_vgpr21_vgpr22_vgpr23
                                        ; implicit-def: $vgpr16_vgpr17_vgpr18_vgpr19
	s_branch .LBB25_531
.LBB25_535:
                                        ; implicit-def: $sgpr4_sgpr5
                                        ; kill: killed $sgpr4_sgpr5
	s_load_dwordx2 s[90:91], s[0:1], 0x5c
	s_branch .LBB25_7
.LBB25_536:
	v_mov_b32_e32 v37, 0xfeffffff
	v_mov_b32_e32 v78, 0
	;; [unrolled: 1-line block ×18, first 2 shown]
.LBB25_537:
	s_lshl_b32 s10, s42, 6
	v_readlane_b32 s0, v243, 4
	s_sub_i32 s18, s0, s10
	s_cmp_lg_u64 s[2:3], 0
	s_cselect_b64 s[12:13], -1, 0
	s_ashr_i32 s11, s10, 31
	s_cmp_eq_u64 s[2:3], 0
	v_readlane_b32 s1, v243, 5
	s_cbranch_scc1 .LBB25_555
; %bb.538:
	s_lshl_b64 s[0:1], s[10:11], 1
	s_add_u32 s0, s2, s0
	s_addc_u32 s1, s3, s1
	v_mov_b32_e32 v39, 0
	v_cmp_gt_i32_e32 vcc, s18, v34
	v_lshl_add_u64 v[16:17], s[0:1], 0, v[38:39]
	v_mov_b32_e32 v19, 0
	s_and_saveexec_b64 s[0:1], vcc
	s_cbranch_execz .LBB25_540
; %bb.539:
	v_mul_hi_u32 v18, s90, v102
	v_add_u32_e32 v18, v102, v18
	v_lshrrev_b32_e32 v18, s91, v18
	v_mul_lo_u32 v18, v18, s72
	v_sub_u32_e32 v18, v102, v18
	v_mad_i64_i32 v[18:19], s[2:3], v18, s76, 0
	v_lshl_add_u64 v[18:19], v[18:19], 1, v[16:17]
	global_load_ushort v19, v[18:19], off
.LBB25_540:
	s_or_b64 exec, exec, s[0:1]
	s_movk_i32 s0, 0x90
	v_mad_u32_u24 v18, v130, s0, 0
	v_lshl_add_u32 v20, v34, 1, v18
	s_waitcnt vmcnt(0)
	ds_write_b16 v20, v19 offset:17408
	s_and_saveexec_b64 s[0:1], vcc
	s_cbranch_execz .LBB25_542
; %bb.541:
	v_mul_hi_u32 v19, s90, v103
	v_add_u32_e32 v19, v103, v19
	v_lshrrev_b32_e32 v19, s91, v19
	v_mul_lo_u32 v19, v19, s72
	v_sub_u32_e32 v19, v103, v19
	v_mad_i64_i32 v[20:21], s[2:3], v19, s76, 0
	v_lshl_add_u64 v[20:21], v[20:21], 1, v[16:17]
	global_load_ushort v39, v[20:21], off
.LBB25_542:
	s_or_b64 exec, exec, s[0:1]
	v_add_u32_e32 v19, 0x240, v18
	v_lshl_add_u32 v18, v34, 1, v19
	s_waitcnt vmcnt(0)
	ds_write_b16 v18, v39 offset:17408
	v_mov_b32_e32 v18, 0
	v_mov_b32_e32 v20, 0
	s_and_saveexec_b64 s[0:1], vcc
	s_cbranch_execz .LBB25_544
; %bb.543:
	v_mul_hi_u32 v20, s90, v104
	v_add_u32_e32 v20, v104, v20
	v_lshrrev_b32_e32 v20, s91, v20
	v_mul_lo_u32 v20, v20, s72
	v_sub_u32_e32 v20, v104, v20
	v_mad_i64_i32 v[20:21], s[2:3], v20, s76, 0
	v_lshl_add_u64 v[20:21], v[20:21], 1, v[16:17]
	global_load_ushort v20, v[20:21], off
.LBB25_544:
	s_or_b64 exec, exec, s[0:1]
	v_add_u32_e32 v19, 0x240, v19
	v_lshl_add_u32 v21, v34, 1, v19
	s_waitcnt vmcnt(0)
	ds_write_b16 v21, v20 offset:17408
	s_and_saveexec_b64 s[0:1], vcc
	s_cbranch_execz .LBB25_546
; %bb.545:
	v_mul_hi_u32 v18, s90, v105
	v_add_u32_e32 v18, v105, v18
	v_lshrrev_b32_e32 v18, s91, v18
	v_mul_lo_u32 v18, v18, s72
	v_sub_u32_e32 v18, v105, v18
	v_mad_i64_i32 v[20:21], s[2:3], v18, s76, 0
	v_lshl_add_u64 v[20:21], v[20:21], 1, v[16:17]
	global_load_ushort v18, v[20:21], off
.LBB25_546:
	s_or_b64 exec, exec, s[0:1]
	v_add_u32_e32 v19, 0x240, v19
	v_lshl_add_u32 v20, v34, 1, v19
	s_waitcnt vmcnt(0)
	ds_write_b16 v20, v18 offset:17408
	v_mov_b32_e32 v18, 0
	v_mov_b32_e32 v20, 0
	s_and_saveexec_b64 s[0:1], vcc
	s_cbranch_execz .LBB25_548
; %bb.547:
	v_mul_hi_u32 v20, s90, v106
	v_add_u32_e32 v20, v106, v20
	v_lshrrev_b32_e32 v20, s91, v20
	v_mul_lo_u32 v20, v20, s72
	v_sub_u32_e32 v20, v106, v20
	v_mad_i64_i32 v[20:21], s[2:3], v20, s76, 0
	v_lshl_add_u64 v[20:21], v[20:21], 1, v[16:17]
	global_load_ushort v20, v[20:21], off
.LBB25_548:
	s_or_b64 exec, exec, s[0:1]
	v_add_u32_e32 v19, 0x240, v19
	;; [unrolled: 36-line block ×3, first 2 shown]
	v_lshl_add_u32 v19, v34, 1, v19
	s_waitcnt vmcnt(0)
	ds_write_b16 v19, v20 offset:17408
	s_and_saveexec_b64 s[0:1], vcc
	s_cbranch_execz .LBB25_554
; %bb.553:
	v_mul_hi_u32 v18, s90, v110
	v_add_u32_e32 v18, v110, v18
	v_lshrrev_b32_e32 v18, s91, v18
	v_mul_lo_u32 v18, v18, s72
	v_sub_u32_e32 v18, v110, v18
	v_mad_i64_i32 v[20:21], s[2:3], v18, s76, 0
	v_lshl_add_u64 v[16:17], v[20:21], 1, v[16:17]
	global_load_ushort v18, v[16:17], off
.LBB25_554:
	s_or_b64 exec, exec, s[0:1]
	s_waitcnt vmcnt(0)
	ds_write_b16 v19, v18 offset:17984
.LBB25_555:
	s_mul_hi_i32 s3, s10, s88
	s_mul_i32 s2, s10, s88
	s_lshl_b64 s[2:3], s[2:3], 2
	v_lshl_add_u32 v18, v130, 2, v112
	s_add_u32 s2, s39, s2
	v_mul_lo_u32 v26, s88, v18
	s_addc_u32 s3, s40, s3
	v_and_b32_e32 v16, 60, v111
	v_ashrrev_i32_e32 v27, 31, v26
	s_mov_b64 s[0:1], src_private_base
	v_mov_b32_e32 v17, 0
	v_lshlrev_b32_e32 v16, 2, v16
	v_lshl_add_u64 v[20:21], v[26:27], 2, s[2:3]
	v_lshl_add_u64 v[20:21], v[20:21], 0, v[16:17]
	v_mov_b32_e32 v19, s1
	v_cmp_gt_i32_e64 s[4:5], s18, v18
	v_mov_b32_e32 v30, 0
	v_mov_b32_e32 v22, v17
	;; [unrolled: 1-line block ×5, first 2 shown]
	v_cndmask_b32_e64 v21, v19, v21, s[4:5]
	v_cndmask_b32_e64 v20, v30, v20, s[4:5]
	scratch_store_dwordx4 off, v[22:25], off
	flat_load_dwordx4 v[22:25], v[20:21]
	s_lshl_b32 s0, s88, 4
	v_add_u32_e32 v26, s0, v26
	v_ashrrev_i32_e32 v27, 31, v26
	v_mul_u32_u24_e32 v20, 0x110, v18
	v_add_u32_e32 v21, 16, v18
	v_lshl_add_u64 v[28:29], v[26:27], 2, s[2:3]
	v_add3_u32 v20, 0, v20, v16
	v_lshl_add_u64 v[28:29], v[28:29], 0, v[16:17]
	v_cmp_gt_i32_e64 s[6:7], s18, v21
	v_add_u32_e32 v26, s0, v26
	v_ashrrev_i32_e32 v27, 31, v26
	v_cndmask_b32_e64 v29, v19, v29, s[6:7]
	v_cndmask_b32_e64 v28, v30, v28, s[6:7]
	v_add_u32_e32 v21, 32, v18
	v_cmp_gt_i32_e64 s[8:9], s18, v21
	v_add_u32_e32 v21, 48, v18
	s_waitcnt vmcnt(0) lgkmcnt(0)
	ds_write_b128 v20, v[22:25]
	flat_load_dwordx4 v[22:25], v[28:29]
	v_lshl_add_u64 v[28:29], v[26:27], 2, s[2:3]
	v_lshl_add_u64 v[28:29], v[28:29], 0, v[16:17]
	v_cndmask_b32_e64 v29, v19, v29, s[8:9]
	v_cndmask_b32_e64 v28, v30, v28, s[8:9]
	v_add_u32_e32 v26, s0, v26
	v_ashrrev_i32_e32 v27, 31, v26
	v_lshl_add_u64 v[26:27], v[26:27], 2, s[2:3]
	v_lshl_add_u64 v[26:27], v[26:27], 0, v[16:17]
	v_cmp_gt_i32_e64 s[0:1], s18, v21
	v_and_b32_e32 v17, 16, v131
	v_mul_u32_u24_e32 v21, 0x110, v17
	v_cndmask_b32_e64 v27, v19, v27, s[0:1]
	v_cndmask_b32_e64 v26, v30, v26, s[0:1]
	v_add_u32_e32 v19, 0, v107
	v_add3_u32 v19, v19, v83, v21
	v_add_u32_e32 v21, 0x2000, v19
	s_mov_b32 s2, 0x3f200000
	s_waitcnt vmcnt(0) lgkmcnt(0)
	ds_write_b128 v20, v[22:25] offset:4352
	flat_load_dwordx4 v[22:25], v[28:29]
	s_waitcnt vmcnt(0) lgkmcnt(0)
	ds_write_b128 v20, v[22:25] offset:8704
	flat_load_dwordx4 v[22:25], v[26:27]
	s_waitcnt vmcnt(0) lgkmcnt(0)
	ds_write_b128 v20, v[22:25] offset:13056
	s_waitcnt lgkmcnt(0)
	s_barrier
	ds_read2_b64 v[22:25], v19 offset1:4
	ds_read2_b64 v[38:41], v21 offset0:64 offset1:68
	s_waitcnt lgkmcnt(1)
	v_mfma_f32_16x16x16_f16 v[26:29], v[22:23], v[12:13], 0
	s_waitcnt lgkmcnt(0)
	v_mfma_f32_16x16x16_f16 v[42:45], v[38:39], v[12:13], 0
	v_mfma_f32_16x16x16_f16 v[22:25], v[24:25], v[14:15], v[26:29]
	;; [unrolled: 1-line block ×3, first 2 shown]
	s_nop 3
	ds_read2_b64 v[26:29], v19 offset0:8 offset1:12
	ds_read2_b64 v[38:41], v21 offset0:72 offset1:76
	s_waitcnt lgkmcnt(1)
	v_mfma_f32_16x16x16_f16 v[22:25], v[26:27], v[8:9], v[22:25]
	s_waitcnt lgkmcnt(0)
	v_mfma_f32_16x16x16_f16 v[12:15], v[38:39], v[8:9], v[12:15]
	v_mfma_f32_16x16x16_f16 v[22:25], v[28:29], v[10:11], v[22:25]
	ds_read2_b64 v[26:29], v21 offset0:80 offset1:84
	v_mfma_f32_16x16x16_f16 v[8:11], v[40:41], v[10:11], v[12:15]
	s_nop 4
	ds_read2_b64 v[12:15], v19 offset0:16 offset1:20
	s_waitcnt lgkmcnt(0)
	v_mfma_f32_16x16x16_f16 v[22:25], v[12:13], v[4:5], v[22:25]
	v_mfma_f32_16x16x16_f16 v[8:11], v[26:27], v[4:5], v[8:11]
	;; [unrolled: 1-line block ×4, first 2 shown]
	s_nop 4
	ds_read2_b64 v[22:25], v21 offset0:88 offset1:92
	ds_read2_b64 v[8:11], v19 offset0:24 offset1:28
	s_waitcnt lgkmcnt(0)
	v_mfma_f32_16x16x16_f16 v[12:15], v[8:9], v[0:1], v[12:15]
	s_barrier
	v_mfma_f32_16x16x16_f16 v[26:29], v[22:23], v[0:1], v[4:7]
	v_mfma_f32_16x16x16_f16 v[4:7], v[10:11], v[2:3], v[12:15]
                                        ; implicit-def: $vgpr11
	v_mfma_f32_16x16x16_f16 v[0:3], v[24:25], v[2:3], v[26:29]
	s_nop 6
	v_cmp_nlt_f32_e64 s[2:3], |v4|, s2
	s_and_saveexec_b64 s[14:15], s[2:3]
	s_xor_b64 s[2:3], exec, s[14:15]
	s_cbranch_execz .LBB25_557
; %bb.556:
	v_add_f32_e64 v8, |v4|, |v4|
	v_mul_f32_e32 v9, 0x3fb8aa3b, v8
	s_mov_b32 s11, 0x3fb8aa3b
	v_rndne_f32_e32 v10, v9
	v_sub_f32_e32 v11, v9, v10
	v_fma_f32 v9, v8, s11, -v9
	v_fmamk_f32 v9, v8, 0x32a5705f, v9
	v_add_f32_e32 v9, v11, v9
	v_exp_f32_e32 v9, v9
	v_cvt_i32_f32_e32 v10, v10
	s_mov_b32 s11, 0xc2ce8ed0
	v_cmp_ngt_f32_e32 vcc, s11, v8
	s_mov_b32 s11, 0x42b17218
	v_ldexp_f32 v9, v9, v10
	v_cndmask_b32_e32 v9, 0, v9, vcc
	v_mov_b32_e32 v10, 0x7f800000
	v_cmp_nlt_f32_e32 vcc, s11, v8
	s_nop 1
	v_cndmask_b32_e32 v8, v10, v9, vcc
	v_add_f32_e32 v8, 1.0, v8
	v_rcp_f32_e32 v8, v8
	s_nop 0
	v_fma_f32 v11, v8, -2.0, 1.0
.LBB25_557:
	s_andn2_saveexec_b64 s[2:3], s[2:3]
; %bb.558:
	v_mul_f32_e32 v8, v4, v4
	v_mov_b32_e32 v9, 0x3ca908c9
	v_fmac_f32_e32 v9, 0xbbbac73d, v8
	v_fmaak_f32 v9, v8, v9, 0xbd5c1c4e
	v_fmaak_f32 v9, v8, v9, 0x3e088382
	;; [unrolled: 1-line block ×3, first 2 shown]
	v_mul_f32_e64 v9, |v4|, v9
	v_fma_f32 v11, v8, v9, |v4|
; %bb.559:
	s_or_b64 exec, exec, s[2:3]
	s_mov_b32 s2, 0x3f200000
	v_cmp_nlt_f32_e64 s[2:3], |v5|, s2
                                        ; implicit-def: $vgpr13
	s_and_saveexec_b64 s[14:15], s[2:3]
	s_xor_b64 s[2:3], exec, s[14:15]
	s_cbranch_execz .LBB25_561
; %bb.560:
	v_add_f32_e64 v8, |v5|, |v5|
	v_mul_f32_e32 v9, 0x3fb8aa3b, v8
	s_mov_b32 s11, 0x3fb8aa3b
	v_rndne_f32_e32 v10, v9
	v_sub_f32_e32 v12, v9, v10
	v_fma_f32 v9, v8, s11, -v9
	v_fmamk_f32 v9, v8, 0x32a5705f, v9
	v_add_f32_e32 v9, v12, v9
	v_exp_f32_e32 v9, v9
	v_cvt_i32_f32_e32 v10, v10
	s_mov_b32 s11, 0xc2ce8ed0
	v_cmp_ngt_f32_e32 vcc, s11, v8
	s_mov_b32 s11, 0x42b17218
	v_ldexp_f32 v9, v9, v10
	v_cndmask_b32_e32 v9, 0, v9, vcc
	v_mov_b32_e32 v10, 0x7f800000
	v_cmp_nlt_f32_e32 vcc, s11, v8
	s_nop 1
	v_cndmask_b32_e32 v8, v10, v9, vcc
	v_add_f32_e32 v8, 1.0, v8
	v_rcp_f32_e32 v8, v8
	s_nop 0
	v_fma_f32 v13, v8, -2.0, 1.0
.LBB25_561:
	s_andn2_saveexec_b64 s[2:3], s[2:3]
; %bb.562:
	v_mul_f32_e32 v8, v5, v5
	v_mov_b32_e32 v9, 0x3ca908c9
	v_fmac_f32_e32 v9, 0xbbbac73d, v8
	v_fmaak_f32 v9, v8, v9, 0xbd5c1c4e
	v_fmaak_f32 v9, v8, v9, 0x3e088382
	;; [unrolled: 1-line block ×3, first 2 shown]
	v_mul_f32_e64 v9, |v5|, v9
	v_fma_f32 v13, v8, v9, |v5|
; %bb.563:
	s_or_b64 exec, exec, s[2:3]
	s_mov_b32 s2, 0x3f200000
	v_cmp_nlt_f32_e64 s[2:3], |v6|, s2
                                        ; implicit-def: $vgpr14
	s_and_saveexec_b64 s[14:15], s[2:3]
	s_xor_b64 s[2:3], exec, s[14:15]
	s_cbranch_execz .LBB25_565
; %bb.564:
	v_add_f32_e64 v8, |v6|, |v6|
	v_mul_f32_e32 v9, 0x3fb8aa3b, v8
	s_mov_b32 s11, 0x3fb8aa3b
	v_rndne_f32_e32 v10, v9
	v_sub_f32_e32 v12, v9, v10
	v_fma_f32 v9, v8, s11, -v9
	v_fmamk_f32 v9, v8, 0x32a5705f, v9
	v_add_f32_e32 v9, v12, v9
	v_exp_f32_e32 v9, v9
	v_cvt_i32_f32_e32 v10, v10
	s_mov_b32 s11, 0xc2ce8ed0
	v_cmp_ngt_f32_e32 vcc, s11, v8
	s_mov_b32 s11, 0x42b17218
	v_ldexp_f32 v9, v9, v10
	v_cndmask_b32_e32 v9, 0, v9, vcc
	v_mov_b32_e32 v10, 0x7f800000
	v_cmp_nlt_f32_e32 vcc, s11, v8
	s_nop 1
	v_cndmask_b32_e32 v8, v10, v9, vcc
	v_add_f32_e32 v8, 1.0, v8
	v_rcp_f32_e32 v8, v8
	s_nop 0
	v_fma_f32 v14, v8, -2.0, 1.0
.LBB25_565:
	s_andn2_saveexec_b64 s[2:3], s[2:3]
; %bb.566:
	v_mul_f32_e32 v8, v6, v6
	v_mov_b32_e32 v9, 0x3ca908c9
	v_fmac_f32_e32 v9, 0xbbbac73d, v8
	v_fmaak_f32 v9, v8, v9, 0xbd5c1c4e
	v_fmaak_f32 v9, v8, v9, 0x3e088382
	;; [unrolled: 1-line block ×3, first 2 shown]
	v_mul_f32_e64 v9, |v6|, v9
	v_fma_f32 v14, v8, v9, |v6|
; %bb.567:
	s_or_b64 exec, exec, s[2:3]
	s_mov_b32 s2, 0x3f200000
	v_cmp_nlt_f32_e64 s[2:3], |v7|, s2
                                        ; implicit-def: $vgpr15
	s_and_saveexec_b64 s[14:15], s[2:3]
	s_xor_b64 s[2:3], exec, s[14:15]
	s_cbranch_execz .LBB25_569
; %bb.568:
	v_add_f32_e64 v8, |v7|, |v7|
	v_mul_f32_e32 v9, 0x3fb8aa3b, v8
	s_mov_b32 s11, 0x3fb8aa3b
	v_rndne_f32_e32 v10, v9
	v_sub_f32_e32 v12, v9, v10
	v_fma_f32 v9, v8, s11, -v9
	v_fmamk_f32 v9, v8, 0x32a5705f, v9
	v_add_f32_e32 v9, v12, v9
	v_exp_f32_e32 v9, v9
	v_cvt_i32_f32_e32 v10, v10
	s_mov_b32 s11, 0xc2ce8ed0
	v_cmp_ngt_f32_e32 vcc, s11, v8
	s_mov_b32 s11, 0x42b17218
	v_ldexp_f32 v9, v9, v10
	v_cndmask_b32_e32 v9, 0, v9, vcc
	v_mov_b32_e32 v10, 0x7f800000
	v_cmp_nlt_f32_e32 vcc, s11, v8
	s_nop 1
	v_cndmask_b32_e32 v8, v10, v9, vcc
	v_add_f32_e32 v8, 1.0, v8
	v_rcp_f32_e32 v8, v8
	s_nop 0
	v_fma_f32 v15, v8, -2.0, 1.0
.LBB25_569:
	s_andn2_saveexec_b64 s[2:3], s[2:3]
; %bb.570:
	v_mul_f32_e32 v8, v7, v7
	v_mov_b32_e32 v9, 0x3ca908c9
	v_fmac_f32_e32 v9, 0xbbbac73d, v8
	v_fmaak_f32 v9, v8, v9, 0xbd5c1c4e
	v_fmaak_f32 v9, v8, v9, 0x3e088382
	;; [unrolled: 1-line block ×3, first 2 shown]
	v_mul_f32_e64 v9, |v7|, v9
	v_fma_f32 v15, v8, v9, |v7|
; %bb.571:
	s_or_b64 exec, exec, s[2:3]
	s_mov_b32 s2, 0x3f200000
	v_cmp_nlt_f32_e64 s[2:3], |v0|, s2
                                        ; implicit-def: $vgpr8
	s_and_saveexec_b64 s[14:15], s[2:3]
	s_xor_b64 s[2:3], exec, s[14:15]
	s_cbranch_execz .LBB25_573
; %bb.572:
	v_add_f32_e64 v8, |v0|, |v0|
	v_mul_f32_e32 v9, 0x3fb8aa3b, v8
	s_mov_b32 s11, 0x3fb8aa3b
	v_rndne_f32_e32 v10, v9
	v_sub_f32_e32 v12, v9, v10
	v_fma_f32 v9, v8, s11, -v9
	v_fmamk_f32 v9, v8, 0x32a5705f, v9
	v_add_f32_e32 v9, v12, v9
	v_exp_f32_e32 v9, v9
	v_cvt_i32_f32_e32 v10, v10
	s_mov_b32 s11, 0xc2ce8ed0
	v_cmp_ngt_f32_e32 vcc, s11, v8
	s_mov_b32 s11, 0x42b17218
	v_ldexp_f32 v9, v9, v10
	v_cndmask_b32_e32 v9, 0, v9, vcc
	v_mov_b32_e32 v10, 0x7f800000
	v_cmp_nlt_f32_e32 vcc, s11, v8
	s_nop 1
	v_cndmask_b32_e32 v8, v10, v9, vcc
	v_add_f32_e32 v8, 1.0, v8
	v_rcp_f32_e32 v8, v8
	s_nop 0
	v_fma_f32 v8, v8, -2.0, 1.0
.LBB25_573:
	s_andn2_saveexec_b64 s[2:3], s[2:3]
; %bb.574:
	v_mul_f32_e32 v8, v0, v0
	v_mov_b32_e32 v9, 0x3ca908c9
	v_fmac_f32_e32 v9, 0xbbbac73d, v8
	v_fmaak_f32 v9, v8, v9, 0xbd5c1c4e
	v_fmaak_f32 v9, v8, v9, 0x3e088382
	v_fmaak_f32 v9, v8, v9, 0xbeaaaa99
	v_mul_f32_e64 v9, |v0|, v9
	v_fma_f32 v8, v8, v9, |v0|
; %bb.575:
	s_or_b64 exec, exec, s[2:3]
	s_mov_b32 s2, 0x3f200000
	v_cmp_nlt_f32_e64 s[2:3], |v1|, s2
                                        ; implicit-def: $vgpr9
	s_and_saveexec_b64 s[14:15], s[2:3]
	s_xor_b64 s[2:3], exec, s[14:15]
	s_cbranch_execz .LBB25_577
; %bb.576:
	v_add_f32_e64 v9, |v1|, |v1|
	v_mul_f32_e32 v10, 0x3fb8aa3b, v9
	s_mov_b32 s11, 0x3fb8aa3b
	v_rndne_f32_e32 v12, v10
	v_sub_f32_e32 v19, v10, v12
	v_fma_f32 v10, v9, s11, -v10
	v_fmamk_f32 v10, v9, 0x32a5705f, v10
	v_add_f32_e32 v10, v19, v10
	v_exp_f32_e32 v10, v10
	v_cvt_i32_f32_e32 v12, v12
	s_mov_b32 s11, 0xc2ce8ed0
	v_cmp_ngt_f32_e32 vcc, s11, v9
	s_mov_b32 s11, 0x42b17218
	v_ldexp_f32 v10, v10, v12
	v_cndmask_b32_e32 v10, 0, v10, vcc
	v_mov_b32_e32 v12, 0x7f800000
	v_cmp_nlt_f32_e32 vcc, s11, v9
	s_nop 1
	v_cndmask_b32_e32 v9, v12, v10, vcc
	v_add_f32_e32 v9, 1.0, v9
	v_rcp_f32_e32 v9, v9
	s_nop 0
	v_fma_f32 v9, v9, -2.0, 1.0
.LBB25_577:
	s_andn2_saveexec_b64 s[2:3], s[2:3]
; %bb.578:
	v_mul_f32_e32 v9, v1, v1
	v_mov_b32_e32 v10, 0x3ca908c9
	v_fmac_f32_e32 v10, 0xbbbac73d, v9
	v_fmaak_f32 v10, v9, v10, 0xbd5c1c4e
	v_fmaak_f32 v10, v9, v10, 0x3e088382
	;; [unrolled: 1-line block ×3, first 2 shown]
	v_mul_f32_e64 v10, |v1|, v10
	v_fma_f32 v9, v9, v10, |v1|
; %bb.579:
	s_or_b64 exec, exec, s[2:3]
	s_mov_b32 s2, 0x3f200000
	v_cmp_nlt_f32_e64 s[2:3], |v2|, s2
                                        ; implicit-def: $vgpr10
	s_and_saveexec_b64 s[14:15], s[2:3]
	s_xor_b64 s[2:3], exec, s[14:15]
	s_cbranch_execz .LBB25_581
; %bb.580:
	v_add_f32_e64 v10, |v2|, |v2|
	v_mul_f32_e32 v12, 0x3fb8aa3b, v10
	s_mov_b32 s11, 0x3fb8aa3b
	v_rndne_f32_e32 v19, v12
	v_sub_f32_e32 v21, v12, v19
	v_fma_f32 v12, v10, s11, -v12
	v_fmamk_f32 v12, v10, 0x32a5705f, v12
	v_add_f32_e32 v12, v21, v12
	v_exp_f32_e32 v12, v12
	v_cvt_i32_f32_e32 v19, v19
	s_mov_b32 s11, 0xc2ce8ed0
	v_cmp_ngt_f32_e32 vcc, s11, v10
	s_mov_b32 s11, 0x42b17218
	v_ldexp_f32 v12, v12, v19
	v_cndmask_b32_e32 v12, 0, v12, vcc
	v_mov_b32_e32 v19, 0x7f800000
	v_cmp_nlt_f32_e32 vcc, s11, v10
	s_nop 1
	v_cndmask_b32_e32 v10, v19, v12, vcc
	v_add_f32_e32 v10, 1.0, v10
	v_rcp_f32_e32 v10, v10
	s_nop 0
	v_fma_f32 v10, v10, -2.0, 1.0
.LBB25_581:
	s_andn2_saveexec_b64 s[2:3], s[2:3]
; %bb.582:
	v_mul_f32_e32 v10, v2, v2
	v_mov_b32_e32 v12, 0x3ca908c9
	v_fmac_f32_e32 v12, 0xbbbac73d, v10
	v_fmaak_f32 v12, v10, v12, 0xbd5c1c4e
	v_fmaak_f32 v12, v10, v12, 0x3e088382
	;; [unrolled: 1-line block ×3, first 2 shown]
	v_mul_f32_e64 v12, |v2|, v12
	v_fma_f32 v10, v10, v12, |v2|
; %bb.583:
	s_or_b64 exec, exec, s[2:3]
	s_mov_b32 s2, 0x3f200000
	v_cmp_nlt_f32_e64 s[2:3], |v3|, s2
                                        ; implicit-def: $vgpr19
	s_and_saveexec_b64 s[14:15], s[2:3]
	s_xor_b64 s[2:3], exec, s[14:15]
	s_cbranch_execz .LBB25_585
; %bb.584:
	v_add_f32_e64 v12, |v3|, |v3|
	v_mul_f32_e32 v19, 0x3fb8aa3b, v12
	s_mov_b32 s11, 0x3fb8aa3b
	v_rndne_f32_e32 v21, v19
	v_sub_f32_e32 v22, v19, v21
	v_fma_f32 v19, v12, s11, -v19
	v_fmamk_f32 v19, v12, 0x32a5705f, v19
	v_add_f32_e32 v19, v22, v19
	v_exp_f32_e32 v19, v19
	v_cvt_i32_f32_e32 v21, v21
	s_mov_b32 s11, 0xc2ce8ed0
	v_cmp_ngt_f32_e32 vcc, s11, v12
	s_mov_b32 s11, 0x42b17218
	v_ldexp_f32 v19, v19, v21
	v_cndmask_b32_e32 v19, 0, v19, vcc
	v_mov_b32_e32 v21, 0x7f800000
	v_cmp_nlt_f32_e32 vcc, s11, v12
	s_nop 1
	v_cndmask_b32_e32 v12, v21, v19, vcc
	v_add_f32_e32 v12, 1.0, v12
	v_rcp_f32_e32 v12, v12
	s_nop 0
	v_fma_f32 v19, v12, -2.0, 1.0
.LBB25_585:
	s_andn2_saveexec_b64 s[2:3], s[2:3]
; %bb.586:
	v_mul_f32_e32 v12, v3, v3
	v_mov_b32_e32 v19, 0x3ca908c9
	v_fmac_f32_e32 v19, 0xbbbac73d, v12
	v_fmaak_f32 v19, v12, v19, 0xbd5c1c4e
	v_fmaak_f32 v19, v12, v19, 0x3e088382
	;; [unrolled: 1-line block ×3, first 2 shown]
	v_mul_f32_e64 v19, |v3|, v19
	v_fma_f32 v19, v12, v19, |v3|
; %bb.587:
	s_or_b64 exec, exec, s[2:3]
	s_brev_b32 s2, -2
	v_bfi_b32 v0, s2, v8, v0
	v_mul_f32_e32 v8, s85, v0
	v_bfi_b32 v0, s2, v9, v1
	v_mul_f32_e32 v9, s85, v0
	;; [unrolled: 2-line block ×8, first 2 shown]
	s_and_b64 vcc, exec, s[12:13]
	s_cbranch_vccz .LBB25_589
; %bb.588:
	v_lshrrev_b32_e32 v26, 2, v34
	v_and_b32_e32 v25, 0xfc, v26
	v_add_u16_e32 v0, v25, v17
	s_movk_i32 s2, 0x90
	v_lshrrev_b16_e32 v0, 1, v0
	v_mad_u32_u24 v2, v101, s2, 0
	v_lshlrev_b32_e32 v0, 2, v0
	s_movk_i32 s2, 0x4400
	v_add_u32_e32 v23, v25, v17
	v_add3_u32 v0, v2, v0, s2
	v_lshl_add_u32 v2, v23, 1, v2
	v_add_u32_e32 v2, 0x4400, v2
	ds_read2_b32 v[0:1], v0 offset1:1
	ds_read2_b32 v[2:3], v2 offset0:16 offset1:17
	s_mov_b64 s[2:3], 0
	s_waitcnt lgkmcnt(1)
	v_cvt_f32_f16_e32 v4, v0
	v_cvt_f32_f16_sdwa v5, v0 dst_sel:DWORD dst_unused:UNUSED_PAD src0_sel:WORD_1
	v_cvt_f32_f16_e32 v0, v1
	v_cvt_f32_f16_sdwa v1, v1 dst_sel:DWORD dst_unused:UNUSED_PAD src0_sel:WORD_1
	s_waitcnt lgkmcnt(0)
	v_cvt_f32_f16_e32 v28, v2
	v_cvt_f32_f16_e32 v6, v3
	v_cvt_f32_f16_sdwa v7, v3 dst_sel:DWORD dst_unused:UNUSED_PAD src0_sel:WORD_1
	v_cvt_f32_f16_sdwa v29, v2 dst_sel:DWORD dst_unused:UNUSED_PAD src0_sel:WORD_1
	v_pk_fma_f32 v[2:3], v[36:37], v[0:1], v[14:15] op_sel_hi:[0,1,1]
	v_pk_fma_f32 v[0:1], v[36:37], v[4:5], v[12:13] op_sel_hi:[0,1,1]
	;; [unrolled: 1-line block ×4, first 2 shown]
	s_branch .LBB25_590
.LBB25_589:
	s_mov_b64 s[2:3], -1
                                        ; implicit-def: $vgpr0_vgpr1_vgpr2_vgpr3
                                        ; implicit-def: $vgpr4_vgpr5_vgpr6_vgpr7
                                        ; implicit-def: $vgpr26
                                        ; implicit-def: $vgpr25
                                        ; implicit-def: $vgpr23
.LBB25_590:
	v_add_u32_e32 v24, 0x1100, v20
	v_add_u32_e32 v22, 0x2200, v20
	s_andn2_b64 vcc, exec, s[2:3]
	v_add_u32_e32 v21, 0x3300, v20
	s_cbranch_vccnz .LBB25_592
; %bb.591:
	v_and_b32_e32 v25, 0xfc, v97
	v_mov_b64_e32 v[4:5], v[8:9]
	v_mov_b64_e32 v[0:1], v[12:13]
	v_add_u32_e32 v23, v25, v17
	v_mov_b32_e32 v26, v97
	v_mov_b64_e32 v[6:7], v[10:11]
	v_mov_b64_e32 v[2:3], v[14:15]
.LBB25_592:
	s_mul_hi_i32 s11, s10, s74
	s_mul_i32 s10, s10, s74
	s_lshl_b64 s[10:11], s[10:11], 2
	s_mov_b64 s[2:3], src_private_base
	s_add_u32 s10, s33, s10
	v_mul_lo_u32 v8, s74, v18
	s_addc_u32 s11, s38, s11
	v_ashrrev_i32_e32 v9, 31, v8
	s_lshl_b32 s2, s74, 4
	v_lshl_add_u64 v[10:11], v[8:9], 2, s[10:11]
	v_add_u32_e32 v8, s2, v8
	v_ashrrev_i32_e32 v9, 31, v8
	v_lshl_add_u64 v[12:13], v[8:9], 2, s[10:11]
	v_add_u32_e32 v8, s2, v8
	v_ashrrev_i32_e32 v9, 31, v8
	;; [unrolled: 3-line block ×3, first 2 shown]
	v_mov_b32_e32 v17, 0
	v_lshl_add_u64 v[8:9], v[8:9], 2, s[10:11]
	v_lshl_add_u64 v[10:11], v[10:11], 0, v[16:17]
	v_mov_b32_e32 v39, s3
	v_mov_b32_e32 v40, 0
	v_lshl_add_u64 v[12:13], v[12:13], 0, v[16:17]
	v_lshl_add_u64 v[28:29], v[14:15], 0, v[16:17]
	v_lshl_add_u64 v[30:31], v[8:9], 0, v[16:17]
	v_mov_b32_e32 v16, v17
	v_mov_b32_e32 v18, v17
	v_mov_b32_e32 v19, v17
	v_cndmask_b32_e64 v11, v39, v11, s[4:5]
	v_cndmask_b32_e64 v10, v40, v10, s[4:5]
	scratch_store_dwordx4 off, v[16:19], off
	flat_load_dwordx4 v[8:11], v[10:11]
	v_cndmask_b32_e64 v13, v39, v13, s[6:7]
	v_cndmask_b32_e64 v12, v40, v12, s[6:7]
	v_mbcnt_hi_u32_b32 v36, -1, v133
	v_or_b32_e32 v26, 3, v26
	v_and_b32_e32 v53, 64, v36
	v_xor_b32_e32 v54, 32, v36
	v_mul_i32_i24_e32 v56, 0x110, v26
	v_add_u32_e32 v26, 64, v53
	v_add_u32_e32 v27, 2, v23
	v_xor_b32_e32 v55, 16, v36
	v_cmp_lt_i32_e32 vcc, v54, v26
	v_cmp_gt_u32_e64 s[10:11], s18, v27
	v_cndmask_b32_e64 v27, v39, v29, s[8:9]
	v_cndmask_b32_e32 v53, v36, v54, vcc
	v_cmp_lt_i32_e32 vcc, v55, v26
	v_cndmask_b32_e64 v26, v40, v28, s[8:9]
	v_cmp_gt_u32_e64 s[14:15], s18, v23
	v_add_u32_e32 v18, 1, v23
	v_add_u32_e32 v41, 3, v23
	;; [unrolled: 1-line block ×6, first 2 shown]
	v_cmp_gt_u32_e64 s[12:13], s18, v18
	v_add_f32_e32 v38, 0x40051340, v2
	v_add_f32_e32 v42, 0x40051340, v3
	v_cmp_gt_u32_e64 s[8:9], s18, v41
	v_add_f32_e32 v44, 0x40051340, v4
	v_cmp_gt_u32_e64 s[6:7], s18, v43
	v_add_f32_e32 v46, 0x40051340, v5
	s_mov_b32 s4, 0
	s_movk_i32 s5, 0x220
	v_mov_b32_e32 v15, s4
	v_mov_b32_e32 v14, s4
	;; [unrolled: 1-line block ×5, first 2 shown]
	v_mad_u32_u24 v57, v93, s5, 0
	v_add_f32_e32 v48, 0x40051340, v6
	v_cmp_gt_u32_e64 s[16:17], s18, v47
	v_add_f32_e32 v50, 0x40051340, v7
	v_cndmask_b32_e32 v54, v36, v55, vcc
	v_cmp_gt_u32_e32 vcc, s18, v49
	v_lshlrev_b32_e32 v36, 2, v53
	v_mul_u32_u24_e32 v25, 0x110, v25
	s_mov_b32 s21, 0x3fb8aa3b
	s_mov_b32 s20, 0xc2ce8ed0
	;; [unrolled: 1-line block ×3, first 2 shown]
	v_mov_b32_e32 v51, 0x7f800000
	s_mov_b32 s3, 0xc1a00000
	s_mov_b32 s2, 0x5040100
	s_waitcnt vmcnt(0) lgkmcnt(0)
	ds_write_b128 v20, v[8:11]
	flat_load_dwordx4 v[8:11], v[12:13]
	v_add_f32_e32 v12, 0x40051340, v0
	v_max_f32_e32 v13, v37, v37
	v_max_f32_e32 v52, v13, v12
	v_cndmask_b32_e64 v23, v37, v52, s[14:15]
	v_add_f32_e32 v20, 0x40051340, v1
	v_max_f32_e32 v52, v23, v23
	v_max_f32_e32 v20, v52, v20
	v_cndmask_b32_e64 v18, v23, v20, s[12:13]
	v_max_f32_e32 v20, v18, v18
	v_max_f32_e32 v20, v20, v38
	v_cndmask_b32_e64 v18, v18, v20, s[10:11]
	;; [unrolled: 3-line block ×4, first 2 shown]
	v_max_f32_e32 v20, v18, v18
	v_mov_b32_e32 v13, s4
	v_mov_b32_e32 v12, s4
	v_max_f32_e32 v20, v20, v46
	v_cmp_gt_u32_e64 s[4:5], s18, v45
	v_lshlrev_b32_e32 v38, 2, v54
	s_waitcnt vmcnt(0) lgkmcnt(0)
	ds_write_b128 v24, v[8:11]
	flat_load_dwordx4 v[8:11], v[26:27]
	v_cndmask_b32_e64 v18, v18, v20, s[4:5]
	v_max_f32_e32 v20, v18, v18
	v_max_f32_e32 v20, v20, v48
	v_cndmask_b32_e64 v18, v18, v20, s[16:17]
	v_max_f32_e32 v20, v18, v18
	v_max_f32_e32 v20, v20, v50
	v_cndmask_b32_e32 v18, v18, v20, vcc
	ds_bpermute_b32 v20, v36, v18
	v_max_f32_e32 v18, v18, v18
	v_add3_u32 v26, v57, v25, v92
	v_cndmask_b32_e64 v25, v39, v31, s[0:1]
	v_cndmask_b32_e64 v24, v40, v30, s[0:1]
	s_waitcnt lgkmcnt(0)
	v_max_f32_e32 v20, v20, v20
	v_max_f32_e32 v18, v18, v20
	ds_bpermute_b32 v20, v38, v18
	v_add3_u32 v27, v57, v56, v92
	s_waitcnt lgkmcnt(0)
	v_max_f32_e32 v20, v20, v20
	v_max_f32_e32 v39, v18, v20
	v_sub_f32_e32 v0, v0, v39
	v_sub_f32_e32 v1, v1, v39
	v_mul_f32_e32 v20, 0x3fb8aa3b, v0
	v_mul_f32_e32 v23, 0x3fb8aa3b, v1
	v_fma_f32 v42, v0, s21, -v20
	v_rndne_f32_e32 v43, v20
	v_fma_f32 v44, v1, s21, -v23
	v_rndne_f32_e32 v45, v23
	v_fmac_f32_e32 v42, 0x32a5705f, v0
	v_sub_f32_e32 v20, v20, v43
	v_fmac_f32_e32 v44, 0x32a5705f, v1
	v_sub_f32_e32 v23, v23, v45
	v_add_f32_e32 v20, v20, v42
	v_add_f32_e32 v42, v23, v44
	v_sub_f32_e32 v2, v2, v39
	v_sub_f32_e32 v5, v5, v39
	;; [unrolled: 1-line block ×3, first 2 shown]
	v_mul_f32_e32 v28, 0x3fb8aa3b, v2
	v_mul_f32_e32 v31, 0x3fb8aa3b, v5
	v_sub_f32_e32 v4, v4, v39
	v_mul_f32_e32 v29, 0x3fb8aa3b, v3
	v_fma_f32 v46, v2, s21, -v28
	v_rndne_f32_e32 v47, v28
	v_fma_f32 v53, v5, s21, -v31
	v_rndne_f32_e32 v54, v31
	v_mul_f32_e32 v30, 0x3fb8aa3b, v4
	v_fma_f32 v48, v3, s21, -v29
	v_rndne_f32_e32 v49, v29
	v_cvt_i32_f32_e32 v43, v43
	v_fmac_f32_e32 v46, 0x32a5705f, v2
	v_sub_f32_e32 v28, v28, v47
	v_fmac_f32_e32 v53, 0x32a5705f, v5
	v_sub_f32_e32 v31, v31, v54
	v_exp_f32_e32 v20, v20
	v_sub_f32_e32 v6, v6, v39
	v_fma_f32 v50, v4, s21, -v30
	v_rndne_f32_e32 v52, v30
	v_cvt_i32_f32_e32 v45, v45
	v_fmac_f32_e32 v48, 0x32a5705f, v3
	v_sub_f32_e32 v29, v29, v49
	v_add_f32_e32 v28, v28, v46
	v_sub_f32_e32 v7, v7, v39
	v_sub_f32_e32 v18, v37, v39
	v_mul_f32_e32 v37, 0x3fb8aa3b, v6
	v_cvt_i32_f32_e32 v47, v47
	v_fmac_f32_e32 v50, 0x32a5705f, v4
	v_sub_f32_e32 v30, v30, v52
	v_add_f32_e32 v29, v29, v48
	v_exp_f32_e32 v28, v28
	v_mul_f32_e32 v40, 0x3fb8aa3b, v7
	v_fma_f32 v55, v6, s21, -v37
	v_rndne_f32_e32 v56, v37
	v_cvt_i32_f32_e32 v49, v49
	v_add_f32_e32 v30, v30, v50
	v_exp_f32_e32 v29, v29
	v_mul_f32_e32 v41, 0x3fb8aa3b, v18
	v_fma_f32 v57, v7, s21, -v40
	v_rndne_f32_e32 v58, v40
	s_waitcnt vmcnt(0)
	ds_write_b128 v22, v[8:11]
	flat_load_dwordx4 v[22:25], v[24:25]
	v_add_f32_e32 v8, v31, v53
	v_exp_f32_e32 v31, v42
	v_cvt_i32_f32_e32 v52, v52
	v_fmac_f32_e32 v55, 0x32a5705f, v6
	v_sub_f32_e32 v37, v37, v56
	v_exp_f32_e32 v30, v30
	v_ldexp_f32 v20, v20, v43
	v_cmp_ngt_f32_e64 s[0:1], s20, v0
	v_fma_f32 v59, v18, s21, -v41
	v_rndne_f32_e32 v60, v41
	v_cvt_i32_f32_e32 v54, v54
	v_fmac_f32_e32 v57, 0x32a5705f, v7
	v_sub_f32_e32 v40, v40, v58
	v_add_f32_e32 v9, v37, v55
	v_exp_f32_e32 v8, v8
	v_ldexp_f32 v31, v31, v45
	v_cndmask_b32_e64 v20, 0, v20, s[0:1]
	v_cmp_ngt_f32_e64 s[0:1], s20, v1
	v_cvt_i32_f32_e32 v56, v56
	v_fmac_f32_e32 v59, 0x32a5705f, v18
	v_sub_f32_e32 v41, v41, v60
	v_add_f32_e32 v10, v40, v57
	v_exp_f32_e32 v9, v9
	v_ldexp_f32 v28, v28, v47
	v_cndmask_b32_e64 v31, 0, v31, s[0:1]
	v_cmp_ngt_f32_e64 s[0:1], s20, v2
	v_cvt_i32_f32_e32 v58, v58
	v_add_f32_e32 v11, v41, v59
	v_exp_f32_e32 v10, v10
	v_ldexp_f32 v29, v29, v49
	v_cndmask_b32_e64 v28, 0, v28, s[0:1]
	v_cmp_ngt_f32_e64 s[0:1], s20, v3
	v_cvt_i32_f32_e32 v60, v60
	v_exp_f32_e32 v11, v11
	v_ldexp_f32 v30, v30, v52
	v_cndmask_b32_e64 v29, 0, v29, s[0:1]
	v_cmp_ngt_f32_e64 s[0:1], s20, v4
	v_ldexp_f32 v8, v8, v54
	v_ldexp_f32 v9, v9, v56
	v_cndmask_b32_e64 v30, 0, v30, s[0:1]
	v_cmp_ngt_f32_e64 s[0:1], s20, v5
	v_ldexp_f32 v10, v10, v58
	v_ldexp_f32 v11, v11, v60
	v_cndmask_b32_e64 v8, 0, v8, s[0:1]
	v_cmp_ngt_f32_e64 s[0:1], s20, v6
	s_waitcnt vmcnt(0) lgkmcnt(0)
	ds_write_b128 v21, v[22:25]
	v_cndmask_b32_e64 v9, 0, v9, s[0:1]
	v_cmp_ngt_f32_e64 s[0:1], s20, v7
	s_waitcnt lgkmcnt(0)
	s_barrier
	v_cndmask_b32_e64 v10, 0, v10, s[0:1]
	v_cmp_ngt_f32_e64 s[0:1], s20, v18
	s_nop 1
	v_cndmask_b32_e64 v11, 0, v11, s[0:1]
	v_cmp_nlt_f32_e64 s[0:1], s19, v0
	s_nop 1
	v_cndmask_b32_e64 v0, v51, v20, s[0:1]
	v_cmp_nlt_f32_e64 s[0:1], s19, v1
	v_cndmask_b32_e64 v0, 0, v0, s[14:15]
	s_nop 0
	v_cndmask_b32_e64 v41, v51, v31, s[0:1]
	v_cmp_nlt_f32_e64 s[0:1], s19, v2
	s_nop 1
	v_cndmask_b32_e64 v28, v51, v28, s[0:1]
	v_cmp_nlt_f32_e64 s[0:1], s19, v3
	v_cndmask_b32_e64 v3, v13, v41, s[12:13]
	s_nop 0
	v_cndmask_b32_e64 v29, v51, v29, s[0:1]
	v_cmp_nlt_f32_e64 s[0:1], s19, v4
	s_nop 1
	v_cndmask_b32_e64 v42, v51, v30, s[0:1]
	v_cmp_nlt_f32_e64 s[0:1], s19, v5
	v_cvt_pk_f16_f32 v30, v0, v3
	v_cndmask_b32_e64 v2, v14, v42, s[6:7]
	v_cndmask_b32_e64 v43, v51, v8, s[0:1]
	v_cmp_nlt_f32_e64 s[0:1], s19, v6
	v_cndmask_b32_e64 v6, v12, v28, s[10:11]
	v_cndmask_b32_e64 v1, v17, v43, s[4:5]
	;; [unrolled: 1-line block ×3, first 2 shown]
	v_cmp_nlt_f32_e64 s[0:1], s19, v7
	v_cndmask_b32_e64 v7, v15, v29, s[8:9]
	v_cndmask_b32_e64 v4, v16, v44, s[16:17]
	;; [unrolled: 1-line block ×3, first 2 shown]
	v_cmp_nlt_f32_e64 s[0:1], s19, v18
	v_cndmask_b32_e32 v14, v19, v37, vcc
	v_cvt_pk_f16_f32 v31, v6, v7
	v_cndmask_b32_e64 v5, v51, v11, s[0:1]
	v_cmp_le_f32_e64 s[0:1], s3, v18
	v_cvt_pk_f16_f32 v47, v4, v14
	v_cvt_pk_f16_f32 v46, v2, v1
	v_cndmask_b32_e64 v40, 0, v5, s[0:1]
	v_cvt_f16_f32_e32 v5, v40
	v_cmp_gt_u32_e64 s[0:1], 16, v34
	v_mul_u32_u24_e32 v45, 0x10001, v5
	v_pk_mul_f16 v3, v100, v45
	v_pk_mul_f16 v5, v99, v45
	v_cvt_f32_f16_e32 v6, v3
	v_cvt_f32_f16_sdwa v7, v3 dst_sel:DWORD dst_unused:UNUSED_PAD src0_sel:WORD_1
	v_cvt_f32_f16_e32 v8, v5
	v_cvt_f32_f16_sdwa v9, v5 dst_sel:DWORD dst_unused:UNUSED_PAD src0_sel:WORD_1
	ds_read_u16 v3, v26
	ds_read_u16 v16, v26 offset:32
	ds_read_u16 v17, v26 offset:64
	;; [unrolled: 1-line block ×23, first 2 shown]
	ds_read_u16 v11, v27
	ds_read_u16 v59, v27 offset:32
	ds_read_u16 v60, v27 offset:64
	;; [unrolled: 1-line block ×23, first 2 shown]
	s_waitcnt lgkmcnt(14)
	v_perm_b32 v11, v11, v10, s2
	v_perm_b32 v10, v5, v3, s2
	v_pk_mul_f16 v15, v98, v45
	ds_read_u16 v3, v27 offset:8704
	ds_read_u16 v81, v27 offset:8736
	;; [unrolled: 1-line block ×8, first 2 shown]
	v_mfma_f32_16x16x16_f16 v[6:9], v[10:11], v[30:31], v[6:9]
	s_waitcnt lgkmcnt(7)
	v_perm_b32 v13, v3, v13, s2
	v_perm_b32 v11, v59, v23, s2
	;; [unrolled: 1-line block ×3, first 2 shown]
	s_nop 3
	v_cvt_f16_f32_e32 v3, v6
	v_cvt_f16_f32_e32 v5, v7
	;; [unrolled: 1-line block ×4, first 2 shown]
	v_cvt_f32_f16_e32 v6, v3
	ds_read_u16 v3, v26 offset:8976
	ds_read_u16 v27, v26 offset:9008
	ds_read_u16 v101, v26 offset:9040
	ds_read_u16 v102, v26 offset:9072
	ds_read_u16 v103, v26 offset:9104
	ds_read_u16 v104, v26 offset:9136
	ds_read_u16 v105, v26 offset:9168
	ds_read_u16 v106, v26 offset:9200
	s_waitcnt lgkmcnt(7)
	v_perm_b32 v12, v3, v12, s2
	v_cvt_f32_f16_e32 v7, v5
	v_cvt_f32_f16_e32 v8, v8
	;; [unrolled: 1-line block ×3, first 2 shown]
	v_pk_mul_f16 v26, v96, v45
	v_perm_b32 v14, v20, v17, s2
	v_mfma_f32_16x16x16_f16 v[2:5], v[12:13], v[46:47], v[6:9]
	v_pk_mul_f16 v13, v94, v45
	v_pk_mul_f16 v17, v32, v45
	s_nop 0
	v_cvt_f32_f16_e32 v6, v15
	v_cvt_f32_f16_sdwa v7, v15 dst_sel:DWORD dst_unused:UNUSED_PAD src0_sel:WORD_1
	v_cvt_f32_f16_e32 v8, v26
	v_cvt_f32_f16_sdwa v9, v26 dst_sel:DWORD dst_unused:UNUSED_PAD src0_sel:WORD_1
	v_perm_b32 v15, v60, v53, s2
	v_cvt_f32_f16_e32 v12, v13
	v_mfma_f32_16x16x16_f16 v[6:9], v[10:11], v[30:31], v[6:9]
	v_perm_b32 v11, v81, v73, s2
	s_waitcnt lgkmcnt(6)
	v_perm_b32 v10, v27, v66, s2
	v_cvt_f32_f16_sdwa v13, v13 dst_sel:DWORD dst_unused:UNUSED_PAD src0_sel:WORD_1
	v_perm_b32 v19, v61, v54, s2
	s_nop 2
	v_cvt_f16_f32_e32 v1, v6
	v_cvt_f16_f32_e32 v7, v7
	;; [unrolled: 1-line block ×4, first 2 shown]
	v_cvt_f32_f16_e32 v6, v1
	v_cvt_f32_f16_e32 v7, v7
	;; [unrolled: 1-line block ×4, first 2 shown]
	v_pk_mul_f16 v1, v95, v45
	v_perm_b32 v18, v22, v18, s2
	v_mfma_f32_16x16x16_f16 v[6:9], v[10:11], v[46:47], v[6:9]
	v_cvt_f32_f16_e32 v10, v1
	v_cvt_f32_f16_sdwa v11, v1 dst_sel:DWORD dst_unused:UNUSED_PAD src0_sel:WORD_1
	v_cvt_f32_f16_e32 v16, v17
	v_cvt_f32_f16_sdwa v17, v17 dst_sel:DWORD dst_unused:UNUSED_PAD src0_sel:WORD_1
	v_mfma_f32_16x16x16_f16 v[10:13], v[14:15], v[30:31], v[10:13]
	v_perm_b32 v15, v92, v74, s2
	s_waitcnt lgkmcnt(5)
	v_perm_b32 v14, v101, v67, s2
	v_pk_mul_f16 v26, v90, v45
	v_perm_b32 v23, v62, v55, s2
	s_nop 2
	v_cvt_f16_f32_e32 v1, v10
	v_cvt_f16_f32_e32 v11, v11
	v_cvt_f16_f32_e32 v12, v12
	v_cvt_f16_f32_e32 v13, v13
	v_cvt_f32_f16_e32 v10, v1
	v_cvt_f32_f16_e32 v11, v11
	;; [unrolled: 1-line block ×4, first 2 shown]
	v_pk_mul_f16 v1, v33, v45
	v_perm_b32 v22, v24, v21, s2
	v_mfma_f32_16x16x16_f16 v[10:13], v[14:15], v[46:47], v[10:13]
	v_cvt_f32_f16_e32 v14, v1
	v_cvt_f32_f16_sdwa v15, v1 dst_sel:DWORD dst_unused:UNUSED_PAD src0_sel:WORD_1
	v_cvt_f32_f16_e32 v20, v26
	v_cvt_f32_f16_sdwa v21, v26 dst_sel:DWORD dst_unused:UNUSED_PAD src0_sel:WORD_1
	v_mfma_f32_16x16x16_f16 v[14:17], v[18:19], v[30:31], v[14:17]
	v_perm_b32 v19, v93, v75, s2
	s_waitcnt lgkmcnt(4)
	v_perm_b32 v18, v102, v68, s2
	v_pk_mul_f16 v27, v88, v45
	s_waitcnt lgkmcnt(0)
	s_nop 2
	v_cvt_f16_f32_e32 v1, v14
	v_cvt_f16_f32_e32 v15, v15
	;; [unrolled: 1-line block ×4, first 2 shown]
	v_cvt_f32_f16_e32 v14, v1
	v_cvt_f32_f16_e32 v15, v15
	;; [unrolled: 1-line block ×4, first 2 shown]
	v_pk_mul_f16 v1, v91, v45
	s_barrier
	v_mfma_f32_16x16x16_f16 v[14:17], v[18:19], v[46:47], v[14:17]
	v_cvt_f32_f16_e32 v18, v1
	v_cvt_f32_f16_sdwa v19, v1 dst_sel:DWORD dst_unused:UNUSED_PAD src0_sel:WORD_1
	v_add_f32_e32 v1, v41, v0
	v_cndmask_b32_e64 v24, v0, v1, s[12:13]
	v_mfma_f32_16x16x16_f16 v[18:21], v[22:23], v[30:31], v[18:21]
	v_add_f32_e32 v26, v24, v28
	v_pk_mul_f16 v23, v89, v45
	v_cndmask_b32_e64 v26, v24, v26, s[10:11]
	v_cvt_f32_f16_e32 v22, v23
	s_nop 3
	v_cvt_f16_f32_e32 v0, v18
	v_cvt_f16_f32_e32 v1, v19
	;; [unrolled: 1-line block ×4, first 2 shown]
	v_cvt_f32_f16_e32 v18, v0
	v_cvt_f32_f16_e32 v19, v1
	v_perm_b32 v1, v97, v76, s2
	v_perm_b32 v0, v103, v69, s2
	v_cvt_f32_f16_e32 v20, v20
	v_cvt_f32_f16_e32 v21, v21
	v_cvt_f32_f16_sdwa v23, v23 dst_sel:DWORD dst_unused:UNUSED_PAD src0_sel:WORD_1
	v_cvt_f32_f16_e32 v24, v27
	v_mfma_f32_16x16x16_f16 v[18:21], v[0:1], v[46:47], v[18:21]
	v_perm_b32 v1, v63, v56, s2
	v_perm_b32 v0, v50, v25, s2
	v_cvt_f32_f16_sdwa v25, v27 dst_sel:DWORD dst_unused:UNUSED_PAD src0_sel:WORD_1
	v_add_f32_e32 v27, v26, v29
	v_cndmask_b32_e64 v26, v26, v27, s[8:9]
	v_mfma_f32_16x16x16_f16 v[22:25], v[0:1], v[30:31], v[22:25]
	v_add_f32_e32 v27, v42, v26
	v_cndmask_b32_e64 v32, v26, v27, s[6:7]
	v_pk_mul_f16 v27, v87, v45
	v_pk_mul_f16 v29, v86, v45
	s_nop 3
	v_cvt_f16_f32_e32 v0, v22
	v_cvt_f16_f32_e32 v1, v23
	;; [unrolled: 1-line block ×4, first 2 shown]
	v_cvt_f32_f16_e32 v22, v0
	v_cvt_f32_f16_e32 v23, v1
	v_perm_b32 v1, v98, v77, s2
	v_perm_b32 v0, v104, v70, s2
	v_cvt_f32_f16_e32 v24, v24
	v_cvt_f32_f16_e32 v25, v25
	;; [unrolled: 1-line block ×3, first 2 shown]
	v_cvt_f32_f16_sdwa v27, v27 dst_sel:DWORD dst_unused:UNUSED_PAD src0_sel:WORD_1
	v_mfma_f32_16x16x16_f16 v[22:25], v[0:1], v[46:47], v[22:25]
	v_perm_b32 v1, v64, v57, s2
	v_perm_b32 v0, v51, v48, s2
	v_cvt_f32_f16_e32 v28, v29
	v_cvt_f32_f16_sdwa v29, v29 dst_sel:DWORD dst_unused:UNUSED_PAD src0_sel:WORD_1
	v_add_f32_e32 v33, v43, v32
	v_cndmask_b32_e64 v32, v32, v33, s[4:5]
	v_mfma_f32_16x16x16_f16 v[26:29], v[0:1], v[30:31], v[26:29]
	v_add_f32_e32 v33, v44, v32
	v_cndmask_b32_e64 v32, v32, v33, s[16:17]
	v_pk_mul_f16 v33, v85, v45
	v_pk_mul_f16 v41, v84, v45
	s_nop 3
	v_cvt_f16_f32_e32 v0, v26
	v_cvt_f16_f32_e32 v1, v27
	;; [unrolled: 1-line block ×4, first 2 shown]
	v_cvt_f32_f16_e32 v26, v0
	v_cvt_f32_f16_e32 v27, v1
	v_perm_b32 v1, v99, v79, s2
	v_perm_b32 v0, v105, v71, s2
	v_cvt_f32_f16_e32 v28, v28
	v_cvt_f32_f16_e32 v29, v29
	;; [unrolled: 1-line block ×3, first 2 shown]
	v_cvt_f32_f16_sdwa v43, v33 dst_sel:DWORD dst_unused:UNUSED_PAD src0_sel:WORD_1
	v_mfma_f32_16x16x16_f16 v[26:29], v[0:1], v[46:47], v[26:29]
	v_perm_b32 v1, v65, v58, s2
	v_perm_b32 v0, v52, v49, s2
	v_cvt_f32_f16_e32 v44, v41
	v_cvt_f32_f16_sdwa v45, v41 dst_sel:DWORD dst_unused:UNUSED_PAD src0_sel:WORD_1
	v_add_f32_e32 v33, v37, v32
	v_cndmask_b32_e32 v37, v32, v33, vcc
	v_mfma_f32_16x16x16_f16 v[30:33], v[0:1], v[30:31], v[42:45]
	v_fmac_f32_e32 v37, v78, v40
	ds_bpermute_b32 v36, v36, v37
	s_movk_i32 s4, 0x110
	s_waitcnt lgkmcnt(0)
	s_nop 3
	v_cvt_f16_f32_e32 v0, v30
	v_cvt_f16_f32_e32 v1, v31
	;; [unrolled: 1-line block ×4, first 2 shown]
	v_cvt_f32_f16_e32 v30, v0
	v_cvt_f32_f16_e32 v31, v1
	v_perm_b32 v1, v100, v80, s2
	v_perm_b32 v0, v106, v72, s2
	v_cvt_f32_f16_e32 v32, v32
	v_cvt_f32_f16_e32 v33, v33
	s_nop 1
	v_mfma_f32_16x16x16_f16 v[30:33], v[0:1], v[46:47], v[30:33]
	v_add_f32_e32 v0, v37, v36
	ds_bpermute_b32 v1, v38, v0
	s_and_saveexec_b64 s[2:3], s[0:1]
	s_cbranch_execz .LBB25_594
; %bb.593:
	s_waitcnt lgkmcnt(0)
	v_add_f32_e32 v0, v0, v1
	v_or_b32_e32 v1, v131, v34
	v_mad_u32_u24 v1, v1, s4, 0
	ds_write2_b32 v1, v39, v0 offset0:64 offset1:65
.LBB25_594:
	s_or_b64 exec, exec, s[2:3]
	v_and_b32_e32 v0, 1, v130
	v_cmp_eq_u32_e32 vcc, 0, v0
	v_cmp_eq_u32_e64 s[4:5], 1, v0
	s_waitcnt lgkmcnt(0)
	s_barrier
	s_and_saveexec_b64 s[2:3], s[4:5]
	s_xor_b64 s[2:3], exec, s[2:3]
	s_cbranch_execz .LBB25_596
; %bb.595:
	s_barrier
                                        ; implicit-def: $vgpr132
                                        ; implicit-def: $vgpr38
.LBB25_596:
	s_andn2_saveexec_b64 s[2:3], s[2:3]
	s_cbranch_execz .LBB25_602
; %bb.597:
	v_and_or_b32 v1, v34, 31, v131
	s_movk_i32 s4, 0x110
	v_mad_u32_u24 v0, v1, s4, 0
	ds_read_b64 v[40:41], v0 offset:256
	s_mov_b32 s4, 0x3fb8aa3b
	s_mov_b32 s6, 0x42b17218
	s_waitcnt lgkmcnt(0)
	s_barrier
	ds_bpermute_b32 v0, v38, v40
	v_max_f32_e32 v36, v40, v40
	s_waitcnt lgkmcnt(0)
	v_max_f32_e32 v0, v0, v0
	v_max_f32_e32 v0, v36, v0
	v_sub_f32_e32 v36, v40, v0
	v_mul_f32_e32 v37, 0x3fb8aa3b, v36
	v_fma_f32 v39, v36, s4, -v37
	v_rndne_f32_e32 v40, v37
	v_fmamk_f32 v39, v36, 0x32a5705f, v39
	v_sub_f32_e32 v37, v37, v40
	v_add_f32_e32 v37, v37, v39
	v_cvt_i32_f32_e32 v40, v40
	v_exp_f32_e32 v37, v37
	s_mov_b32 s4, 0xc2ce8ed0
	v_cmp_ngt_f32_e64 s[4:5], s4, v36
	v_mov_b32_e32 v39, 0x7f800000
	v_ldexp_f32 v37, v37, v40
	v_cndmask_b32_e64 v37, 0, v37, s[4:5]
	v_cmp_nlt_f32_e64 s[4:5], s6, v36
	s_nop 1
	v_cndmask_b32_e64 v36, v39, v37, s[4:5]
	v_mul_f32_e32 v37, v41, v36
	ds_bpermute_b32 v37, v38, v37
	v_cmp_gt_u32_e64 s[4:5], 32, v34
	s_waitcnt lgkmcnt(0)
	v_fmac_f32_e32 v37, v41, v36
	s_and_saveexec_b64 s[6:7], s[4:5]
; %bb.598:
	v_mul_u32_u24_e32 v1, 0x110, v1
	v_add_u32_e32 v1, 0, v1
	ds_write_b64 v1, v[36:37] offset:256
; %bb.599:
	s_or_b64 exec, exec, s[6:7]
	s_and_saveexec_b64 s[4:5], s[0:1]
	s_cbranch_execz .LBB25_601
; %bb.600:
	s_add_i32 s0, s54, s49
	s_lshl_b32 s0, s0, 5
	s_mov_b32 s1, 0
	s_lshl_b64 s[0:1], s[0:1], 3
	s_add_u32 s0, s70, s0
	v_or_b32_e32 v1, v132, v34
	s_addc_u32 s1, s71, s1
	v_lshlrev_b32_e32 v36, 3, v1
	v_mov_b32_e32 v1, v37
	global_store_dwordx2 v36, v[0:1], s[0:1]
.LBB25_601:
	s_or_b64 exec, exec, s[4:5]
.LBB25_602:
	s_or_b64 exec, exec, s[2:3]
	v_cvt_pk_f16_f32 v1, v2, v3
	v_cvt_pk_f16_f32 v3, v6, v7
	;; [unrolled: 1-line block ×3, first 2 shown]
	v_or_b32_e32 v16, v131, v82
	v_mul_u32_u24_e32 v16, 0x110, v16
	v_cvt_pk_f16_f32 v0, v4, v5
	s_movk_i32 s4, 0x110
	s_mov_b32 s3, 0
	v_add3_u32 v16, 0, v16, v83
	v_cvt_pk_f16_f32 v2, v8, v9
	v_cvt_pk_f16_f32 v4, v12, v13
	;; [unrolled: 1-line block ×12, first 2 shown]
	ds_write2_b32 v16, v1, v0 offset1:1
	ds_write2_b32 v16, v3, v2 offset0:8 offset1:9
	ds_write2_b32 v16, v5, v4 offset0:16 offset1:17
	;; [unrolled: 1-line block ×7, first 2 shown]
	s_waitcnt lgkmcnt(0)
	s_barrier
	s_and_saveexec_b64 s[0:1], vcc
	s_cbranch_execz .LBB25_604
; %bb.603:
	s_lshl_b32 s2, s49, 11
	s_lshl_b64 s[6:7], s[2:3], 3
	s_add_u32 s5, s70, s6
	s_addc_u32 s6, s71, s7
	s_lshl_b32 s2, s54, 6
	s_lshl_b64 s[2:3], s[2:3], 3
	s_add_u32 s2, s5, s2
	v_bfe_u32 v1, v130, 1, 4
	s_movk_i32 s5, 0x3e0
	v_and_or_b32 v4, v130, s5, v1
	v_mad_u32_u24 v2, v4, s4, v35
	ds_read2st64_b32 v[2:3], v2 offset1:17
	v_mad_u32_u24 v4, v4, s4, 0
	ds_read2st64_b32 v[4:5], v4 offset0:1 offset1:18
	v_lshrrev_b32_e32 v0, 1, v130
	s_movk_i32 s5, 0x7e0
	s_waitcnt lgkmcnt(1)
	v_cvt_f32_f16_e32 v6, v2
	v_cvt_f32_f16_sdwa v7, v2 dst_sel:DWORD dst_unused:UNUSED_PAD src0_sel:WORD_1
	v_cvt_f32_f16_e32 v2, v3
	v_cvt_f32_f16_sdwa v3, v3 dst_sel:DWORD dst_unused:UNUSED_PAD src0_sel:WORD_1
	v_lshlrev_b32_e32 v8, 5, v130
	s_waitcnt lgkmcnt(0)
	v_pk_fma_f32 v[6:7], v[4:5], v[6:7], 0 op_sel_hi:[0,1,0]
	v_mov_b32_e32 v4, v5
	v_pk_fma_f32 v[2:3], v[4:5], v[2:3], v[6:7] op_sel_hi:[0,1,1]
	v_add_u32_e32 v6, 2, v0
	v_lshlrev_b32_e32 v4, 1, v6
	v_and_b32_e32 v5, 15, v6
	v_and_or_b32 v7, v4, s5, v5
	v_mad_u32_u24 v4, v7, s4, v35
	ds_read2st64_b32 v[4:5], v4 offset1:17
	s_addc_u32 s3, s6, s3
	v_add_lshl_u32 v8, v8, v34, 3
	global_store_dwordx2 v8, v[2:3], s[2:3]
	v_mad_u32_u24 v2, v7, s4, 0
	ds_read2st64_b32 v[2:3], v2 offset0:1 offset1:18
	v_lshlrev_b32_e32 v8, 6, v6
	s_waitcnt lgkmcnt(1)
	v_cvt_f32_f16_e32 v6, v4
	v_cvt_f32_f16_sdwa v7, v4 dst_sel:DWORD dst_unused:UNUSED_PAD src0_sel:WORD_1
	v_cvt_f32_f16_e32 v4, v5
	v_cvt_f32_f16_sdwa v5, v5 dst_sel:DWORD dst_unused:UNUSED_PAD src0_sel:WORD_1
	v_add_lshl_u32 v8, v8, v34, 3
	s_waitcnt lgkmcnt(0)
	v_pk_fma_f32 v[6:7], v[2:3], v[6:7], 0 op_sel_hi:[0,1,0]
	v_mov_b32_e32 v2, v3
	v_pk_fma_f32 v[2:3], v[2:3], v[4:5], v[6:7] op_sel_hi:[0,1,1]
	v_add_u32_e32 v6, 4, v0
	v_lshlrev_b32_e32 v4, 1, v6
	v_and_b32_e32 v5, 15, v6
	v_and_or_b32 v7, v4, s5, v5
	v_mad_u32_u24 v4, v7, s4, v35
	ds_read2st64_b32 v[4:5], v4 offset1:17
	global_store_dwordx2 v8, v[2:3], s[2:3]
	v_mad_u32_u24 v2, v7, s4, 0
	ds_read2st64_b32 v[2:3], v2 offset0:1 offset1:18
	v_lshlrev_b32_e32 v8, 6, v6
	s_waitcnt lgkmcnt(1)
	v_cvt_f32_f16_e32 v6, v4
	v_cvt_f32_f16_sdwa v7, v4 dst_sel:DWORD dst_unused:UNUSED_PAD src0_sel:WORD_1
	v_cvt_f32_f16_e32 v4, v5
	v_cvt_f32_f16_sdwa v5, v5 dst_sel:DWORD dst_unused:UNUSED_PAD src0_sel:WORD_1
	v_add_lshl_u32 v8, v8, v34, 3
	s_waitcnt lgkmcnt(0)
	v_pk_fma_f32 v[6:7], v[2:3], v[6:7], 0 op_sel_hi:[0,1,0]
	v_mov_b32_e32 v2, v3
	v_pk_fma_f32 v[2:3], v[2:3], v[4:5], v[6:7] op_sel_hi:[0,1,1]
	v_add_u32_e32 v6, 6, v0
	v_lshlrev_b32_e32 v4, 1, v6
	v_and_b32_e32 v5, 15, v6
	v_and_or_b32 v7, v4, s5, v5
	v_mad_u32_u24 v4, v7, s4, v35
	ds_read2st64_b32 v[4:5], v4 offset1:17
	;; [unrolled: 20-line block ×6, first 2 shown]
	global_store_dwordx2 v8, v[2:3], s[2:3]
	v_mad_u32_u24 v2, v7, s4, 0
	ds_read2st64_b32 v[2:3], v2 offset0:1 offset1:18
	v_lshlrev_b32_e32 v8, 6, v6
	s_waitcnt lgkmcnt(1)
	v_cvt_f32_f16_e32 v6, v4
	v_cvt_f32_f16_sdwa v7, v4 dst_sel:DWORD dst_unused:UNUSED_PAD src0_sel:WORD_1
	v_cvt_f32_f16_e32 v4, v5
	v_cvt_f32_f16_sdwa v5, v5 dst_sel:DWORD dst_unused:UNUSED_PAD src0_sel:WORD_1
	v_add_lshl_u32 v8, v8, v34, 3
	s_waitcnt lgkmcnt(0)
	v_pk_fma_f32 v[6:7], v[2:3], v[6:7], 0 op_sel_hi:[0,1,0]
	v_mov_b32_e32 v2, v3
	v_pk_fma_f32 v[2:3], v[2:3], v[4:5], v[6:7] op_sel_hi:[0,1,1]
	v_add_u32_e32 v6, 16, v0
	v_lshlrev_b32_e32 v4, 1, v6
	v_and_or_b32 v1, v4, s5, v1
	v_mad_u32_u24 v4, v1, s4, v35
	ds_read2st64_b32 v[4:5], v4 offset1:17
	v_mad_u32_u24 v1, v1, s4, 0
	global_store_dwordx2 v8, v[2:3], s[2:3]
	ds_read2st64_b32 v[2:3], v1 offset0:1 offset1:18
	v_lshlrev_b32_e32 v8, 6, v6
	s_waitcnt lgkmcnt(1)
	v_cvt_f32_f16_e32 v6, v4
	v_cvt_f32_f16_sdwa v7, v4 dst_sel:DWORD dst_unused:UNUSED_PAD src0_sel:WORD_1
	v_cvt_f32_f16_e32 v4, v5
	v_cvt_f32_f16_sdwa v5, v5 dst_sel:DWORD dst_unused:UNUSED_PAD src0_sel:WORD_1
	v_add_lshl_u32 v1, v8, v34, 3
	s_waitcnt lgkmcnt(0)
	v_pk_fma_f32 v[6:7], v[2:3], v[6:7], 0 op_sel_hi:[0,1,0]
	v_mov_b32_e32 v2, v3
	v_pk_fma_f32 v[2:3], v[2:3], v[4:5], v[6:7] op_sel_hi:[0,1,1]
	v_add_u32_e32 v6, 18, v0
	v_lshlrev_b32_e32 v4, 1, v6
	v_and_b32_e32 v5, 15, v6
	v_and_or_b32 v7, v4, s5, v5
	v_mad_u32_u24 v4, v7, s4, v35
	ds_read2st64_b32 v[4:5], v4 offset1:17
	global_store_dwordx2 v1, v[2:3], s[2:3]
	v_mad_u32_u24 v1, v7, s4, 0
	ds_read2st64_b32 v[2:3], v1 offset0:1 offset1:18
	v_lshlrev_b32_e32 v8, 6, v6
	s_waitcnt lgkmcnt(1)
	v_cvt_f32_f16_e32 v6, v4
	v_cvt_f32_f16_sdwa v7, v4 dst_sel:DWORD dst_unused:UNUSED_PAD src0_sel:WORD_1
	v_cvt_f32_f16_e32 v4, v5
	v_cvt_f32_f16_sdwa v5, v5 dst_sel:DWORD dst_unused:UNUSED_PAD src0_sel:WORD_1
	v_add_lshl_u32 v1, v8, v34, 3
	s_waitcnt lgkmcnt(0)
	v_pk_fma_f32 v[6:7], v[2:3], v[6:7], 0 op_sel_hi:[0,1,0]
	v_mov_b32_e32 v2, v3
	v_pk_fma_f32 v[2:3], v[2:3], v[4:5], v[6:7] op_sel_hi:[0,1,1]
	v_add_u32_e32 v6, 20, v0
	v_lshlrev_b32_e32 v4, 1, v6
	v_and_b32_e32 v5, 15, v6
	v_and_or_b32 v7, v4, s5, v5
	v_mad_u32_u24 v4, v7, s4, v35
	ds_read2st64_b32 v[4:5], v4 offset1:17
	global_store_dwordx2 v1, v[2:3], s[2:3]
	v_mad_u32_u24 v1, v7, s4, 0
	ds_read2st64_b32 v[2:3], v1 offset0:1 offset1:18
	v_lshlrev_b32_e32 v8, 6, v6
	s_waitcnt lgkmcnt(1)
	v_cvt_f32_f16_e32 v6, v4
	v_cvt_f32_f16_sdwa v7, v4 dst_sel:DWORD dst_unused:UNUSED_PAD src0_sel:WORD_1
	v_cvt_f32_f16_e32 v4, v5
	v_cvt_f32_f16_sdwa v5, v5 dst_sel:DWORD dst_unused:UNUSED_PAD src0_sel:WORD_1
	v_add_lshl_u32 v1, v8, v34, 3
	s_waitcnt lgkmcnt(0)
	v_pk_fma_f32 v[6:7], v[2:3], v[6:7], 0 op_sel_hi:[0,1,0]
	v_mov_b32_e32 v2, v3
	v_pk_fma_f32 v[2:3], v[2:3], v[4:5], v[6:7] op_sel_hi:[0,1,1]
	v_add_u32_e32 v6, 22, v0
	v_lshlrev_b32_e32 v4, 1, v6
	v_and_b32_e32 v5, 15, v6
	v_and_or_b32 v7, v4, s5, v5
	v_mad_u32_u24 v4, v7, s4, v35
	ds_read2st64_b32 v[4:5], v4 offset1:17
	global_store_dwordx2 v1, v[2:3], s[2:3]
	v_mad_u32_u24 v1, v7, s4, 0
	ds_read2st64_b32 v[2:3], v1 offset0:1 offset1:18
	v_lshlrev_b32_e32 v8, 6, v6
	s_waitcnt lgkmcnt(1)
	v_cvt_f32_f16_e32 v6, v4
	v_cvt_f32_f16_sdwa v7, v4 dst_sel:DWORD dst_unused:UNUSED_PAD src0_sel:WORD_1
	v_cvt_f32_f16_e32 v4, v5
	v_cvt_f32_f16_sdwa v5, v5 dst_sel:DWORD dst_unused:UNUSED_PAD src0_sel:WORD_1
	v_add_lshl_u32 v1, v8, v34, 3
	s_waitcnt lgkmcnt(0)
	v_pk_fma_f32 v[6:7], v[2:3], v[6:7], 0 op_sel_hi:[0,1,0]
	v_mov_b32_e32 v2, v3
	v_pk_fma_f32 v[2:3], v[2:3], v[4:5], v[6:7] op_sel_hi:[0,1,1]
	v_add_u32_e32 v6, 24, v0
	v_lshlrev_b32_e32 v4, 1, v6
	v_and_b32_e32 v5, 15, v6
	v_and_or_b32 v7, v4, s5, v5
	v_mad_u32_u24 v4, v7, s4, v35
	ds_read2st64_b32 v[4:5], v4 offset1:17
	global_store_dwordx2 v1, v[2:3], s[2:3]
	v_mad_u32_u24 v1, v7, s4, 0
	ds_read2st64_b32 v[2:3], v1 offset0:1 offset1:18
	v_lshlrev_b32_e32 v8, 6, v6
	s_waitcnt lgkmcnt(1)
	v_cvt_f32_f16_e32 v6, v4
	v_cvt_f32_f16_sdwa v7, v4 dst_sel:DWORD dst_unused:UNUSED_PAD src0_sel:WORD_1
	v_cvt_f32_f16_e32 v4, v5
	v_cvt_f32_f16_sdwa v5, v5 dst_sel:DWORD dst_unused:UNUSED_PAD src0_sel:WORD_1
	v_add_lshl_u32 v1, v8, v34, 3
	s_waitcnt lgkmcnt(0)
	v_pk_fma_f32 v[6:7], v[2:3], v[6:7], 0 op_sel_hi:[0,1,0]
	v_mov_b32_e32 v2, v3
	v_pk_fma_f32 v[2:3], v[2:3], v[4:5], v[6:7] op_sel_hi:[0,1,1]
	v_add_u32_e32 v6, 26, v0
	v_lshlrev_b32_e32 v4, 1, v6
	v_and_b32_e32 v5, 15, v6
	v_and_or_b32 v7, v4, s5, v5
	v_mad_u32_u24 v4, v7, s4, v35
	ds_read2st64_b32 v[4:5], v4 offset1:17
	global_store_dwordx2 v1, v[2:3], s[2:3]
	v_mad_u32_u24 v1, v7, s4, 0
	ds_read2st64_b32 v[2:3], v1 offset0:1 offset1:18
	v_lshlrev_b32_e32 v8, 6, v6
	s_waitcnt lgkmcnt(1)
	v_cvt_f32_f16_e32 v6, v4
	v_cvt_f32_f16_sdwa v7, v4 dst_sel:DWORD dst_unused:UNUSED_PAD src0_sel:WORD_1
	v_cvt_f32_f16_e32 v4, v5
	v_cvt_f32_f16_sdwa v5, v5 dst_sel:DWORD dst_unused:UNUSED_PAD src0_sel:WORD_1
	v_add_lshl_u32 v1, v8, v34, 3
	s_waitcnt lgkmcnt(0)
	v_pk_fma_f32 v[6:7], v[2:3], v[6:7], 0 op_sel_hi:[0,1,0]
	v_mov_b32_e32 v2, v3
	v_pk_fma_f32 v[2:3], v[2:3], v[4:5], v[6:7] op_sel_hi:[0,1,1]
	v_add_u32_e32 v6, 28, v0
	v_lshlrev_b32_e32 v4, 1, v6
	v_and_b32_e32 v5, 15, v6
	v_and_or_b32 v7, v4, s5, v5
	v_mad_u32_u24 v4, v7, s4, v35
	ds_read2st64_b32 v[4:5], v4 offset1:17
	global_store_dwordx2 v1, v[2:3], s[2:3]
	v_mad_u32_u24 v1, v7, s4, 0
	ds_read2st64_b32 v[2:3], v1 offset0:1 offset1:18
	v_lshlrev_b32_e32 v8, 6, v6
	s_waitcnt lgkmcnt(1)
	v_cvt_f32_f16_e32 v6, v4
	v_cvt_f32_f16_sdwa v7, v4 dst_sel:DWORD dst_unused:UNUSED_PAD src0_sel:WORD_1
	v_cvt_f32_f16_e32 v4, v5
	v_cvt_f32_f16_sdwa v5, v5 dst_sel:DWORD dst_unused:UNUSED_PAD src0_sel:WORD_1
	v_add_lshl_u32 v8, v8, v34, 3
	s_waitcnt lgkmcnt(0)
	v_pk_fma_f32 v[6:7], v[2:3], v[6:7], 0 op_sel_hi:[0,1,0]
	v_mov_b32_e32 v2, v3
	v_pk_fma_f32 v[2:3], v[2:3], v[4:5], v[6:7] op_sel_hi:[0,1,1]
	v_add_u32_e32 v4, 30, v0
	v_lshlrev_b32_e32 v0, 1, v4
	v_and_b32_e32 v1, 15, v4
	v_and_or_b32 v5, v0, s5, v1
	v_mad_u32_u24 v0, v5, s4, v35
	ds_read2st64_b32 v[0:1], v0 offset1:17
	global_store_dwordx2 v8, v[2:3], s[2:3]
	v_mad_u32_u24 v2, v5, s4, 0
	ds_read2st64_b32 v[2:3], v2 offset0:1 offset1:18
	v_lshlrev_b32_e32 v6, 6, v4
	s_waitcnt lgkmcnt(1)
	v_cvt_f32_f16_e32 v4, v0
	v_cvt_f32_f16_sdwa v5, v0 dst_sel:DWORD dst_unused:UNUSED_PAD src0_sel:WORD_1
	v_cvt_f32_f16_e32 v0, v1
	v_cvt_f32_f16_sdwa v1, v1 dst_sel:DWORD dst_unused:UNUSED_PAD src0_sel:WORD_1
	v_add_lshl_u32 v6, v6, v34, 3
	s_waitcnt lgkmcnt(0)
	v_pk_fma_f32 v[4:5], v[2:3], v[4:5], 0 op_sel_hi:[0,1,0]
	v_mov_b32_e32 v2, v3
	v_pk_fma_f32 v[0:1], v[2:3], v[0:1], v[4:5] op_sel_hi:[0,1,1]
	global_store_dwordx2 v6, v[0:1], s[2:3]
.LBB25_604:
	s_or_b64 exec, exec, s[0:1]
	s_barrier
	s_endpgm
	.section	.rodata,"a",@progbits
	.p2align	6, 0x0
	.amdhsa_kernel _ZL18flash_attn_ext_f16ILi128ELi128ELi32ELi1ELb1ELb0EEvPKcS1_S1_S1_S1_PKiPfP15HIP_vector_typeIfLj2EEffffjfiS5_IjLj3EEiiiiiiiiiiiliiliiiiil
		.amdhsa_group_segment_fixed_size 0
		.amdhsa_private_segment_fixed_size 32
		.amdhsa_kernarg_size 464
		.amdhsa_user_sgpr_count 2
		.amdhsa_user_sgpr_dispatch_ptr 0
		.amdhsa_user_sgpr_queue_ptr 0
		.amdhsa_user_sgpr_kernarg_segment_ptr 1
		.amdhsa_user_sgpr_dispatch_id 0
		.amdhsa_user_sgpr_kernarg_preload_length 0
		.amdhsa_user_sgpr_kernarg_preload_offset 0
		.amdhsa_user_sgpr_private_segment_size 0
		.amdhsa_uses_dynamic_stack 0
		.amdhsa_enable_private_segment 1
		.amdhsa_system_sgpr_workgroup_id_x 1
		.amdhsa_system_sgpr_workgroup_id_y 0
		.amdhsa_system_sgpr_workgroup_id_z 0
		.amdhsa_system_sgpr_workgroup_info 0
		.amdhsa_system_vgpr_workitem_id 1
		.amdhsa_next_free_vgpr 244
		.amdhsa_next_free_sgpr 100
		.amdhsa_accum_offset 244
		.amdhsa_reserve_vcc 1
		.amdhsa_float_round_mode_32 0
		.amdhsa_float_round_mode_16_64 0
		.amdhsa_float_denorm_mode_32 3
		.amdhsa_float_denorm_mode_16_64 3
		.amdhsa_dx10_clamp 1
		.amdhsa_ieee_mode 1
		.amdhsa_fp16_overflow 0
		.amdhsa_tg_split 0
		.amdhsa_exception_fp_ieee_invalid_op 0
		.amdhsa_exception_fp_denorm_src 0
		.amdhsa_exception_fp_ieee_div_zero 0
		.amdhsa_exception_fp_ieee_overflow 0
		.amdhsa_exception_fp_ieee_underflow 0
		.amdhsa_exception_fp_ieee_inexact 0
		.amdhsa_exception_int_div_zero 0
	.end_amdhsa_kernel
	.section	.text._ZL18flash_attn_ext_f16ILi128ELi128ELi32ELi1ELb1ELb0EEvPKcS1_S1_S1_S1_PKiPfP15HIP_vector_typeIfLj2EEffffjfiS5_IjLj3EEiiiiiiiiiiiliiliiiiil,"axG",@progbits,_ZL18flash_attn_ext_f16ILi128ELi128ELi32ELi1ELb1ELb0EEvPKcS1_S1_S1_S1_PKiPfP15HIP_vector_typeIfLj2EEffffjfiS5_IjLj3EEiiiiiiiiiiiliiliiiiil,comdat
.Lfunc_end25:
	.size	_ZL18flash_attn_ext_f16ILi128ELi128ELi32ELi1ELb1ELb0EEvPKcS1_S1_S1_S1_PKiPfP15HIP_vector_typeIfLj2EEffffjfiS5_IjLj3EEiiiiiiiiiiiliiliiiiil, .Lfunc_end25-_ZL18flash_attn_ext_f16ILi128ELi128ELi32ELi1ELb1ELb0EEvPKcS1_S1_S1_S1_PKiPfP15HIP_vector_typeIfLj2EEffffjfiS5_IjLj3EEiiiiiiiiiiiliiliiiiil
                                        ; -- End function
	.set _ZL18flash_attn_ext_f16ILi128ELi128ELi32ELi1ELb1ELb0EEvPKcS1_S1_S1_S1_PKiPfP15HIP_vector_typeIfLj2EEffffjfiS5_IjLj3EEiiiiiiiiiiiliiliiiiil.num_vgpr, 244
	.set _ZL18flash_attn_ext_f16ILi128ELi128ELi32ELi1ELb1ELb0EEvPKcS1_S1_S1_S1_PKiPfP15HIP_vector_typeIfLj2EEffffjfiS5_IjLj3EEiiiiiiiiiiiliiliiiiil.num_agpr, 0
	.set _ZL18flash_attn_ext_f16ILi128ELi128ELi32ELi1ELb1ELb0EEvPKcS1_S1_S1_S1_PKiPfP15HIP_vector_typeIfLj2EEffffjfiS5_IjLj3EEiiiiiiiiiiiliiliiiiil.numbered_sgpr, 100
	.set _ZL18flash_attn_ext_f16ILi128ELi128ELi32ELi1ELb1ELb0EEvPKcS1_S1_S1_S1_PKiPfP15HIP_vector_typeIfLj2EEffffjfiS5_IjLj3EEiiiiiiiiiiiliiliiiiil.num_named_barrier, 0
	.set _ZL18flash_attn_ext_f16ILi128ELi128ELi32ELi1ELb1ELb0EEvPKcS1_S1_S1_S1_PKiPfP15HIP_vector_typeIfLj2EEffffjfiS5_IjLj3EEiiiiiiiiiiiliiliiiiil.private_seg_size, 32
	.set _ZL18flash_attn_ext_f16ILi128ELi128ELi32ELi1ELb1ELb0EEvPKcS1_S1_S1_S1_PKiPfP15HIP_vector_typeIfLj2EEffffjfiS5_IjLj3EEiiiiiiiiiiiliiliiiiil.uses_vcc, 1
	.set _ZL18flash_attn_ext_f16ILi128ELi128ELi32ELi1ELb1ELb0EEvPKcS1_S1_S1_S1_PKiPfP15HIP_vector_typeIfLj2EEffffjfiS5_IjLj3EEiiiiiiiiiiiliiliiiiil.uses_flat_scratch, 0
	.set _ZL18flash_attn_ext_f16ILi128ELi128ELi32ELi1ELb1ELb0EEvPKcS1_S1_S1_S1_PKiPfP15HIP_vector_typeIfLj2EEffffjfiS5_IjLj3EEiiiiiiiiiiiliiliiiiil.has_dyn_sized_stack, 0
	.set _ZL18flash_attn_ext_f16ILi128ELi128ELi32ELi1ELb1ELb0EEvPKcS1_S1_S1_S1_PKiPfP15HIP_vector_typeIfLj2EEffffjfiS5_IjLj3EEiiiiiiiiiiiliiliiiiil.has_recursion, 0
	.set _ZL18flash_attn_ext_f16ILi128ELi128ELi32ELi1ELb1ELb0EEvPKcS1_S1_S1_S1_PKiPfP15HIP_vector_typeIfLj2EEffffjfiS5_IjLj3EEiiiiiiiiiiiliiliiiiil.has_indirect_call, 0
	.section	.AMDGPU.csdata,"",@progbits
; Kernel info:
; codeLenInByte = 64524
; TotalNumSgprs: 106
; NumVgprs: 244
; NumAgprs: 0
; TotalNumVgprs: 244
; ScratchSize: 32
; MemoryBound: 0
; FloatMode: 240
; IeeeMode: 1
; LDSByteSize: 0 bytes/workgroup (compile time only)
; SGPRBlocks: 13
; VGPRBlocks: 30
; NumSGPRsForWavesPerEU: 106
; NumVGPRsForWavesPerEU: 244
; AccumOffset: 244
; Occupancy: 2
; WaveLimiterHint : 0
; COMPUTE_PGM_RSRC2:SCRATCH_EN: 1
; COMPUTE_PGM_RSRC2:USER_SGPR: 2
; COMPUTE_PGM_RSRC2:TRAP_HANDLER: 0
; COMPUTE_PGM_RSRC2:TGID_X_EN: 1
; COMPUTE_PGM_RSRC2:TGID_Y_EN: 0
; COMPUTE_PGM_RSRC2:TGID_Z_EN: 0
; COMPUTE_PGM_RSRC2:TIDIG_COMP_CNT: 1
; COMPUTE_PGM_RSRC3_GFX90A:ACCUM_OFFSET: 60
; COMPUTE_PGM_RSRC3_GFX90A:TG_SPLIT: 0
	.section	.text._ZL33flash_attn_stream_k_fixup_uniformILi128ELi32ELi1EEvPfPK15HIP_vector_typeIfLj2EEiiiiiiS1_IjLj3EES5_S5_,"axG",@progbits,_ZL33flash_attn_stream_k_fixup_uniformILi128ELi32ELi1EEvPfPK15HIP_vector_typeIfLj2EEiiiiiiS1_IjLj3EES5_S5_,comdat
	.globl	_ZL33flash_attn_stream_k_fixup_uniformILi128ELi32ELi1EEvPfPK15HIP_vector_typeIfLj2EEiiiiiiS1_IjLj3EES5_S5_ ; -- Begin function _ZL33flash_attn_stream_k_fixup_uniformILi128ELi32ELi1EEvPfPK15HIP_vector_typeIfLj2EEiiiiiiS1_IjLj3EES5_S5_
	.p2align	8
	.type	_ZL33flash_attn_stream_k_fixup_uniformILi128ELi32ELi1EEvPfPK15HIP_vector_typeIfLj2EEiiiiiiS1_IjLj3EES5_S5_,@function
_ZL33flash_attn_stream_k_fixup_uniformILi128ELi32ELi1EEvPfPK15HIP_vector_typeIfLj2EEiiiiiiS1_IjLj3EES5_S5_: ; @_ZL33flash_attn_stream_k_fixup_uniformILi128ELi32ELi1EEvPfPK15HIP_vector_typeIfLj2EEiiiiiiS1_IjLj3EES5_S5_
; %bb.0:
	s_load_dwordx8 s[8:15], s[0:1], 0x1c
	s_load_dwordx2 s[6:7], s[0:1], 0x10
	s_load_dwordx4 s[20:23], s[0:1], 0x3c
	s_waitcnt lgkmcnt(0)
	s_mul_hi_u32 s5, s11, s2
	s_add_i32 s5, s2, s5
	s_lshr_b32 s5, s5, s12
	s_mul_i32 s11, s5, s13
	s_sub_i32 s11, s2, s11
	s_mul_hi_u32 s12, s11, s14
	s_add_i32 s12, s11, s12
	s_lshr_b32 s16, s12, s15
	s_mul_i32 s12, s16, s20
	s_sub_i32 s12, s11, s12
	s_mul_hi_u32 s11, s12, s21
	s_add_i32 s11, s12, s11
	s_lshr_b32 s11, s11, s22
	s_mul_i32 s13, s11, s23
	s_sub_i32 s17, s12, s13
	s_lshl_b32 s12, s17, 5
	s_add_i32 s12, s12, s3
	s_cmp_lt_i32 s12, s6
	s_cselect_b64 s[12:13], -1, 0
	s_add_i32 s14, s11, s4
	s_cmp_lt_i32 s14, s9
	s_cselect_b64 s[14:15], -1, 0
	s_and_b64 s[12:13], s[12:13], s[14:15]
	s_andn2_b64 vcc, exec, s[12:13]
	s_cbranch_vccnz .LBB26_6
; %bb.1:
	s_load_dwordx4 s[12:15], s[0:1], 0x0
	s_mul_i32 s0, s5, s6
	s_add_i32 s0, s0, s3
	s_mul_i32 s0, s0, s7
	s_mul_i32 s16, s16, s9
	s_add_i32 s0, s0, s4
	s_add_i32 s0, s0, s16
	s_mul_i32 s1, s7, s17
	s_add_i32 s0, s0, s11
	s_lshl_b32 s1, s1, 12
	s_lshl_b32 s0, s0, 7
	s_add_i32 s1, s1, s0
	v_or_b32_e32 v4, s1, v0
	s_waitcnt lgkmcnt(0)
	v_mov_b32_e32 v2, s12
	v_mov_b32_e32 v3, s13
	v_ashrrev_i32_e32 v5, 31, v4
	v_lshl_add_u64 v[2:3], v[4:5], 2, v[2:3]
	global_load_dword v5, v[2:3], off
	s_mul_i32 s6, s10, s2
	s_add_i32 s7, s6, s10
	s_add_i32 s3, s3, s4
	s_lshl_b32 s0, s7, 5
	s_add_i32 s0, s3, s0
	s_sub_i32 s0, s0, 32
	s_ashr_i32 s1, s0, 31
	s_lshl_b64 s[0:1], s[0:1], 3
	s_add_u32 s0, s14, s0
	s_addc_u32 s1, s15, s1
	s_load_dword s9, s[0:1], 0x4
	s_add_i32 s4, s7, -2
	s_cmp_lt_i32 s4, s6
	s_cbranch_scc1 .LBB26_4
; %bb.2:
	s_lshl_b32 s4, s8, 7
	s_ashr_i32 s5, s4, 31
	s_lshl_b64 s[4:5], s[4:5], 2
	s_add_u32 s4, s14, s4
	s_addc_u32 s5, s15, s5
	s_add_i32 s2, s2, 1
	s_mul_i32 s2, s10, s2
	s_load_dword s0, s[0:1], 0x0
	s_lshl_b32 s1, s3, 7
	s_lshl_b32 s10, s2, 12
	s_add_i32 s1, s1, s10
	v_or_b32_e32 v0, s1, v0
	s_lshl_b32 s1, s2, 5
	s_add_i32 s1, s3, s1
	s_lshl_b32 s2, s8, 5
	s_add_i32 s1, s1, s2
	s_add_i32 s7, s7, -1
	v_add_u32_e32 v0, 0xffffe000, v0
	s_sub_i32 s2, s1, 64
	s_waitcnt lgkmcnt(0)
	v_mov_b32_e32 v7, s0
	v_mov_b32_e32 v4, s9
	s_mov_b32 s8, 0x3fb8aa3b
	s_mov_b32 s9, 0xc2ce8ed0
	;; [unrolled: 1-line block ×3, first 2 shown]
	v_mov_b32_e32 v6, 0x7f800000
	s_mov_b32 s11, 0xc1a00000
.LBB26_3:                               ; =>This Inner Loop Header: Depth=1
	v_ashrrev_i32_e32 v1, 31, v0
	v_lshl_add_u64 v[8:9], v[0:1], 2, s[4:5]
	global_load_dword v9, v[8:9], off
	s_ashr_i32 s3, s2, 31
	s_lshl_b64 s[0:1], s[2:3], 3
	s_add_u32 s0, s14, s0
	s_addc_u32 s1, s15, s1
	s_load_dwordx2 s[0:1], s[0:1], 0x0
	v_max_f32_e32 v1, v7, v7
	s_add_i32 s7, s7, -1
	s_sub_i32 s2, s2, 32
	v_add_u32_e32 v0, 0xfffff000, v0
	s_waitcnt lgkmcnt(0)
	v_max_f32_e64 v10, s0, s0
	v_max_f32_e32 v1, v1, v10
	v_sub_f32_e32 v11, s0, v1
	v_sub_f32_e32 v10, v7, v1
	v_mul_f32_e32 v12, 0x3fb8aa3b, v11
	v_mov_b32_e32 v7, v1
	v_mul_f32_e32 v1, 0x3fb8aa3b, v10
	v_fma_f32 v15, v11, s8, -v12
	v_rndne_f32_e32 v16, v12
	v_fma_f32 v13, v10, s8, -v1
	v_rndne_f32_e32 v14, v1
	v_fmac_f32_e32 v15, 0x32a5705f, v11
	v_sub_f32_e32 v12, v12, v16
	v_fmac_f32_e32 v13, 0x32a5705f, v10
	v_sub_f32_e32 v1, v1, v14
	v_add_f32_e32 v12, v12, v15
	v_cvt_i32_f32_e32 v16, v16
	v_add_f32_e32 v1, v1, v13
	v_exp_f32_e32 v12, v12
	v_cvt_i32_f32_e32 v14, v14
	v_exp_f32_e32 v1, v1
	v_cmp_ngt_f32_e32 vcc, s9, v11
	v_ldexp_f32 v12, v12, v16
	v_mov_b32_e32 v8, s1
	v_ldexp_f32 v1, v1, v14
	v_cmp_ngt_f32_e64 s[0:1], s9, v10
	v_cndmask_b32_e32 v12, 0, v12, vcc
	v_cmp_nlt_f32_e32 vcc, s10, v11
	v_cndmask_b32_e64 v1, 0, v1, s[0:1]
	v_cmp_nlt_f32_e64 s[0:1], s10, v10
	v_cndmask_b32_e32 v12, v6, v12, vcc
	v_cmp_le_f32_e32 vcc, s11, v11
	v_cndmask_b32_e64 v1, v6, v1, s[0:1]
	v_cmp_le_f32_e64 s[0:1], s11, v10
	v_cndmask_b32_e32 v12, 0, v12, vcc
	s_cmp_le_i32 s7, s6
	v_cndmask_b32_e64 v10, 0, v1, s[0:1]
	s_waitcnt vmcnt(0)
	v_pk_mul_f32 v[8:9], v[8:9], v[12:13] op_sel_hi:[1,0]
	s_nop 0
	v_pk_fma_f32 v[4:5], v[4:5], v[10:11], v[8:9] op_sel_hi:[1,0,1]
	s_cbranch_scc0 .LBB26_3
	s_branch .LBB26_5
.LBB26_4:
	s_waitcnt lgkmcnt(0)
	v_mov_b32_e32 v4, s9
.LBB26_5:
	s_waitcnt vmcnt(0)
	v_div_scale_f32 v0, s[0:1], v4, v4, v5
	v_rcp_f32_e32 v1, v0
	v_div_scale_f32 v6, vcc, v5, v4, v5
	v_fma_f32 v7, -v0, v1, 1.0
	v_fmac_f32_e32 v1, v7, v1
	v_mul_f32_e32 v7, v6, v1
	v_fma_f32 v8, -v0, v7, v6
	v_fmac_f32_e32 v7, v8, v1
	v_fma_f32 v0, -v0, v7, v6
	v_div_fmas_f32 v0, v0, v1, v7
	v_div_fixup_f32 v0, v0, v4, v5
	global_store_dword v[2:3], v0, off
.LBB26_6:
	s_endpgm
	.section	.rodata,"a",@progbits
	.p2align	6, 0x0
	.amdhsa_kernel _ZL33flash_attn_stream_k_fixup_uniformILi128ELi32ELi1EEvPfPK15HIP_vector_typeIfLj2EEiiiiiiS1_IjLj3EES5_S5_
		.amdhsa_group_segment_fixed_size 0
		.amdhsa_private_segment_fixed_size 0
		.amdhsa_kernarg_size 76
		.amdhsa_user_sgpr_count 2
		.amdhsa_user_sgpr_dispatch_ptr 0
		.amdhsa_user_sgpr_queue_ptr 0
		.amdhsa_user_sgpr_kernarg_segment_ptr 1
		.amdhsa_user_sgpr_dispatch_id 0
		.amdhsa_user_sgpr_kernarg_preload_length 0
		.amdhsa_user_sgpr_kernarg_preload_offset 0
		.amdhsa_user_sgpr_private_segment_size 0
		.amdhsa_uses_dynamic_stack 0
		.amdhsa_enable_private_segment 0
		.amdhsa_system_sgpr_workgroup_id_x 1
		.amdhsa_system_sgpr_workgroup_id_y 1
		.amdhsa_system_sgpr_workgroup_id_z 1
		.amdhsa_system_sgpr_workgroup_info 0
		.amdhsa_system_vgpr_workitem_id 0
		.amdhsa_next_free_vgpr 17
		.amdhsa_next_free_sgpr 24
		.amdhsa_accum_offset 20
		.amdhsa_reserve_vcc 1
		.amdhsa_float_round_mode_32 0
		.amdhsa_float_round_mode_16_64 0
		.amdhsa_float_denorm_mode_32 3
		.amdhsa_float_denorm_mode_16_64 3
		.amdhsa_dx10_clamp 1
		.amdhsa_ieee_mode 1
		.amdhsa_fp16_overflow 0
		.amdhsa_tg_split 0
		.amdhsa_exception_fp_ieee_invalid_op 0
		.amdhsa_exception_fp_denorm_src 0
		.amdhsa_exception_fp_ieee_div_zero 0
		.amdhsa_exception_fp_ieee_overflow 0
		.amdhsa_exception_fp_ieee_underflow 0
		.amdhsa_exception_fp_ieee_inexact 0
		.amdhsa_exception_int_div_zero 0
	.end_amdhsa_kernel
	.section	.text._ZL33flash_attn_stream_k_fixup_uniformILi128ELi32ELi1EEvPfPK15HIP_vector_typeIfLj2EEiiiiiiS1_IjLj3EES5_S5_,"axG",@progbits,_ZL33flash_attn_stream_k_fixup_uniformILi128ELi32ELi1EEvPfPK15HIP_vector_typeIfLj2EEiiiiiiS1_IjLj3EES5_S5_,comdat
.Lfunc_end26:
	.size	_ZL33flash_attn_stream_k_fixup_uniformILi128ELi32ELi1EEvPfPK15HIP_vector_typeIfLj2EEiiiiiiS1_IjLj3EES5_S5_, .Lfunc_end26-_ZL33flash_attn_stream_k_fixup_uniformILi128ELi32ELi1EEvPfPK15HIP_vector_typeIfLj2EEiiiiiiS1_IjLj3EES5_S5_
                                        ; -- End function
	.set _ZL33flash_attn_stream_k_fixup_uniformILi128ELi32ELi1EEvPfPK15HIP_vector_typeIfLj2EEiiiiiiS1_IjLj3EES5_S5_.num_vgpr, 17
	.set _ZL33flash_attn_stream_k_fixup_uniformILi128ELi32ELi1EEvPfPK15HIP_vector_typeIfLj2EEiiiiiiS1_IjLj3EES5_S5_.num_agpr, 0
	.set _ZL33flash_attn_stream_k_fixup_uniformILi128ELi32ELi1EEvPfPK15HIP_vector_typeIfLj2EEiiiiiiS1_IjLj3EES5_S5_.numbered_sgpr, 24
	.set _ZL33flash_attn_stream_k_fixup_uniformILi128ELi32ELi1EEvPfPK15HIP_vector_typeIfLj2EEiiiiiiS1_IjLj3EES5_S5_.num_named_barrier, 0
	.set _ZL33flash_attn_stream_k_fixup_uniformILi128ELi32ELi1EEvPfPK15HIP_vector_typeIfLj2EEiiiiiiS1_IjLj3EES5_S5_.private_seg_size, 0
	.set _ZL33flash_attn_stream_k_fixup_uniformILi128ELi32ELi1EEvPfPK15HIP_vector_typeIfLj2EEiiiiiiS1_IjLj3EES5_S5_.uses_vcc, 1
	.set _ZL33flash_attn_stream_k_fixup_uniformILi128ELi32ELi1EEvPfPK15HIP_vector_typeIfLj2EEiiiiiiS1_IjLj3EES5_S5_.uses_flat_scratch, 0
	.set _ZL33flash_attn_stream_k_fixup_uniformILi128ELi32ELi1EEvPfPK15HIP_vector_typeIfLj2EEiiiiiiS1_IjLj3EES5_S5_.has_dyn_sized_stack, 0
	.set _ZL33flash_attn_stream_k_fixup_uniformILi128ELi32ELi1EEvPfPK15HIP_vector_typeIfLj2EEiiiiiiS1_IjLj3EES5_S5_.has_recursion, 0
	.set _ZL33flash_attn_stream_k_fixup_uniformILi128ELi32ELi1EEvPfPK15HIP_vector_typeIfLj2EEiiiiiiS1_IjLj3EES5_S5_.has_indirect_call, 0
	.section	.AMDGPU.csdata,"",@progbits
; Kernel info:
; codeLenInByte = 816
; TotalNumSgprs: 30
; NumVgprs: 17
; NumAgprs: 0
; TotalNumVgprs: 17
; ScratchSize: 0
; MemoryBound: 0
; FloatMode: 240
; IeeeMode: 1
; LDSByteSize: 0 bytes/workgroup (compile time only)
; SGPRBlocks: 3
; VGPRBlocks: 2
; NumSGPRsForWavesPerEU: 30
; NumVGPRsForWavesPerEU: 17
; AccumOffset: 20
; Occupancy: 8
; WaveLimiterHint : 0
; COMPUTE_PGM_RSRC2:SCRATCH_EN: 0
; COMPUTE_PGM_RSRC2:USER_SGPR: 2
; COMPUTE_PGM_RSRC2:TRAP_HANDLER: 0
; COMPUTE_PGM_RSRC2:TGID_X_EN: 1
; COMPUTE_PGM_RSRC2:TGID_Y_EN: 1
; COMPUTE_PGM_RSRC2:TGID_Z_EN: 1
; COMPUTE_PGM_RSRC2:TIDIG_COMP_CNT: 0
; COMPUTE_PGM_RSRC3_GFX90A:ACCUM_OFFSET: 4
; COMPUTE_PGM_RSRC3_GFX90A:TG_SPLIT: 0
	.section	.text._ZL33flash_attn_stream_k_fixup_generalILi128ELi32ELi1EEvPfPK15HIP_vector_typeIfLj2EEiiiiS1_IjLj3EES5_S5_S5_,"axG",@progbits,_ZL33flash_attn_stream_k_fixup_generalILi128ELi32ELi1EEvPfPK15HIP_vector_typeIfLj2EEiiiiS1_IjLj3EES5_S5_S5_,comdat
	.globl	_ZL33flash_attn_stream_k_fixup_generalILi128ELi32ELi1EEvPfPK15HIP_vector_typeIfLj2EEiiiiS1_IjLj3EES5_S5_S5_ ; -- Begin function _ZL33flash_attn_stream_k_fixup_generalILi128ELi32ELi1EEvPfPK15HIP_vector_typeIfLj2EEiiiiS1_IjLj3EES5_S5_S5_
	.p2align	8
	.type	_ZL33flash_attn_stream_k_fixup_generalILi128ELi32ELi1EEvPfPK15HIP_vector_typeIfLj2EEiiiiS1_IjLj3EES5_S5_S5_,@function
_ZL33flash_attn_stream_k_fixup_generalILi128ELi32ELi1EEvPfPK15HIP_vector_typeIfLj2EEiiiiS1_IjLj3EES5_S5_S5_: ; @_ZL33flash_attn_stream_k_fixup_generalILi128ELi32ELi1EEvPfPK15HIP_vector_typeIfLj2EEiiiiS1_IjLj3EES5_S5_S5_
; %bb.0:
	s_load_dwordx4 s[8:11], s[0:1], 0x10
	s_load_dword s22, s[0:1], 0x50
	s_mov_b32 s12, 0
	s_waitcnt lgkmcnt(0)
	s_mul_hi_i32 s13, s11, s2
	s_cmp_lg_u64 s[12:13], 0
	s_mul_i32 s5, s11, s2
	s_cbranch_scc0 .LBB27_20
; %bb.1:
	s_add_u32 s6, s22, 0
	s_addc_u32 s7, 0, 0
	s_xor_b64 s[6:7], s[6:7], 0
	v_cvt_f32_u32_e32 v1, s6
	v_cvt_f32_u32_e32 v2, s7
	s_sub_u32 s12, 0, s6
	s_subb_u32 s18, 0, s7
	v_fmamk_f32 v1, v2, 0x4f800000, v1
	v_rcp_f32_e32 v1, v1
	s_nop 0
	v_mul_f32_e32 v1, 0x5f7ffffc, v1
	v_mul_f32_e32 v2, 0x2f800000, v1
	v_trunc_f32_e32 v2, v2
	v_fmamk_f32 v1, v2, 0xcf800000, v1
	v_cvt_u32_f32_e32 v2, v2
	v_cvt_u32_f32_e32 v1, v1
	v_readfirstlane_b32 s19, v2
	v_readfirstlane_b32 s14, v1
	s_mul_i32 s15, s12, s19
	s_mul_hi_u32 s21, s12, s14
	s_mul_i32 s20, s18, s14
	s_add_i32 s15, s21, s15
	s_add_i32 s15, s15, s20
	s_mul_i32 s23, s12, s14
	s_mul_i32 s21, s14, s15
	s_mul_hi_u32 s24, s14, s23
	s_mul_hi_u32 s20, s14, s15
	s_add_u32 s21, s24, s21
	s_addc_u32 s20, 0, s20
	s_mul_hi_u32 s25, s19, s23
	s_mul_i32 s23, s19, s23
	s_add_u32 s21, s21, s23
	s_mul_hi_u32 s24, s19, s15
	s_addc_u32 s20, s20, s25
	s_addc_u32 s21, s24, 0
	s_mul_i32 s15, s19, s15
	s_add_u32 s15, s20, s15
	s_addc_u32 s20, 0, s21
	s_add_u32 s21, s14, s15
	s_cselect_b64 s[14:15], -1, 0
	s_cmp_lg_u64 s[14:15], 0
	s_addc_u32 s19, s19, s20
	s_mul_i32 s14, s12, s19
	s_mul_hi_u32 s15, s12, s21
	s_add_i32 s14, s15, s14
	s_mul_i32 s18, s18, s21
	s_add_i32 s14, s14, s18
	s_mul_i32 s12, s12, s21
	s_mul_hi_u32 s18, s19, s12
	s_mul_i32 s20, s19, s12
	s_mul_i32 s24, s21, s14
	s_mul_hi_u32 s12, s21, s12
	s_mul_hi_u32 s23, s21, s14
	s_add_u32 s12, s12, s24
	s_addc_u32 s23, 0, s23
	s_add_u32 s12, s12, s20
	s_mul_hi_u32 s15, s19, s14
	s_addc_u32 s12, s23, s18
	s_addc_u32 s15, s15, 0
	s_mul_i32 s14, s19, s14
	s_add_u32 s12, s12, s14
	s_addc_u32 s18, 0, s15
	s_add_u32 s20, s21, s12
	s_cselect_b64 s[14:15], -1, 0
	s_cmp_lg_u64 s[14:15], 0
	s_addc_u32 s18, s19, s18
	s_ashr_i32 s14, s13, 31
	s_add_u32 s12, s5, s14
	s_mov_b32 s15, s14
	s_addc_u32 s13, s13, s14
	s_xor_b64 s[12:13], s[12:13], s[14:15]
	s_mul_i32 s21, s12, s18
	s_mul_hi_u32 s23, s12, s20
	s_mul_hi_u32 s19, s12, s18
	s_add_u32 s21, s23, s21
	s_addc_u32 s19, 0, s19
	s_mul_hi_u32 s24, s13, s20
	s_mul_i32 s20, s13, s20
	s_add_u32 s20, s21, s20
	s_mul_hi_u32 s23, s13, s18
	s_addc_u32 s19, s19, s24
	s_addc_u32 s20, s23, 0
	s_mul_i32 s18, s13, s18
	s_add_u32 s23, s19, s18
	s_addc_u32 s24, 0, s20
	s_mul_i32 s18, s6, s24
	s_mul_hi_u32 s19, s6, s23
	s_add_i32 s18, s19, s18
	s_mul_i32 s19, s7, s23
	s_add_i32 s25, s18, s19
	s_sub_i32 s20, s13, s25
	s_mul_i32 s18, s6, s23
	s_sub_u32 s12, s12, s18
	s_cselect_b64 s[18:19], -1, 0
	s_cmp_lg_u64 s[18:19], 0
	s_subb_u32 s26, s20, s7
	s_sub_u32 s27, s12, s6
	s_cselect_b64 s[20:21], -1, 0
	s_cmp_lg_u64 s[20:21], 0
	s_subb_u32 s20, s26, 0
	s_cmp_ge_u32 s20, s7
	s_cselect_b32 s21, -1, 0
	s_cmp_ge_u32 s27, s6
	s_cselect_b32 s26, -1, 0
	s_cmp_eq_u32 s20, s7
	s_cselect_b32 s20, s26, s21
	s_add_u32 s21, s23, 1
	s_addc_u32 s26, s24, 0
	s_add_u32 s27, s23, 2
	s_addc_u32 s28, s24, 0
	s_cmp_lg_u32 s20, 0
	s_cselect_b32 s20, s27, s21
	s_cselect_b32 s21, s28, s26
	s_cmp_lg_u64 s[18:19], 0
	s_subb_u32 s13, s13, s25
	s_cmp_ge_u32 s13, s7
	s_cselect_b32 s18, -1, 0
	s_cmp_ge_u32 s12, s6
	s_cselect_b32 s6, -1, 0
	s_cmp_eq_u32 s13, s7
	s_cselect_b32 s6, s6, s18
	s_cmp_lg_u32 s6, 0
	s_cselect_b32 s7, s21, s24
	s_cselect_b32 s6, s20, s23
	s_xor_b64 s[12:13], s[14:15], 0
	s_xor_b64 s[6:7], s[6:7], s[12:13]
	s_sub_u32 s6, s6, s12
	s_load_dwordx4 s[12:15], s[0:1], 0x44
	s_cbranch_execnz .LBB27_3
.LBB27_2:
	v_cvt_f32_u32_e32 v1, s22
	s_sub_i32 s6, 0, s22
	v_rcp_iflag_f32_e32 v1, v1
	s_nop 0
	v_mul_f32_e32 v1, 0x4f7ffffe, v1
	v_cvt_u32_f32_e32 v1, v1
	s_nop 0
	v_readfirstlane_b32 s7, v1
	s_mul_i32 s6, s6, s7
	s_mul_hi_u32 s6, s7, s6
	s_add_i32 s7, s7, s6
	s_mul_hi_u32 s6, s5, s7
	s_waitcnt lgkmcnt(0)
	s_mul_i32 s15, s6, s22
	s_sub_i32 s5, s5, s15
	s_add_i32 s7, s6, 1
	s_sub_i32 s15, s5, s22
	s_cmp_ge_u32 s5, s22
	s_cselect_b32 s6, s7, s6
	s_cselect_b32 s5, s15, s5
	s_add_i32 s7, s6, 1
	s_cmp_ge_u32 s5, s22
	s_cselect_b32 s6, s7, s6
.LBB27_3:
	s_add_i32 s5, s2, 1
	s_mul_hi_i32 s21, s11, s5
	s_mov_b32 s20, 0
	s_cmp_lg_u64 s[20:21], 0
	s_mul_i32 s5, s11, s5
	s_cbranch_scc0 .LBB27_21
; %bb.4:
	s_add_u32 s16, s22, 0
	s_addc_u32 s17, 0, 0
	s_xor_b64 s[18:19], s[16:17], 0
	v_cvt_f32_u32_e32 v1, s18
	v_cvt_f32_u32_e32 v2, s19
	s_sub_u32 s7, 0, s18
	s_waitcnt lgkmcnt(0)
	s_subb_u32 s15, 0, s19
	v_fmamk_f32 v1, v2, 0x4f800000, v1
	v_rcp_f32_e32 v1, v1
	s_nop 0
	v_mul_f32_e32 v1, 0x5f7ffffc, v1
	v_mul_f32_e32 v2, 0x2f800000, v1
	v_trunc_f32_e32 v2, v2
	v_fmamk_f32 v1, v2, 0xcf800000, v1
	v_cvt_u32_f32_e32 v2, v2
	v_cvt_u32_f32_e32 v1, v1
	v_readfirstlane_b32 s20, v2
	v_readfirstlane_b32 s23, v1
	s_mul_i32 s24, s7, s20
	s_mul_hi_u32 s26, s7, s23
	s_mul_i32 s25, s15, s23
	s_add_i32 s24, s26, s24
	s_add_i32 s24, s24, s25
	s_mul_i32 s27, s7, s23
	s_mul_i32 s26, s23, s24
	s_mul_hi_u32 s28, s23, s27
	s_mul_hi_u32 s25, s23, s24
	s_add_u32 s26, s28, s26
	s_addc_u32 s25, 0, s25
	s_mul_hi_u32 s29, s20, s27
	s_mul_i32 s27, s20, s27
	s_add_u32 s26, s26, s27
	s_mul_hi_u32 s28, s20, s24
	s_addc_u32 s25, s25, s29
	s_addc_u32 s26, s28, 0
	s_mul_i32 s24, s20, s24
	s_add_u32 s24, s25, s24
	s_addc_u32 s26, 0, s26
	s_add_u32 s23, s23, s24
	s_cselect_b64 s[24:25], -1, 0
	s_cmp_lg_u64 s[24:25], 0
	s_addc_u32 s20, s20, s26
	s_mul_i32 s24, s7, s20
	s_mul_hi_u32 s25, s7, s23
	s_add_i32 s24, s25, s24
	s_mul_i32 s15, s15, s23
	s_add_i32 s24, s24, s15
	s_mul_i32 s7, s7, s23
	s_mul_hi_u32 s25, s20, s7
	s_mul_i32 s26, s20, s7
	s_mul_i32 s28, s23, s24
	s_mul_hi_u32 s7, s23, s7
	s_mul_hi_u32 s27, s23, s24
	s_add_u32 s7, s7, s28
	s_addc_u32 s27, 0, s27
	s_add_u32 s7, s7, s26
	s_mul_hi_u32 s15, s20, s24
	s_addc_u32 s7, s27, s25
	s_addc_u32 s15, s15, 0
	s_mul_i32 s24, s20, s24
	s_add_u32 s7, s7, s24
	s_addc_u32 s15, 0, s15
	s_add_u32 s7, s23, s7
	s_cselect_b64 s[24:25], -1, 0
	s_cmp_lg_u64 s[24:25], 0
	s_addc_u32 s15, s20, s15
	s_ashr_i32 s24, s21, 31
	s_add_u32 s20, s5, s24
	s_mov_b32 s25, s24
	s_addc_u32 s21, s21, s24
	s_xor_b64 s[20:21], s[20:21], s[24:25]
	s_mul_i32 s26, s20, s15
	s_mul_hi_u32 s27, s20, s7
	s_mul_hi_u32 s23, s20, s15
	s_add_u32 s26, s27, s26
	s_addc_u32 s23, 0, s23
	s_mul_hi_u32 s28, s21, s7
	s_mul_i32 s7, s21, s7
	s_add_u32 s7, s26, s7
	s_mul_hi_u32 s27, s21, s15
	s_addc_u32 s7, s23, s28
	s_addc_u32 s23, s27, 0
	s_mul_i32 s15, s21, s15
	s_add_u32 s7, s7, s15
	s_addc_u32 s15, 0, s23
	s_mul_i32 s23, s18, s15
	s_mul_hi_u32 s26, s18, s7
	s_add_i32 s23, s26, s23
	s_mul_i32 s26, s19, s7
	s_add_i32 s23, s23, s26
	s_sub_i32 s28, s21, s23
	s_mul_i32 s26, s18, s7
	s_sub_u32 s20, s20, s26
	s_cselect_b64 s[26:27], -1, 0
	s_cmp_lg_u64 s[26:27], 0
	s_subb_u32 s30, s28, s19
	s_sub_u32 s31, s20, s18
	s_cselect_b64 s[28:29], -1, 0
	s_cmp_lg_u64 s[28:29], 0
	s_subb_u32 s28, s30, 0
	s_cmp_ge_u32 s28, s19
	s_cselect_b32 s29, -1, 0
	s_cmp_ge_u32 s31, s18
	s_cselect_b32 s30, -1, 0
	s_cmp_eq_u32 s28, s19
	s_cselect_b32 s28, s30, s29
	s_add_u32 s29, s7, 1
	s_addc_u32 s30, s15, 0
	s_add_u32 s31, s7, 2
	s_addc_u32 s33, s15, 0
	s_cmp_lg_u32 s28, 0
	s_cselect_b32 s28, s31, s29
	s_cselect_b32 s29, s33, s30
	s_cmp_lg_u64 s[26:27], 0
	s_subb_u32 s21, s21, s23
	s_cmp_ge_u32 s21, s19
	s_cselect_b32 s23, -1, 0
	s_cmp_ge_u32 s20, s18
	s_cselect_b32 s18, -1, 0
	s_cmp_eq_u32 s21, s19
	s_cselect_b32 s18, s18, s23
	s_cmp_lg_u32 s18, 0
	s_cselect_b32 s19, s29, s15
	s_cselect_b32 s18, s28, s7
	s_xor_b64 s[20:21], s[24:25], 0
	s_xor_b64 s[18:19], s[18:19], s[20:21]
	s_sub_u32 s18, s18, s20
	s_cbranch_execnz .LBB27_6
.LBB27_5:
	v_cvt_f32_u32_e32 v1, s22
	s_sub_i32 s7, 0, s22
	v_rcp_iflag_f32_e32 v1, v1
	s_nop 0
	v_mul_f32_e32 v1, 0x4f7ffffe, v1
	v_cvt_u32_f32_e32 v1, v1
	s_waitcnt lgkmcnt(0)
	v_readfirstlane_b32 s15, v1
	s_mul_i32 s7, s7, s15
	s_mul_hi_u32 s7, s15, s7
	s_add_i32 s15, s15, s7
	s_mul_hi_u32 s7, s5, s15
	s_mul_i32 s16, s7, s22
	s_sub_i32 s5, s5, s16
	s_add_i32 s15, s7, 1
	s_sub_i32 s16, s5, s22
	s_cmp_ge_u32 s5, s22
	s_cselect_b32 s7, s15, s7
	s_cselect_b32 s5, s16, s5
	s_add_i32 s15, s7, 1
	s_cmp_ge_u32 s5, s22
	s_cselect_b32 s18, s15, s7
.LBB27_6:
	s_cmp_eq_u32 s6, s18
	s_waitcnt lgkmcnt(0)
	s_mul_hi_u32 s5, s6, s12
	s_cselect_b64 s[16:17], -1, 0
	s_add_i32 s5, s5, s6
	s_lshr_b32 s7, s5, s13
	s_mul_i32 s5, s7, s14
	s_cmp_eq_u32 s5, s6
	s_mul_hi_u32 s5, s18, s12
	s_cselect_b64 s[20:21], -1, 0
	s_add_i32 s5, s5, s18
	s_lshr_b32 s5, s5, s13
	s_cmp_eq_u32 s7, s5
	s_mul_i32 s5, s5, s14
	s_cselect_b64 s[24:25], -1, 0
	s_cmp_lg_u32 s5, s18
	s_cselect_b64 s[18:19], -1, 0
	s_and_b64 s[18:19], s[24:25], s[18:19]
	s_or_b64 s[16:17], s[16:17], s[20:21]
	s_or_b64 s[16:17], s[16:17], s[18:19]
	s_and_b64 vcc, exec, s[16:17]
	s_cbranch_vccnz .LBB27_23
; %bb.7:
	s_load_dwordx8 s[24:31], s[0:1], 0x20
	s_load_dword s15, s[0:1], 0x40
	s_waitcnt lgkmcnt(0)
	s_mul_hi_u32 s5, s6, s24
	s_add_i32 s5, s5, s6
	s_lshr_b32 s5, s5, s25
	s_mul_i32 s16, s5, s26
	s_sub_i32 s16, s6, s16
	s_mul_hi_u32 s17, s16, s27
	s_add_i32 s17, s16, s17
	s_lshr_b32 s21, s17, s28
	s_mul_i32 s17, s21, s29
	s_sub_i32 s16, s16, s17
	;; [unrolled: 5-line block ×3, first 2 shown]
	s_mul_hi_u32 s16, s15, s12
	s_add_i32 s15, s15, s16
	s_lshr_b32 s23, s15, s13
	s_lshl_b32 s15, s23, 5
	s_add_i32 s15, s15, s3
	s_cmp_lt_i32 s15, s8
	s_cselect_b64 s[16:17], -1, 0
	s_add_i32 s15, s20, s4
	s_cmp_lt_i32 s15, s10
	s_cselect_b64 s[18:19], -1, 0
	s_and_b64 s[16:17], s[16:17], s[18:19]
	s_andn2_b64 vcc, exec, s[16:17]
	s_cbranch_vccnz .LBB27_23
; %bb.8:
	s_load_dwordx4 s[16:19], s[0:1], 0x0
	s_mov_b32 s0, 0
	s_lshl_b32 s24, s22, 7
	s_mov_b32 s25, s0
	s_add_i32 s15, s3, s4
	s_waitcnt lgkmcnt(0)
	v_mov_b32_e32 v2, s16
	v_mov_b32_e32 v3, s17
	s_lshl_b64 s[16:17], s[24:25], 2
	s_add_u32 s16, s18, s16
	s_mul_i32 s1, s5, s8
	s_addc_u32 s17, s19, s17
	s_add_i32 s1, s1, s3
	s_mul_i32 s1, s1, s9
	s_mul_i32 s21, s21, s10
	s_add_i32 s1, s1, s4
	s_add_i32 s1, s1, s21
	s_mul_i32 s5, s9, s23
	s_add_i32 s1, s1, s20
	s_lshl_b32 s5, s5, 12
	s_lshl_b32 s1, s1, 7
	s_add_i32 s5, s5, s1
	v_or_b32_e32 v4, s5, v0
	v_ashrrev_i32_e32 v5, 31, v4
	v_lshl_add_u64 v[2:3], v[4:5], 2, v[2:3]
	global_load_dword v1, v[2:3], off
	v_cvt_f32_u32_e32 v4, s22
	s_lshl_b32 s1, s2, 5
	s_add_i32 s4, s1, s15
	s_ashr_i32 s5, s4, 31
	s_lshl_b64 s[4:5], s[4:5], 3
	v_rcp_iflag_f32_e32 v4, v4
	s_add_u32 s4, s18, s4
	s_addc_u32 s5, s19, s5
	s_load_dwordx2 s[4:5], s[4:5], 0x0
	v_mul_f32_e32 v4, 0x4f7ffffe, v4
	v_cvt_u32_f32_e32 v7, v4
	s_add_i32 s24, s2, -1
	v_lshl_or_b32 v6, s15, 7, v0
	s_waitcnt lgkmcnt(0)
	v_mov_b32_e32 v0, s5
	v_mov_b32_e32 v9, s4
	s_mov_b32 s10, 0x3fb8aa3b
	s_mov_b32 s20, 0xc2ce8ed0
	;; [unrolled: 1-line block ×4, first 2 shown]
	v_mov_b32_e32 v8, 0x7f800000
	s_mul_hi_i32 s1, s24, s11
	s_cmp_lg_u64 s[0:1], 0
	s_mul_i32 s8, s24, s11
	s_cbranch_scc0 .LBB27_19
.LBB27_9:
	s_add_u32 s2, s22, 0
	s_addc_u32 s3, 0, 0
	s_xor_b64 s[2:3], s[2:3], 0
	v_cvt_f32_u32_e32 v4, s2
	v_cvt_f32_u32_e32 v5, s3
	s_sub_u32 s9, 0, s2
	s_subb_u32 s25, 0, s3
	v_fmac_f32_e32 v4, 0x4f800000, v5
	v_rcp_f32_e32 v4, v4
	s_nop 0
	v_mul_f32_e32 v4, 0x5f7ffffc, v4
	v_mul_f32_e32 v5, 0x2f800000, v4
	v_trunc_f32_e32 v5, v5
	v_fmac_f32_e32 v4, 0xcf800000, v5
	v_cvt_u32_f32_e32 v5, v5
	v_cvt_u32_f32_e32 v4, v4
	v_readfirstlane_b32 s26, v5
	v_readfirstlane_b32 s4, v4
	s_mul_i32 s5, s9, s26
	s_mul_hi_u32 s28, s9, s4
	s_mul_i32 s27, s25, s4
	s_add_i32 s5, s28, s5
	s_mul_i32 s29, s9, s4
	s_add_i32 s5, s5, s27
	s_mul_i32 s28, s4, s5
	s_mul_hi_u32 s30, s4, s29
	s_mul_hi_u32 s27, s4, s5
	s_add_u32 s28, s30, s28
	s_addc_u32 s27, 0, s27
	s_mul_hi_u32 s31, s26, s29
	s_mul_i32 s29, s26, s29
	s_add_u32 s28, s28, s29
	s_mul_hi_u32 s30, s26, s5
	s_addc_u32 s27, s27, s31
	s_addc_u32 s28, s30, 0
	s_mul_i32 s5, s26, s5
	s_add_u32 s5, s27, s5
	s_addc_u32 s27, 0, s28
	s_add_u32 s28, s4, s5
	s_cselect_b64 s[4:5], -1, 0
	s_cmp_lg_u64 s[4:5], 0
	s_addc_u32 s26, s26, s27
	s_mul_i32 s4, s9, s26
	s_mul_hi_u32 s5, s9, s28
	s_add_i32 s4, s5, s4
	s_mul_i32 s25, s25, s28
	s_add_i32 s4, s4, s25
	s_mul_i32 s9, s9, s28
	s_mul_hi_u32 s25, s26, s9
	s_mul_i32 s27, s26, s9
	s_mul_i32 s30, s28, s4
	s_mul_hi_u32 s9, s28, s9
	s_mul_hi_u32 s29, s28, s4
	s_add_u32 s9, s9, s30
	s_addc_u32 s29, 0, s29
	s_add_u32 s9, s9, s27
	s_mul_hi_u32 s5, s26, s4
	s_addc_u32 s9, s29, s25
	s_addc_u32 s5, s5, 0
	s_mul_i32 s4, s26, s4
	s_add_u32 s4, s9, s4
	s_addc_u32 s9, 0, s5
	s_add_u32 s25, s28, s4
	s_cselect_b64 s[4:5], -1, 0
	s_cmp_lg_u64 s[4:5], 0
	s_addc_u32 s9, s26, s9
	s_ashr_i32 s4, s1, 31
	s_add_u32 s26, s8, s4
	s_mov_b32 s5, s4
	s_addc_u32 s27, s1, s4
	s_xor_b64 s[26:27], s[26:27], s[4:5]
	s_mul_i32 s28, s26, s9
	s_mul_hi_u32 s29, s26, s25
	s_mul_hi_u32 s1, s26, s9
	s_add_u32 s28, s29, s28
	s_addc_u32 s1, 0, s1
	s_mul_hi_u32 s30, s27, s25
	s_mul_i32 s25, s27, s25
	s_add_u32 s25, s28, s25
	s_mul_hi_u32 s29, s27, s9
	s_addc_u32 s1, s1, s30
	s_addc_u32 s25, s29, 0
	s_mul_i32 s9, s27, s9
	s_add_u32 s1, s1, s9
	s_addc_u32 s9, 0, s25
	s_mul_i32 s25, s2, s9
	s_mul_hi_u32 s28, s2, s1
	s_add_i32 s25, s28, s25
	s_mul_i32 s28, s3, s1
	s_add_i32 s25, s25, s28
	s_sub_i32 s30, s27, s25
	s_mul_i32 s28, s2, s1
	s_sub_u32 s26, s26, s28
	s_cselect_b64 s[28:29], -1, 0
	s_cmp_lg_u64 s[28:29], 0
	s_subb_u32 s33, s30, s3
	s_sub_u32 s34, s26, s2
	s_cselect_b64 s[30:31], -1, 0
	s_cmp_lg_u64 s[30:31], 0
	s_subb_u32 s30, s33, 0
	s_cmp_ge_u32 s30, s3
	s_cselect_b32 s31, -1, 0
	s_cmp_ge_u32 s34, s2
	s_cselect_b32 s33, -1, 0
	s_cmp_eq_u32 s30, s3
	s_cselect_b32 s30, s33, s31
	s_add_u32 s31, s1, 1
	s_addc_u32 s33, s9, 0
	s_add_u32 s34, s1, 2
	s_addc_u32 s35, s9, 0
	s_cmp_lg_u32 s30, 0
	s_cselect_b32 s30, s34, s31
	s_cselect_b32 s31, s35, s33
	s_cmp_lg_u64 s[28:29], 0
	s_subb_u32 s25, s27, s25
	s_cmp_ge_u32 s25, s3
	s_cselect_b32 s27, -1, 0
	s_cmp_ge_u32 s26, s2
	s_cselect_b32 s2, -1, 0
	s_cmp_eq_u32 s25, s3
	s_cselect_b32 s2, s2, s27
	s_cmp_lg_u32 s2, 0
	s_cselect_b32 s3, s31, s9
	s_cselect_b32 s2, s30, s1
	s_xor_b64 s[4:5], s[4:5], 0
	s_xor_b64 s[2:3], s[2:3], s[4:5]
	s_sub_u32 s4, s2, s4
	s_cbranch_execnz .LBB27_11
.LBB27_10:
	s_sub_i32 s1, 0, s22
	v_readfirstlane_b32 s2, v7
	s_mul_i32 s1, s1, s2
	s_mul_hi_u32 s1, s2, s1
	s_add_i32 s2, s2, s1
	s_mul_hi_u32 s1, s8, s2
	s_mul_i32 s3, s1, s22
	s_sub_i32 s3, s8, s3
	s_add_i32 s2, s1, 1
	s_sub_i32 s4, s3, s22
	s_cmp_ge_u32 s3, s22
	s_cselect_b32 s1, s2, s1
	s_cselect_b32 s3, s4, s3
	s_add_i32 s2, s1, 1
	s_cmp_ge_u32 s3, s22
	s_cselect_b32 s4, s2, s1
.LBB27_11:
	s_cmp_lg_u32 s6, s4
	s_cbranch_scc0 .LBB27_15
; %bb.12:
	s_add_i32 s1, s24, s22
	s_lshl_b32 s1, s1, 5
	s_add_i32 s2, s1, s15
	s_mov_b32 s3, s0
	s_lshl_b64 s[2:3], s[2:3], 3
	s_add_u32 s8, s18, s2
	s_mul_hi_u32 s1, s4, s12
	s_addc_u32 s9, s19, s3
	s_add_i32 s1, s1, s4
	s_lshr_b32 s1, s1, s13
	s_mul_i32 s2, s1, s14
	s_cmp_eq_u32 s2, s4
	s_cselect_b64 s[2:3], -1, 0
	s_cmp_lt_u32 s1, s7
	s_cselect_b64 s[26:27], -1, 0
	s_or_b64 s[26:27], s[26:27], s[2:3]
	s_mov_b64 s[2:3], -1
	s_and_b64 vcc, exec, s[26:27]
	s_mov_b32 s1, s24
	s_mov_b32 s25, s6
	s_cbranch_vccnz .LBB27_14
; %bb.13:
	s_add_i32 s1, s24, -1
	s_mov_b64 s[2:3], 0
	s_mov_b32 s25, s4
.LBB27_14:
	v_lshl_add_u32 v4, s24, 12, v6
	v_ashrrev_i32_e32 v5, 31, v4
	v_lshl_add_u64 v[4:5], v[4:5], 2, s[16:17]
	global_load_dword v5, v[4:5], off
	s_load_dwordx2 s[4:5], s[8:9], 0x0
	v_max_f32_e32 v4, v9, v9
	s_waitcnt lgkmcnt(0)
	v_max_f32_e64 v10, s4, s4
	v_max_f32_e32 v10, v4, v10
	v_sub_f32_e32 v11, v9, v10
	v_sub_f32_e32 v13, s4, v10
	v_mul_f32_e32 v4, 0x3fb8aa3b, v11
	v_mul_f32_e32 v12, 0x3fb8aa3b, v13
	v_fma_f32 v14, v11, s10, -v4
	v_rndne_f32_e32 v15, v4
	v_fma_f32 v16, v13, s10, -v12
	v_rndne_f32_e32 v17, v12
	v_fmac_f32_e32 v14, 0x32a5705f, v11
	v_sub_f32_e32 v4, v4, v15
	v_fmac_f32_e32 v16, 0x32a5705f, v13
	v_sub_f32_e32 v12, v12, v17
	v_add_f32_e32 v4, v4, v14
	v_cvt_i32_f32_e32 v15, v15
	v_add_f32_e32 v12, v12, v16
	v_exp_f32_e32 v14, v4
	v_cvt_i32_f32_e32 v17, v17
	v_exp_f32_e32 v12, v12
	v_cmp_ngt_f32_e32 vcc, s20, v11
	v_ldexp_f32 v14, v14, v15
	v_mov_b32_e32 v4, s5
	v_ldexp_f32 v12, v12, v17
	v_cndmask_b32_e32 v14, 0, v14, vcc
	v_cmp_ngt_f32_e32 vcc, s20, v13
	s_nop 1
	v_cndmask_b32_e32 v12, 0, v12, vcc
	v_cmp_nlt_f32_e32 vcc, s21, v11
	s_nop 1
	v_cndmask_b32_e32 v14, v8, v14, vcc
	v_cmp_nlt_f32_e32 vcc, s21, v13
	s_nop 1
	v_cndmask_b32_e32 v15, v8, v12, vcc
	v_cmp_le_f32_e32 vcc, s23, v11
	s_nop 1
	v_cndmask_b32_e32 v12, 0, v14, vcc
	v_cmp_le_f32_e32 vcc, s23, v13
	s_nop 1
	v_cndmask_b32_e32 v14, 0, v15, vcc
	s_waitcnt vmcnt(0)
	v_pk_mul_f32 v[4:5], v[4:5], v[14:15] op_sel_hi:[1,0]
	s_nop 0
	v_pk_fma_f32 v[4:5], v[0:1], v[12:13], v[4:5] op_sel_hi:[1,0,1]
	s_cbranch_execz .LBB27_16
	s_branch .LBB27_17
.LBB27_15:
                                        ; implicit-def: $vgpr4_vgpr5
                                        ; implicit-def: $sgpr2_sgpr3
                                        ; implicit-def: $vgpr10
                                        ; implicit-def: $sgpr1
                                        ; implicit-def: $sgpr25
.LBB27_16:
	s_add_i32 s1, s24, -1
	s_mov_b64 s[2:3], 0
	s_mov_b32 s25, s6
	v_mov_b32_e32 v10, v9
	s_waitcnt vmcnt(0)
	v_mov_b64_e32 v[4:5], v[0:1]
.LBB27_17:
	s_andn2_b64 vcc, exec, s[2:3]
	s_cbranch_vccz .LBB27_22
; %bb.18:
	s_mov_b32 s6, s25
	s_mov_b32 s24, s1
	v_mov_b32_e32 v9, v10
	s_waitcnt vmcnt(0)
	v_mov_b64_e32 v[0:1], v[4:5]
	s_mul_hi_i32 s1, s24, s11
	s_cmp_lg_u64 s[0:1], 0
	s_mul_i32 s8, s24, s11
	s_cbranch_scc1 .LBB27_9
.LBB27_19:
                                        ; implicit-def: $sgpr4_sgpr5
	s_branch .LBB27_10
.LBB27_20:
                                        ; implicit-def: $sgpr6_sgpr7
	s_load_dwordx4 s[12:15], s[0:1], 0x44
	s_branch .LBB27_2
.LBB27_21:
                                        ; implicit-def: $sgpr18_sgpr19
	s_branch .LBB27_5
.LBB27_22:
	v_div_scale_f32 v0, s[0:1], v4, v4, v5
	s_waitcnt vmcnt(0)
	v_rcp_f32_e32 v1, v0
	v_div_scale_f32 v6, vcc, v5, v4, v5
	v_fma_f32 v7, -v0, v1, 1.0
	v_fmac_f32_e32 v1, v7, v1
	v_mul_f32_e32 v7, v6, v1
	v_fma_f32 v8, -v0, v7, v6
	v_fmac_f32_e32 v7, v8, v1
	v_fma_f32 v0, -v0, v7, v6
	v_div_fmas_f32 v0, v0, v1, v7
	v_div_fixup_f32 v0, v0, v4, v5
	global_store_dword v[2:3], v0, off
.LBB27_23:
	s_endpgm
	.section	.rodata,"a",@progbits
	.p2align	6, 0x0
	.amdhsa_kernel _ZL33flash_attn_stream_k_fixup_generalILi128ELi32ELi1EEvPfPK15HIP_vector_typeIfLj2EEiiiiS1_IjLj3EES5_S5_S5_
		.amdhsa_group_segment_fixed_size 0
		.amdhsa_private_segment_fixed_size 0
		.amdhsa_kernarg_size 336
		.amdhsa_user_sgpr_count 2
		.amdhsa_user_sgpr_dispatch_ptr 0
		.amdhsa_user_sgpr_queue_ptr 0
		.amdhsa_user_sgpr_kernarg_segment_ptr 1
		.amdhsa_user_sgpr_dispatch_id 0
		.amdhsa_user_sgpr_kernarg_preload_length 0
		.amdhsa_user_sgpr_kernarg_preload_offset 0
		.amdhsa_user_sgpr_private_segment_size 0
		.amdhsa_uses_dynamic_stack 0
		.amdhsa_enable_private_segment 0
		.amdhsa_system_sgpr_workgroup_id_x 1
		.amdhsa_system_sgpr_workgroup_id_y 1
		.amdhsa_system_sgpr_workgroup_id_z 1
		.amdhsa_system_sgpr_workgroup_info 0
		.amdhsa_system_vgpr_workitem_id 0
		.amdhsa_next_free_vgpr 18
		.amdhsa_next_free_sgpr 36
		.amdhsa_accum_offset 20
		.amdhsa_reserve_vcc 1
		.amdhsa_float_round_mode_32 0
		.amdhsa_float_round_mode_16_64 0
		.amdhsa_float_denorm_mode_32 3
		.amdhsa_float_denorm_mode_16_64 3
		.amdhsa_dx10_clamp 1
		.amdhsa_ieee_mode 1
		.amdhsa_fp16_overflow 0
		.amdhsa_tg_split 0
		.amdhsa_exception_fp_ieee_invalid_op 0
		.amdhsa_exception_fp_denorm_src 0
		.amdhsa_exception_fp_ieee_div_zero 0
		.amdhsa_exception_fp_ieee_overflow 0
		.amdhsa_exception_fp_ieee_underflow 0
		.amdhsa_exception_fp_ieee_inexact 0
		.amdhsa_exception_int_div_zero 0
	.end_amdhsa_kernel
	.section	.text._ZL33flash_attn_stream_k_fixup_generalILi128ELi32ELi1EEvPfPK15HIP_vector_typeIfLj2EEiiiiS1_IjLj3EES5_S5_S5_,"axG",@progbits,_ZL33flash_attn_stream_k_fixup_generalILi128ELi32ELi1EEvPfPK15HIP_vector_typeIfLj2EEiiiiS1_IjLj3EES5_S5_S5_,comdat
.Lfunc_end27:
	.size	_ZL33flash_attn_stream_k_fixup_generalILi128ELi32ELi1EEvPfPK15HIP_vector_typeIfLj2EEiiiiS1_IjLj3EES5_S5_S5_, .Lfunc_end27-_ZL33flash_attn_stream_k_fixup_generalILi128ELi32ELi1EEvPfPK15HIP_vector_typeIfLj2EEiiiiS1_IjLj3EES5_S5_S5_
                                        ; -- End function
	.set _ZL33flash_attn_stream_k_fixup_generalILi128ELi32ELi1EEvPfPK15HIP_vector_typeIfLj2EEiiiiS1_IjLj3EES5_S5_S5_.num_vgpr, 18
	.set _ZL33flash_attn_stream_k_fixup_generalILi128ELi32ELi1EEvPfPK15HIP_vector_typeIfLj2EEiiiiS1_IjLj3EES5_S5_S5_.num_agpr, 0
	.set _ZL33flash_attn_stream_k_fixup_generalILi128ELi32ELi1EEvPfPK15HIP_vector_typeIfLj2EEiiiiS1_IjLj3EES5_S5_S5_.numbered_sgpr, 36
	.set _ZL33flash_attn_stream_k_fixup_generalILi128ELi32ELi1EEvPfPK15HIP_vector_typeIfLj2EEiiiiS1_IjLj3EES5_S5_S5_.num_named_barrier, 0
	.set _ZL33flash_attn_stream_k_fixup_generalILi128ELi32ELi1EEvPfPK15HIP_vector_typeIfLj2EEiiiiS1_IjLj3EES5_S5_S5_.private_seg_size, 0
	.set _ZL33flash_attn_stream_k_fixup_generalILi128ELi32ELi1EEvPfPK15HIP_vector_typeIfLj2EEiiiiS1_IjLj3EES5_S5_S5_.uses_vcc, 1
	.set _ZL33flash_attn_stream_k_fixup_generalILi128ELi32ELi1EEvPfPK15HIP_vector_typeIfLj2EEiiiiS1_IjLj3EES5_S5_S5_.uses_flat_scratch, 0
	.set _ZL33flash_attn_stream_k_fixup_generalILi128ELi32ELi1EEvPfPK15HIP_vector_typeIfLj2EEiiiiS1_IjLj3EES5_S5_S5_.has_dyn_sized_stack, 0
	.set _ZL33flash_attn_stream_k_fixup_generalILi128ELi32ELi1EEvPfPK15HIP_vector_typeIfLj2EEiiiiS1_IjLj3EES5_S5_S5_.has_recursion, 0
	.set _ZL33flash_attn_stream_k_fixup_generalILi128ELi32ELi1EEvPfPK15HIP_vector_typeIfLj2EEiiiiS1_IjLj3EES5_S5_S5_.has_indirect_call, 0
	.section	.AMDGPU.csdata,"",@progbits
; Kernel info:
; codeLenInByte = 2932
; TotalNumSgprs: 42
; NumVgprs: 18
; NumAgprs: 0
; TotalNumVgprs: 18
; ScratchSize: 0
; MemoryBound: 0
; FloatMode: 240
; IeeeMode: 1
; LDSByteSize: 0 bytes/workgroup (compile time only)
; SGPRBlocks: 5
; VGPRBlocks: 2
; NumSGPRsForWavesPerEU: 42
; NumVGPRsForWavesPerEU: 18
; AccumOffset: 20
; Occupancy: 8
; WaveLimiterHint : 0
; COMPUTE_PGM_RSRC2:SCRATCH_EN: 0
; COMPUTE_PGM_RSRC2:USER_SGPR: 2
; COMPUTE_PGM_RSRC2:TRAP_HANDLER: 0
; COMPUTE_PGM_RSRC2:TGID_X_EN: 1
; COMPUTE_PGM_RSRC2:TGID_Y_EN: 1
; COMPUTE_PGM_RSRC2:TGID_Z_EN: 1
; COMPUTE_PGM_RSRC2:TIDIG_COMP_CNT: 0
; COMPUTE_PGM_RSRC3_GFX90A:ACCUM_OFFSET: 4
; COMPUTE_PGM_RSRC3_GFX90A:TG_SPLIT: 0
	.section	.text._ZL26flash_attn_combine_resultsILi128EEvPKfPK15HIP_vector_typeIfLj2EEPfi,"axG",@progbits,_ZL26flash_attn_combine_resultsILi128EEvPKfPK15HIP_vector_typeIfLj2EEPfi,comdat
	.globl	_ZL26flash_attn_combine_resultsILi128EEvPKfPK15HIP_vector_typeIfLj2EEPfi ; -- Begin function _ZL26flash_attn_combine_resultsILi128EEvPKfPK15HIP_vector_typeIfLj2EEPfi
	.p2align	8
	.type	_ZL26flash_attn_combine_resultsILi128EEvPKfPK15HIP_vector_typeIfLj2EEPfi,@function
_ZL26flash_attn_combine_resultsILi128EEvPKfPK15HIP_vector_typeIfLj2EEPfi: ; @_ZL26flash_attn_combine_resultsILi128EEvPKfPK15HIP_vector_typeIfLj2EEPfi
; %bb.0:
	s_load_dwordx2 s[6:7], s[0:1], 0x20
	s_load_dword s19, s[0:1], 0x18
	s_load_dwordx4 s[8:11], s[0:1], 0x0
	s_load_dwordx2 s[14:15], s[0:1], 0x10
	s_waitcnt lgkmcnt(0)
	s_mul_i32 s0, s6, s4
	s_add_i32 s0, s0, s2
	s_mul_i32 s18, s0, s7
	s_add_i32 s18, s18, s3
	s_lshl_b32 s20, s19, 1
	s_mul_i32 s2, s18, s19
	v_cmp_gt_i32_e32 vcc, s20, v0
	s_and_saveexec_b64 s[0:1], vcc
	s_cbranch_execz .LBB28_13
; %bb.1:
	v_xad_u32 v1, v0, -1, s20
	s_movk_i32 s4, 0x7f
	s_ashr_i32 s3, s2, 31
	v_cmp_lt_u32_e32 vcc, s4, v1
	s_mov_b64 s[6:7], -1
	v_mov_b32_e32 v2, v0
	s_and_saveexec_b64 s[4:5], vcc
	s_cbranch_execz .LBB28_10
; %bb.2:
	v_lshrrev_b32_e32 v6, 7, v1
	s_lshl_b64 s[6:7], s[2:3], 3
	v_add_u32_e32 v2, -1, v6
	s_add_u32 s6, s10, s6
	v_or_b32_e32 v1, 0x80, v0
	v_lshrrev_b32_e32 v3, 1, v2
	s_addc_u32 s7, s11, s7
	s_mov_b32 s21, 0
	v_add_u32_e32 v7, 1, v3
	v_cmp_lt_u32_e32 vcc, 13, v2
	v_mov_b32_e32 v4, 0
	v_mov_b64_e32 v[2:3], v[0:1]
	s_and_saveexec_b64 s[12:13], vcc
	s_cbranch_execz .LBB28_6
; %bb.3:
	v_and_b32_e32 v8, -8, v7
	v_lshl_add_u32 v9, v0, 2, 0
	s_mov_b64 s[16:17], 0
	v_mov_b32_e32 v5, 0
	v_mov_b64_e32 v[2:3], v[0:1]
.LBB28_4:                               ; =>This Inner Loop Header: Depth=1
	v_mov_b32_e32 v4, v2
	v_lshl_add_u64 v[24:25], v[4:5], 2, s[6:7]
	v_mov_b32_e32 v4, v3
	v_add_u32_e32 v10, 0x100, v3
	v_mov_b32_e32 v11, v5
	v_lshl_add_u64 v[26:27], v[4:5], 2, s[6:7]
	v_add_u32_e32 v4, 0x100, v2
	v_lshl_add_u64 v[10:11], v[10:11], 2, s[6:7]
	global_load_dword v1, v[24:25], off
	v_lshl_add_u64 v[24:25], v[4:5], 2, s[6:7]
	v_add_u32_e32 v4, 0x200, v2
	global_load_dword v28, v[26:27], off
	global_load_dword v29, v[24:25], off
	;; [unrolled: 1-line block ×3, first 2 shown]
	v_lshl_add_u64 v[10:11], v[4:5], 2, s[6:7]
	v_add_u32_e32 v4, 0x300, v2
	v_add_u32_e32 v12, 0x200, v3
	v_mov_b32_e32 v13, v5
	v_add_u32_e32 v14, 0x300, v3
	v_mov_b32_e32 v15, v5
	v_lshl_add_u64 v[24:25], v[4:5], 2, s[6:7]
	v_add_u32_e32 v4, 0x400, v2
	v_lshl_add_u64 v[12:13], v[12:13], 2, s[6:7]
	v_lshl_add_u64 v[14:15], v[14:15], 2, s[6:7]
	global_load_dword v26, v[10:11], off
	global_load_dword v27, v[12:13], off
	;; [unrolled: 1-line block ×4, first 2 shown]
	v_lshl_add_u64 v[10:11], v[4:5], 2, s[6:7]
	v_add_u32_e32 v4, 0x500, v2
	v_add_u32_e32 v16, 0x400, v3
	v_mov_b32_e32 v17, v5
	v_add_u32_e32 v18, 0x500, v3
	v_mov_b32_e32 v19, v5
	v_lshl_add_u64 v[12:13], v[4:5], 2, s[6:7]
	v_add_u32_e32 v4, 0x600, v2
	v_add_u32_e32 v20, 0x600, v3
	v_mov_b32_e32 v21, v5
	v_add_u32_e32 v22, 0x700, v3
	v_mov_b32_e32 v23, v5
	v_lshl_add_u64 v[16:17], v[16:17], 2, s[6:7]
	v_lshl_add_u64 v[18:19], v[18:19], 2, s[6:7]
	global_load_dword v14, v[10:11], off
	global_load_dword v15, v[16:17], off
	;; [unrolled: 1-line block ×4, first 2 shown]
	v_lshl_add_u64 v[10:11], v[4:5], 2, s[6:7]
	v_add_u32_e32 v4, 0x700, v2
	v_lshl_add_u64 v[20:21], v[20:21], 2, s[6:7]
	v_lshl_add_u64 v[22:23], v[22:23], 2, s[6:7]
	;; [unrolled: 1-line block ×3, first 2 shown]
	global_load_dword v16, v[10:11], off
	global_load_dword v17, v[20:21], off
	;; [unrolled: 1-line block ×4, first 2 shown]
	v_add_u32_e32 v8, -8, v8
	s_add_i32 s21, s21, 16
	v_cmp_eq_u32_e32 vcc, 0, v8
	v_add_u32_e32 v3, 0x800, v3
	v_mov_b32_e32 v4, s21
	s_or_b64 s[16:17], vcc, s[16:17]
	v_add_u32_e32 v2, 0x800, v2
	s_waitcnt vmcnt(14)
	ds_write2st64_b32 v9, v1, v28 offset1:2
	s_waitcnt vmcnt(12)
	ds_write2st64_b32 v9, v29, v30 offset0:4 offset1:6
	s_waitcnt vmcnt(10)
	ds_write2st64_b32 v9, v26, v27 offset0:8 offset1:10
	;; [unrolled: 2-line block ×7, first 2 shown]
	v_add_u32_e32 v9, 0x2000, v9
	s_andn2_b64 exec, exec, s[16:17]
	s_cbranch_execnz .LBB28_4
; %bb.5:
	s_or_b64 exec, exec, s[16:17]
.LBB28_6:
	s_or_b64 exec, exec, s[12:13]
	v_and_b32_e32 v1, 7, v7
	v_cmp_ne_u32_e32 vcc, 0, v1
	s_and_saveexec_b64 s[12:13], vcc
	s_cbranch_execz .LBB28_9
; %bb.7:
	v_lshlrev_b32_e32 v5, 2, v0
	v_lshl_or_b32 v4, v4, 9, v5
	v_add_u32_e32 v7, 0, v4
	s_mov_b64 s[16:17], 0
	v_mov_b32_e32 v5, 0
.LBB28_8:                               ; =>This Inner Loop Header: Depth=1
	v_mov_b32_e32 v4, v2
	v_lshl_add_u64 v[8:9], v[4:5], 2, s[6:7]
	v_mov_b32_e32 v4, v3
	v_lshl_add_u64 v[10:11], v[4:5], 2, s[6:7]
	global_load_dword v4, v[8:9], off
	global_load_dword v12, v[10:11], off
	v_add_u32_e32 v1, -1, v1
	v_cmp_eq_u32_e32 vcc, 0, v1
	v_add_u32_e32 v2, 0x100, v2
	v_add_u32_e32 v3, 0x100, v3
	s_or_b64 s[16:17], vcc, s[16:17]
	s_waitcnt vmcnt(0)
	ds_write2st64_b32 v7, v4, v12 offset1:2
	v_add_u32_e32 v7, 0x400, v7
	s_andn2_b64 exec, exec, s[16:17]
	s_cbranch_execnz .LBB28_8
.LBB28_9:
	s_or_b64 exec, exec, s[12:13]
	v_add_u32_e32 v1, 1, v6
	v_and_b32_e32 v3, 0x3fffffe, v1
	v_cmp_ne_u32_e32 vcc, v1, v3
	v_lshl_or_b32 v2, v3, 7, v0
	s_orn2_b64 s[6:7], vcc, exec
.LBB28_10:
	s_or_b64 exec, exec, s[4:5]
	s_and_b64 exec, exec, s[6:7]
	s_cbranch_execz .LBB28_13
; %bb.11:
	s_lshl_b64 s[4:5], s[2:3], 3
	s_add_u32 s4, s10, s4
	v_mov_b32_e32 v3, 0
	s_addc_u32 s5, s11, s5
	v_lshl_add_u64 v[4:5], v[2:3], 2, s[4:5]
	v_lshl_add_u32 v1, v2, 2, 0
	s_mov_b64 s[4:5], 0
	s_mov_b64 s[6:7], 0x200
.LBB28_12:                              ; =>This Inner Loop Header: Depth=1
	global_load_dword v3, v[4:5], off
	v_add_u32_e32 v2, 0x80, v2
	v_cmp_le_i32_e32 vcc, s20, v2
	v_lshl_add_u64 v[4:5], v[4:5], 0, s[6:7]
	s_or_b64 s[4:5], vcc, s[4:5]
	s_waitcnt vmcnt(0)
	ds_write_b32 v1, v3
	v_add_u32_e32 v1, 0x200, v1
	s_andn2_b64 exec, exec, s[4:5]
	s_cbranch_execnz .LBB28_12
.LBB28_13:
	s_or_b64 exec, exec, s[0:1]
	v_mov_b32_e32 v1, 0
	s_waitcnt lgkmcnt(0)
	s_barrier
	ds_read_b32 v1, v1
	s_cmp_lt_i32 s19, 2
	s_cbranch_scc1 .LBB28_21
; %bb.14:
	s_cmp_eq_u32 s19, 2
	s_cbranch_scc1 .LBB28_18
; %bb.15:
	s_add_i32 s3, s19, -1
	s_and_b32 s4, s3, -2
	s_add_i32 s6, 0, 8
	s_mov_b32 s5, 2
	s_waitcnt lgkmcnt(0)
	v_mov_b32_e32 v4, v1
.LBB28_16:                              ; =>This Inner Loop Header: Depth=1
	v_mov_b32_e32 v2, v1
	v_mov_b32_e32 v1, s6
	;; [unrolled: 1-line block ×3, first 2 shown]
	ds_read2_b32 v[4:5], v1 offset1:2
	s_cmp_lg_u32 s4, s5
	s_cselect_b64 s[10:11], -1, 0
	v_max_f32_e32 v1, v3, v3
	v_max_f32_e32 v6, v2, v2
	s_waitcnt lgkmcnt(0)
	v_cmp_u_f32_e32 vcc, v5, v5
	v_max_f32_e32 v7, v5, v5
	v_max_f32_e32 v8, v4, v4
	v_cndmask_b32_e64 v5, 0, 1, vcc
	v_cmp_u_f32_e32 vcc, v4, v4
	v_readfirstlane_b32 s0, v5
	s_lshl_b32 s0, s0, 1
	v_cndmask_b32_e64 v9, 0, 1, vcc
	v_max_f32_e32 v4, v1, v7
	v_readfirstlane_b32 s1, v9
	s_or_b32 s0, s1, s0
	s_and_b32 s7, s0, 3
	s_cmp_lg_u32 s7, 0
	s_cselect_b64 s[0:1], -1, 0
	s_cmp_eq_u32 s7, 0
	s_cselect_b64 s[12:13], -1, 0
	s_and_b64 s[10:11], s[12:13], s[10:11]
	v_max_f32_e32 v1, v6, v8
	s_add_i32 s5, s5, 2
	s_add_i32 s6, s6, 16
	s_and_b64 vcc, exec, s[10:11]
	s_cbranch_vccnz .LBB28_16
; %bb.17:
	s_add_i32 s5, s5, -4
	s_and_b64 s[6:7], s[0:1], exec
	s_cselect_b32 s5, s5, s3
	s_or_b32 s5, s5, 1
	v_cndmask_b32_e64 v1, v1, v2, s[0:1]
	v_cndmask_b32_e64 v2, v4, v3, s[0:1]
	s_cmp_lg_u32 s3, s4
	v_max_f32_e32 v2, v2, v2
	v_max_f32_e32 v1, v1, v1
	s_cselect_b64 s[6:7], -1, 0
	v_max_f32_e32 v1, v1, v2
	s_or_b64 s[0:1], s[6:7], s[0:1]
	s_and_b64 vcc, exec, s[0:1]
	s_cbranch_vccnz .LBB28_19
	s_branch .LBB28_21
.LBB28_18:
	s_mov_b32 s5, 1
	s_cbranch_execz .LBB28_21
.LBB28_19:
	s_lshl_b32 s1, s5, 3
	s_sub_i32 s0, s19, s5
	s_add_i32 s1, s1, 0
.LBB28_20:                              ; =>This Inner Loop Header: Depth=1
	v_mov_b32_e32 v2, s1
	ds_read_b32 v2, v2
	s_waitcnt lgkmcnt(1)
	v_max_f32_e32 v1, v1, v1
	s_add_i32 s0, s0, -1
	s_add_i32 s1, s1, 8
	s_cmp_eq_u32 s0, 0
	s_waitcnt lgkmcnt(0)
	v_max_f32_e32 v2, v2, v2
	v_max_f32_e32 v1, v1, v2
	s_cbranch_scc0 .LBB28_20
.LBB28_21:
	s_cmp_lt_i32 s19, 1
	s_cbranch_scc1 .LBB28_26
; %bb.22:
	s_lshl_b32 s0, s2, 7
	s_ashr_i32 s1, s0, 31
	s_lshl_b64 s[0:1], s[0:1], 2
	s_add_u32 s16, s8, s0
	s_addc_u32 s17, s9, s1
	s_cmp_lt_u32 s19, 8
	s_cbranch_scc1 .LBB28_27
; %bb.23:
	v_mov_b32_e32 v7, 0
	s_and_b32 s20, s19, 0x7ffffff8
	v_or_b32_e32 v4, 0x380, v0
	s_mov_b32 s21, 0
	s_mov_b32 s22, 0x3fb8aa3b
	;; [unrolled: 1-line block ×4, first 2 shown]
	v_mov_b32_e32 v8, 0x7f800000
	s_mov_b32 s25, 0
	v_mov_b32_e32 v2, v7
	v_mov_b32_e32 v3, v7
.LBB28_24:                              ; =>This Inner Loop Header: Depth=1
	v_add_u32_e32 v6, 0xfffffc80, v4
	v_lshl_add_u64 v[26:27], v[6:7], 2, s[16:17]
	v_add_u32_e32 v6, 0xfffffd00, v4
	v_mov_b32_e32 v9, s21
	v_lshl_add_u64 v[30:31], v[6:7], 2, s[16:17]
	v_add_u32_e32 v6, 0xfffffd80, v4
	ds_read2_b64 v[10:13], v9 offset1:1
	ds_read2_b64 v[14:17], v9 offset0:2 offset1:3
	ds_read2_b64 v[18:21], v9 offset0:4 offset1:5
	;; [unrolled: 1-line block ×3, first 2 shown]
	global_load_dword v33, v[26:27], off
	global_load_dword v35, v[30:31], off
	v_lshl_add_u64 v[26:27], v[6:7], 2, s[16:17]
	v_add_u32_e32 v6, 0xfffffe00, v4
	v_lshl_add_u64 v[30:31], v[6:7], 2, s[16:17]
	v_add_u32_e32 v6, 0xfffffe80, v4
	global_load_dword v37, v[26:27], off
	global_load_dword v39, v[30:31], off
	v_lshl_add_u64 v[26:27], v[6:7], 2, s[16:17]
	v_add_u32_e32 v6, 0xffffff00, v4
	s_waitcnt lgkmcnt(3)
	v_mov_b32_e32 v32, v11
	v_sub_f32_e32 v9, v12, v1
	v_mov_b32_e32 v34, v13
	global_load_dword v11, v[26:27], off
	v_lshl_add_u64 v[12:13], v[6:7], 2, s[16:17]
	s_waitcnt lgkmcnt(2)
	v_mov_b32_e32 v36, v15
	v_add_u32_e32 v6, 0xffffff80, v4
	global_load_dword v15, v[12:13], off
	v_mov_b32_e32 v5, v7
	v_lshl_add_u64 v[12:13], v[6:7], 2, s[16:17]
	v_lshl_add_u64 v[28:29], v[4:5], 2, s[16:17]
	v_sub_f32_e32 v5, v10, v1
	v_mov_b32_e32 v38, v17
	s_waitcnt lgkmcnt(1)
	v_mov_b32_e32 v10, v19
	global_load_dword v17, v[12:13], off
	global_load_dword v19, v[28:29], off
	v_sub_f32_e32 v30, v14, v1
	v_sub_f32_e32 v31, v16, v1
	;; [unrolled: 1-line block ×3, first 2 shown]
	v_mov_b32_e32 v14, v21
	s_waitcnt lgkmcnt(0)
	v_sub_f32_e32 v21, v22, v1
	v_mov_b32_e32 v16, v23
	v_sub_f32_e32 v22, v24, v1
	v_mul_f32_e32 v23, 0x3fb8aa3b, v5
	v_mov_b32_e32 v18, v25
	v_mul_f32_e32 v24, 0x3fb8aa3b, v9
	v_mul_f32_e32 v25, 0x3fb8aa3b, v30
	;; [unrolled: 1-line block ×5, first 2 shown]
	v_fma_f32 v43, v5, s22, -v23
	v_rndne_f32_e32 v44, v23
	v_sub_f32_e32 v20, v20, v1
	v_fma_f32 v45, v9, s22, -v24
	v_rndne_f32_e32 v46, v24
	v_fma_f32 v47, v30, s22, -v25
	v_rndne_f32_e32 v48, v25
	;; [unrolled: 2-line block ×5, first 2 shown]
	v_fmac_f32_e32 v43, 0x32a5705f, v5
	v_sub_f32_e32 v12, v23, v44
	v_mul_f32_e32 v26, 0x3fb8aa3b, v31
	v_mul_f32_e32 v41, 0x3fb8aa3b, v20
	v_fmac_f32_e32 v45, 0x32a5705f, v9
	v_sub_f32_e32 v23, v24, v46
	v_fmac_f32_e32 v47, 0x32a5705f, v30
	v_sub_f32_e32 v25, v25, v48
	;; [unrolled: 2-line block ×5, first 2 shown]
	v_add_f32_e32 v12, v12, v43
	v_fma_f32 v49, v31, s22, -v26
	v_rndne_f32_e32 v50, v26
	v_fma_f32 v53, v20, s22, -v41
	v_rndne_f32_e32 v54, v41
	v_cvt_i32_f32_e32 v13, v44
	v_add_f32_e32 v23, v23, v45
	v_add_f32_e32 v25, v25, v47
	;; [unrolled: 1-line block ×5, first 2 shown]
	v_exp_f32_e32 v12, v12
	v_cvt_i32_f32_e32 v24, v46
	v_cvt_i32_f32_e32 v28, v48
	v_fmac_f32_e32 v49, 0x32a5705f, v31
	v_sub_f32_e32 v26, v26, v50
	v_cvt_i32_f32_e32 v29, v50
	v_cvt_i32_f32_e32 v44, v52
	v_fmac_f32_e32 v53, 0x32a5705f, v20
	v_sub_f32_e32 v41, v41, v54
	v_cvt_i32_f32_e32 v48, v56
	v_cvt_i32_f32_e32 v50, v58
	v_exp_f32_e32 v23, v23
	v_exp_f32_e32 v25, v25
	v_exp_f32_e32 v27, v27
	v_exp_f32_e32 v42, v42
	v_exp_f32_e32 v6, v6
	v_add_f32_e32 v26, v26, v49
	v_add_f32_e32 v41, v41, v53
	v_cvt_i32_f32_e32 v46, v54
	v_exp_f32_e32 v26, v26
	v_exp_f32_e32 v41, v41
	v_ldexp_f32 v12, v12, v13
	v_cmp_ngt_f32_e64 s[12:13], s23, v5
	v_ldexp_f32 v13, v23, v24
	v_cmp_ngt_f32_e32 vcc, s23, v9
	v_ldexp_f32 v23, v25, v28
	v_ldexp_f32 v25, v27, v44
	;; [unrolled: 1-line block ×3, first 2 shown]
	v_cmp_ngt_f32_e64 s[8:9], s23, v21
	v_ldexp_f32 v6, v6, v50
	v_cmp_ngt_f32_e64 s[10:11], s23, v22
	v_cndmask_b32_e64 v12, 0, v12, s[12:13]
	v_cmp_nlt_f32_e64 s[12:13], s24, v5
	v_cmp_ngt_f32_e64 s[0:1], s23, v30
	v_cndmask_b32_e32 v13, 0, v13, vcc
	v_cmp_nlt_f32_e32 vcc, s24, v9
	v_cndmask_b32_e64 v27, 0, v27, s[8:9]
	v_cmp_nlt_f32_e64 s[8:9], s24, v21
	v_cndmask_b32_e64 v21, 0, v6, s[10:11]
	v_cndmask_b32_e64 v6, v8, v12, s[12:13]
	v_ldexp_f32 v24, v26, v29
	v_cmp_ngt_f32_e64 s[2:3], s23, v31
	v_cmp_ngt_f32_e64 s[4:5], s23, v40
	v_ldexp_f32 v26, v41, v46
	v_cmp_ngt_f32_e64 s[6:7], s23, v20
	v_cndmask_b32_e64 v9, 0, v23, s[0:1]
	v_cmp_nlt_f32_e64 s[0:1], s24, v30
	v_cndmask_b32_e32 v12, v8, v13, vcc
	s_waitcnt vmcnt(7)
	v_pk_fma_f32 v[2:3], v[6:7], v[32:33], v[2:3] op_sel_hi:[0,1,1]
	v_cndmask_b32_e64 v23, 0, v24, s[2:3]
	v_cmp_nlt_f32_e64 s[2:3], s24, v31
	v_cndmask_b32_e64 v24, 0, v25, s[4:5]
	v_cndmask_b32_e64 v25, 0, v26, s[6:7]
	v_cmp_nlt_f32_e64 s[6:7], s24, v20
	v_cndmask_b32_e64 v20, v8, v9, s[0:1]
	s_waitcnt vmcnt(6)
	v_pk_fma_f32 v[2:3], v[12:13], v[34:35], v[2:3] op_sel_hi:[0,1,1]
	v_cmp_nlt_f32_e64 s[4:5], s24, v40
	v_cmp_nlt_f32_e64 s[10:11], s24, v22
	v_cndmask_b32_e64 v22, v8, v23, s[2:3]
	s_waitcnt vmcnt(5)
	v_pk_fma_f32 v[2:3], v[20:21], v[36:37], v[2:3] op_sel_hi:[0,1,1]
	v_cndmask_b32_e64 v24, v8, v24, s[4:5]
	s_waitcnt vmcnt(4)
	v_pk_fma_f32 v[2:3], v[22:23], v[38:39], v[2:3] op_sel_hi:[0,1,1]
	;; [unrolled: 3-line block ×4, first 2 shown]
	s_add_i32 s25, s25, 8
	s_add_i32 s21, s21, 64
	v_cndmask_b32_e64 v30, v8, v21, s[10:11]
	s_waitcnt vmcnt(1)
	v_pk_fma_f32 v[2:3], v[28:29], v[16:17], v[2:3] op_sel_hi:[0,1,1]
	s_cmp_eq_u32 s20, s25
	v_add_u32_e32 v4, 0x400, v4
	s_waitcnt vmcnt(0)
	v_pk_fma_f32 v[2:3], v[30:31], v[18:19], v[2:3] op_sel_hi:[0,1,1]
	s_cbranch_scc0 .LBB28_24
; %bb.25:
	s_and_b32 s0, s19, 7
	s_cmp_eq_u32 s0, 0
	s_cbranch_scc0 .LBB28_28
	s_branch .LBB28_30
.LBB28_26:
	s_waitcnt lgkmcnt(0)
	v_mov_b32_e32 v1, 0x7fc00000
	s_branch .LBB28_31
.LBB28_27:
	v_mov_b32_e32 v2, 0
	s_mov_b32 s20, 0
	v_mov_b32_e32 v3, v2
	s_and_b32 s0, s19, 7
	s_cmp_eq_u32 s0, 0
	s_cbranch_scc1 .LBB28_30
.LBB28_28:
	s_lshl_b32 s1, s20, 3
	v_lshl_or_b32 v4, s20, 7, v0
	s_add_i32 s1, s1, 0
	s_mov_b32 s2, 0x3fb8aa3b
	s_mov_b32 s3, 0xc2ce8ed0
	;; [unrolled: 1-line block ×3, first 2 shown]
	v_mov_b32_e32 v6, 0x7f800000
	v_mov_b32_e32 v5, 0
.LBB28_29:                              ; =>This Inner Loop Header: Depth=1
	v_lshl_add_u64 v[8:9], v[4:5], 2, s[16:17]
	global_load_dword v9, v[8:9], off
	v_mov_b32_e32 v7, s1
	ds_read_b64 v[10:11], v7
	s_add_i32 s1, s1, 8
	s_add_i32 s0, s0, -1
	v_add_u32_e32 v4, 0x80, v4
	s_cmp_lg_u32 s0, 0
	s_waitcnt lgkmcnt(0)
	v_sub_f32_e32 v7, v10, v1
	v_mul_f32_e32 v8, 0x3fb8aa3b, v7
	v_fma_f32 v10, v7, s2, -v8
	v_rndne_f32_e32 v12, v8
	v_fmac_f32_e32 v10, 0x32a5705f, v7
	v_sub_f32_e32 v8, v8, v12
	v_add_f32_e32 v8, v8, v10
	v_cvt_i32_f32_e32 v12, v12
	v_exp_f32_e32 v10, v8
	v_cmp_ngt_f32_e32 vcc, s3, v7
	v_mov_b32_e32 v8, v11
	v_ldexp_f32 v10, v10, v12
	v_cndmask_b32_e32 v10, 0, v10, vcc
	v_cmp_nlt_f32_e32 vcc, s4, v7
	s_nop 1
	v_cndmask_b32_e32 v10, v6, v10, vcc
	s_waitcnt vmcnt(0)
	v_pk_fma_f32 v[2:3], v[10:11], v[8:9], v[2:3] op_sel_hi:[0,1,1]
	s_cbranch_scc1 .LBB28_29
.LBB28_30:
	s_waitcnt lgkmcnt(0)
	v_div_scale_f32 v1, s[0:1], v2, v2, v3
	v_rcp_f32_e32 v4, v1
	v_div_scale_f32 v5, vcc, v3, v2, v3
	v_fma_f32 v6, -v1, v4, 1.0
	v_fmac_f32_e32 v4, v6, v4
	v_mul_f32_e32 v6, v5, v4
	v_fma_f32 v7, -v1, v6, v5
	v_fmac_f32_e32 v6, v7, v4
	v_fma_f32 v1, -v1, v6, v5
	v_div_fmas_f32 v1, v1, v4, v6
	v_div_fixup_f32 v1, v1, v2, v3
.LBB28_31:
	s_lshl_b32 s0, s18, 7
	s_ashr_i32 s1, s0, 31
	s_lshl_b64 s[0:1], s[0:1], 2
	s_add_u32 s0, s14, s0
	s_addc_u32 s1, s15, s1
	v_lshlrev_b32_e32 v0, 2, v0
	global_store_dword v0, v1, s[0:1]
	s_endpgm
	.section	.rodata,"a",@progbits
	.p2align	6, 0x0
	.amdhsa_kernel _ZL26flash_attn_combine_resultsILi128EEvPKfPK15HIP_vector_typeIfLj2EEPfi
		.amdhsa_group_segment_fixed_size 0
		.amdhsa_private_segment_fixed_size 0
		.amdhsa_kernarg_size 288
		.amdhsa_user_sgpr_count 2
		.amdhsa_user_sgpr_dispatch_ptr 0
		.amdhsa_user_sgpr_queue_ptr 0
		.amdhsa_user_sgpr_kernarg_segment_ptr 1
		.amdhsa_user_sgpr_dispatch_id 0
		.amdhsa_user_sgpr_kernarg_preload_length 0
		.amdhsa_user_sgpr_kernarg_preload_offset 0
		.amdhsa_user_sgpr_private_segment_size 0
		.amdhsa_uses_dynamic_stack 0
		.amdhsa_enable_private_segment 0
		.amdhsa_system_sgpr_workgroup_id_x 1
		.amdhsa_system_sgpr_workgroup_id_y 1
		.amdhsa_system_sgpr_workgroup_id_z 1
		.amdhsa_system_sgpr_workgroup_info 0
		.amdhsa_system_vgpr_workitem_id 0
		.amdhsa_next_free_vgpr 59
		.amdhsa_next_free_sgpr 26
		.amdhsa_accum_offset 60
		.amdhsa_reserve_vcc 1
		.amdhsa_float_round_mode_32 0
		.amdhsa_float_round_mode_16_64 0
		.amdhsa_float_denorm_mode_32 3
		.amdhsa_float_denorm_mode_16_64 3
		.amdhsa_dx10_clamp 1
		.amdhsa_ieee_mode 1
		.amdhsa_fp16_overflow 0
		.amdhsa_tg_split 0
		.amdhsa_exception_fp_ieee_invalid_op 0
		.amdhsa_exception_fp_denorm_src 0
		.amdhsa_exception_fp_ieee_div_zero 0
		.amdhsa_exception_fp_ieee_overflow 0
		.amdhsa_exception_fp_ieee_underflow 0
		.amdhsa_exception_fp_ieee_inexact 0
		.amdhsa_exception_int_div_zero 0
	.end_amdhsa_kernel
	.section	.text._ZL26flash_attn_combine_resultsILi128EEvPKfPK15HIP_vector_typeIfLj2EEPfi,"axG",@progbits,_ZL26flash_attn_combine_resultsILi128EEvPKfPK15HIP_vector_typeIfLj2EEPfi,comdat
.Lfunc_end28:
	.size	_ZL26flash_attn_combine_resultsILi128EEvPKfPK15HIP_vector_typeIfLj2EEPfi, .Lfunc_end28-_ZL26flash_attn_combine_resultsILi128EEvPKfPK15HIP_vector_typeIfLj2EEPfi
                                        ; -- End function
	.set _ZL26flash_attn_combine_resultsILi128EEvPKfPK15HIP_vector_typeIfLj2EEPfi.num_vgpr, 59
	.set _ZL26flash_attn_combine_resultsILi128EEvPKfPK15HIP_vector_typeIfLj2EEPfi.num_agpr, 0
	.set _ZL26flash_attn_combine_resultsILi128EEvPKfPK15HIP_vector_typeIfLj2EEPfi.numbered_sgpr, 26
	.set _ZL26flash_attn_combine_resultsILi128EEvPKfPK15HIP_vector_typeIfLj2EEPfi.num_named_barrier, 0
	.set _ZL26flash_attn_combine_resultsILi128EEvPKfPK15HIP_vector_typeIfLj2EEPfi.private_seg_size, 0
	.set _ZL26flash_attn_combine_resultsILi128EEvPKfPK15HIP_vector_typeIfLj2EEPfi.uses_vcc, 1
	.set _ZL26flash_attn_combine_resultsILi128EEvPKfPK15HIP_vector_typeIfLj2EEPfi.uses_flat_scratch, 0
	.set _ZL26flash_attn_combine_resultsILi128EEvPKfPK15HIP_vector_typeIfLj2EEPfi.has_dyn_sized_stack, 0
	.set _ZL26flash_attn_combine_resultsILi128EEvPKfPK15HIP_vector_typeIfLj2EEPfi.has_recursion, 0
	.set _ZL26flash_attn_combine_resultsILi128EEvPKfPK15HIP_vector_typeIfLj2EEPfi.has_indirect_call, 0
	.section	.AMDGPU.csdata,"",@progbits
; Kernel info:
; codeLenInByte = 2924
; TotalNumSgprs: 32
; NumVgprs: 59
; NumAgprs: 0
; TotalNumVgprs: 59
; ScratchSize: 0
; MemoryBound: 0
; FloatMode: 240
; IeeeMode: 1
; LDSByteSize: 0 bytes/workgroup (compile time only)
; SGPRBlocks: 3
; VGPRBlocks: 7
; NumSGPRsForWavesPerEU: 32
; NumVGPRsForWavesPerEU: 59
; AccumOffset: 60
; Occupancy: 8
; WaveLimiterHint : 0
; COMPUTE_PGM_RSRC2:SCRATCH_EN: 0
; COMPUTE_PGM_RSRC2:USER_SGPR: 2
; COMPUTE_PGM_RSRC2:TRAP_HANDLER: 0
; COMPUTE_PGM_RSRC2:TGID_X_EN: 1
; COMPUTE_PGM_RSRC2:TGID_Y_EN: 1
; COMPUTE_PGM_RSRC2:TGID_Z_EN: 1
; COMPUTE_PGM_RSRC2:TIDIG_COMP_CNT: 0
; COMPUTE_PGM_RSRC3_GFX90A:ACCUM_OFFSET: 14
; COMPUTE_PGM_RSRC3_GFX90A:TG_SPLIT: 0
	.section	.text._ZL18flash_attn_ext_f16ILi256ELi256ELi32ELi1ELb0ELb0EEvPKcS1_S1_S1_S1_PKiPfP15HIP_vector_typeIfLj2EEffffjfiS5_IjLj3EEiiiiiiiiiiiliiliiiiil,"axG",@progbits,_ZL18flash_attn_ext_f16ILi256ELi256ELi32ELi1ELb0ELb0EEvPKcS1_S1_S1_S1_PKiPfP15HIP_vector_typeIfLj2EEffffjfiS5_IjLj3EEiiiiiiiiiiiliiliiiiil,comdat
	.globl	_ZL18flash_attn_ext_f16ILi256ELi256ELi32ELi1ELb0ELb0EEvPKcS1_S1_S1_S1_PKiPfP15HIP_vector_typeIfLj2EEffffjfiS5_IjLj3EEiiiiiiiiiiiliiliiiiil ; -- Begin function _ZL18flash_attn_ext_f16ILi256ELi256ELi32ELi1ELb0ELb0EEvPKcS1_S1_S1_S1_PKiPfP15HIP_vector_typeIfLj2EEffffjfiS5_IjLj3EEiiiiiiiiiiiliiliiiiil
	.p2align	8
	.type	_ZL18flash_attn_ext_f16ILi256ELi256ELi32ELi1ELb0ELb0EEvPKcS1_S1_S1_S1_PKiPfP15HIP_vector_typeIfLj2EEffffjfiS5_IjLj3EEiiiiiiiiiiiliiliiiiil,@function
_ZL18flash_attn_ext_f16ILi256ELi256ELi32ELi1ELb0ELb0EEvPKcS1_S1_S1_S1_PKiPfP15HIP_vector_typeIfLj2EEffffjfiS5_IjLj3EEiiiiiiiiiiiliiliiiiil: ; @_ZL18flash_attn_ext_f16ILi256ELi256ELi32ELi1ELb0ELb0EEvPKcS1_S1_S1_S1_PKiPfP15HIP_vector_typeIfLj2EEffffjfiS5_IjLj3EEiiiiiiiiiiiliiliiiiil
; %bb.0:
	s_load_dwordx2 s[10:11], s[0:1], 0x80
	s_load_dwordx4 s[96:99], s[0:1], 0x64
	s_mov_b32 s60, s2
	v_mov_b32_e32 v24, v0
                                        ; implicit-def: $vgpr254 : SGPR spill to VGPR lane
	s_load_dword s61, s[0:1], 0xd0
	s_waitcnt lgkmcnt(0)
	s_abs_i32 s2, s11
	v_cvt_f32_u32_e32 v0, s2
	s_sub_i32 s6, 0, s2
	s_abs_i32 s5, s97
	s_xor_b32 s3, s97, s11
	v_rcp_iflag_f32_e32 v0, v0
	s_ashr_i32 s3, s3, 31
	s_mov_b32 s4, 0
	v_mul_f32_e32 v0, 0x4f7ffffe, v0
	v_cvt_u32_f32_e32 v0, v0
	s_nop 0
	v_readfirstlane_b32 s7, v0
	s_mul_i32 s6, s6, s7
	s_mul_hi_u32 s6, s7, s6
	s_add_i32 s7, s7, s6
	s_mul_hi_u32 s6, s5, s7
	s_mul_i32 s7, s6, s2
	s_sub_i32 s5, s5, s7
	s_add_i32 s8, s6, 1
	s_sub_i32 s7, s5, s2
	s_cmp_ge_u32 s5, s2
	s_cselect_b32 s6, s8, s6
	s_cselect_b32 s5, s7, s5
	s_add_i32 s7, s6, 1
	s_cmp_ge_u32 s5, s2
	s_cselect_b32 s2, s7, s6
	s_add_i32 s5, s10, 63
	s_xor_b32 s2, s2, s3
	s_ashr_i32 s6, s5, 31
	s_sub_i32 s3, s2, s3
	s_lshr_b32 s2, s6, 26
	s_add_i32 s5, s5, s2
	s_add_i32 s2, s96, 31
	s_lshr_b32 s2, s2, 5
	s_ashr_i32 s5, s5, 6
	v_writelane_b32 v254, s2, 0
	v_writelane_b32 v254, s5, 1
	s_mul_i32 s2, s2, s5
	v_writelane_b32 v254, s3, 2
	v_writelane_b32 v254, s2, 3
	s_mul_i32 s3, s2, s3
	s_mov_b32 s2, s10
	v_writelane_b32 v254, s2, 4
	s_nop 1
	v_writelane_b32 v254, s3, 5
	s_mul_i32 s2, s3, s11
	s_mul_i32 s10, s2, s98
	v_writelane_b32 v254, s3, 6
	s_ashr_i32 s8, s10, 31
	v_writelane_b32 v254, s2, 7
	s_mul_i32 s2, s8, s60
	s_mul_hi_u32 s3, s10, s60
	s_add_i32 s5, s3, s2
	s_cmp_lg_u64 s[4:5], 0
	s_mul_i32 s9, s10, s60
	s_cbranch_scc0 .LBB29_2
; %bb.1:
	s_add_u32 s2, s61, 0
	s_addc_u32 s3, 0, 0
	s_xor_b64 s[6:7], s[2:3], 0
	v_cvt_f32_u32_e32 v0, s6
	v_cvt_f32_u32_e32 v1, s7
	s_sub_u32 s4, 0, s6
	s_subb_u32 s11, 0, s7
	s_mov_b64 s[2:3], 0
	v_fmamk_f32 v0, v1, 0x4f800000, v0
	v_rcp_f32_e32 v0, v0
	s_nop 0
	v_mul_f32_e32 v0, 0x5f7ffffc, v0
	v_mul_f32_e32 v1, 0x2f800000, v0
	v_trunc_f32_e32 v1, v1
	v_fmamk_f32 v0, v1, 0xcf800000, v0
	v_cvt_u32_f32_e32 v1, v1
	v_cvt_u32_f32_e32 v0, v0
	v_readfirstlane_b32 s14, v1
	v_readfirstlane_b32 s12, v0
	s_mul_i32 s13, s4, s14
	s_mul_hi_u32 s16, s4, s12
	s_mul_i32 s15, s11, s12
	s_add_i32 s13, s16, s13
	s_add_i32 s13, s13, s15
	s_mul_i32 s17, s4, s12
	s_mul_i32 s16, s12, s13
	s_mul_hi_u32 s18, s12, s17
	s_mul_hi_u32 s15, s12, s13
	s_add_u32 s16, s18, s16
	s_addc_u32 s15, 0, s15
	s_mul_hi_u32 s19, s14, s17
	s_mul_i32 s17, s14, s17
	s_add_u32 s16, s16, s17
	s_mul_hi_u32 s18, s14, s13
	s_addc_u32 s15, s15, s19
	s_addc_u32 s16, s18, 0
	s_mul_i32 s13, s14, s13
	s_add_u32 s13, s15, s13
	s_addc_u32 s15, 0, s16
	s_add_u32 s16, s12, s13
	s_cselect_b64 s[12:13], -1, 0
	s_cmp_lg_u64 s[12:13], 0
	s_addc_u32 s14, s14, s15
	s_mul_i32 s12, s4, s14
	s_mul_hi_u32 s13, s4, s16
	s_add_i32 s12, s13, s12
	s_mul_i32 s11, s11, s16
	s_add_i32 s12, s12, s11
	s_mul_i32 s4, s4, s16
	s_mul_hi_u32 s13, s14, s4
	s_mul_i32 s15, s14, s4
	s_mul_i32 s18, s16, s12
	s_mul_hi_u32 s4, s16, s4
	s_mul_hi_u32 s17, s16, s12
	s_add_u32 s4, s4, s18
	s_addc_u32 s17, 0, s17
	s_add_u32 s4, s4, s15
	s_mul_hi_u32 s11, s14, s12
	s_addc_u32 s4, s17, s13
	s_addc_u32 s11, s11, 0
	s_mul_i32 s12, s14, s12
	s_add_u32 s4, s4, s12
	s_addc_u32 s11, 0, s11
	s_add_u32 s15, s16, s4
	s_cselect_b64 s[12:13], -1, 0
	s_cmp_lg_u64 s[12:13], 0
	s_addc_u32 s11, s14, s11
	s_ashr_i32 s12, s5, 31
	s_add_u32 s4, s9, s12
	s_mov_b32 s13, s12
	s_addc_u32 s5, s5, s12
	s_xor_b64 s[4:5], s[4:5], s[12:13]
	s_mul_i32 s16, s4, s11
	s_mul_hi_u32 s17, s4, s15
	s_mul_hi_u32 s14, s4, s11
	s_add_u32 s16, s17, s16
	s_addc_u32 s14, 0, s14
	s_mul_hi_u32 s18, s5, s15
	s_mul_i32 s15, s5, s15
	s_add_u32 s15, s16, s15
	s_mul_hi_u32 s17, s5, s11
	s_addc_u32 s14, s14, s18
	s_addc_u32 s15, s17, 0
	s_mul_i32 s11, s5, s11
	s_add_u32 s11, s14, s11
	s_addc_u32 s18, 0, s15
	s_mul_i32 s14, s6, s18
	s_mul_hi_u32 s15, s6, s11
	s_add_i32 s14, s15, s14
	s_mul_i32 s15, s7, s11
	s_add_i32 s19, s14, s15
	s_sub_i32 s16, s5, s19
	s_mul_i32 s14, s6, s11
	s_sub_u32 s4, s4, s14
	s_cselect_b64 s[14:15], -1, 0
	s_cmp_lg_u64 s[14:15], 0
	s_subb_u32 s20, s16, s7
	s_sub_u32 s21, s4, s6
	s_cselect_b64 s[16:17], -1, 0
	s_cmp_lg_u64 s[16:17], 0
	s_subb_u32 s16, s20, 0
	s_cmp_ge_u32 s16, s7
	s_cselect_b32 s17, -1, 0
	s_cmp_ge_u32 s21, s6
	s_cselect_b32 s20, -1, 0
	s_cmp_eq_u32 s16, s7
	s_cselect_b32 s16, s20, s17
	s_add_u32 s17, s11, 1
	s_addc_u32 s20, s18, 0
	s_add_u32 s21, s11, 2
	s_addc_u32 s22, s18, 0
	s_cmp_lg_u32 s16, 0
	s_cselect_b32 s16, s21, s17
	s_cselect_b32 s17, s22, s20
	s_cmp_lg_u64 s[14:15], 0
	s_subb_u32 s5, s5, s19
	s_cmp_ge_u32 s5, s7
	s_cselect_b32 s14, -1, 0
	s_cmp_ge_u32 s4, s6
	s_cselect_b32 s4, -1, 0
	s_cmp_eq_u32 s5, s7
	s_cselect_b32 s4, s4, s14
	s_cmp_lg_u32 s4, 0
	s_cselect_b32 s5, s17, s18
	s_cselect_b32 s4, s16, s11
	s_xor_b64 s[6:7], s[12:13], 0
	s_xor_b64 s[4:5], s[4:5], s[6:7]
	s_sub_u32 s56, s4, s6
	s_branch .LBB29_3
.LBB29_2:
	s_mov_b64 s[2:3], -1
                                        ; implicit-def: $sgpr56_sgpr57
.LBB29_3:
	s_load_dwordx2 s[4:5], s[0:1], 0x74
	v_cvt_f32_u32_e32 v0, s61
	s_andn2_b64 vcc, exec, s[2:3]
	s_waitcnt lgkmcnt(0)
	v_writelane_b32 v254, s4, 8
	s_nop 1
	v_writelane_b32 v254, s5, 9
	s_cbranch_vccnz .LBB29_5
; %bb.4:
	v_rcp_iflag_f32_e32 v1, v0
	s_sub_i32 s2, 0, s61
	v_mul_f32_e32 v1, 0x4f7ffffe, v1
	v_cvt_u32_f32_e32 v1, v1
	s_nop 0
	v_readfirstlane_b32 s3, v1
	s_mul_i32 s2, s2, s3
	s_mul_hi_u32 s2, s3, s2
	s_add_i32 s3, s3, s2
	s_mul_hi_u32 s2, s9, s3
	s_mul_i32 s4, s2, s61
	s_sub_i32 s4, s9, s4
	s_add_i32 s3, s2, 1
	s_sub_i32 s5, s4, s61
	s_cmp_ge_u32 s4, s61
	s_cselect_b32 s2, s3, s2
	s_cselect_b32 s4, s5, s4
	s_add_i32 s3, s2, 1
	s_cmp_ge_u32 s4, s61
	s_cselect_b32 s56, s3, s2
.LBB29_5:
	s_add_i32 s2, s60, 1
	s_mul_i32 s3, s8, s2
	s_mul_hi_u32 s5, s10, s2
	s_add_i32 s9, s5, s3
	s_mov_b32 s8, 0
	s_cmp_lg_u64 s[8:9], 0
	s_mul_i32 s5, s10, s2
	s_cbranch_scc0 .LBB29_7
; %bb.6:
	s_add_u32 s2, s61, 0
	s_addc_u32 s3, 0, 0
	s_xor_b64 s[6:7], s[2:3], 0
	v_cvt_f32_u32_e32 v1, s6
	v_cvt_f32_u32_e32 v2, s7
	s_sub_u32 s8, 0, s6
	s_subb_u32 s12, 0, s7
	s_mov_b64 s[2:3], 0
	v_fmamk_f32 v1, v2, 0x4f800000, v1
	v_rcp_f32_e32 v1, v1
	s_nop 0
	v_mul_f32_e32 v1, 0x5f7ffffc, v1
	v_mul_f32_e32 v2, 0x2f800000, v1
	v_trunc_f32_e32 v2, v2
	v_fmamk_f32 v1, v2, 0xcf800000, v1
	v_cvt_u32_f32_e32 v2, v2
	v_cvt_u32_f32_e32 v1, v1
	v_readfirstlane_b32 s13, v2
	v_readfirstlane_b32 s10, v1
	s_mul_i32 s11, s8, s13
	s_mul_hi_u32 s15, s8, s10
	s_mul_i32 s14, s12, s10
	s_add_i32 s11, s15, s11
	s_add_i32 s11, s11, s14
	s_mul_i32 s16, s8, s10
	s_mul_i32 s15, s10, s11
	s_mul_hi_u32 s17, s10, s16
	s_mul_hi_u32 s14, s10, s11
	s_add_u32 s15, s17, s15
	s_addc_u32 s14, 0, s14
	s_mul_hi_u32 s18, s13, s16
	s_mul_i32 s16, s13, s16
	s_add_u32 s15, s15, s16
	s_mul_hi_u32 s17, s13, s11
	s_addc_u32 s14, s14, s18
	s_addc_u32 s15, s17, 0
	s_mul_i32 s11, s13, s11
	s_add_u32 s11, s14, s11
	s_addc_u32 s14, 0, s15
	s_add_u32 s15, s10, s11
	s_cselect_b64 s[10:11], -1, 0
	s_cmp_lg_u64 s[10:11], 0
	s_addc_u32 s13, s13, s14
	s_mul_i32 s10, s8, s13
	s_mul_hi_u32 s11, s8, s15
	s_add_i32 s10, s11, s10
	s_mul_i32 s12, s12, s15
	s_add_i32 s10, s10, s12
	s_mul_i32 s8, s8, s15
	s_mul_hi_u32 s12, s13, s8
	s_mul_i32 s14, s13, s8
	s_mul_i32 s17, s15, s10
	s_mul_hi_u32 s8, s15, s8
	s_mul_hi_u32 s16, s15, s10
	s_add_u32 s8, s8, s17
	s_addc_u32 s16, 0, s16
	s_add_u32 s8, s8, s14
	s_mul_hi_u32 s11, s13, s10
	s_addc_u32 s8, s16, s12
	s_addc_u32 s11, s11, 0
	s_mul_i32 s10, s13, s10
	s_add_u32 s8, s8, s10
	s_addc_u32 s12, 0, s11
	s_add_u32 s14, s15, s8
	s_cselect_b64 s[10:11], -1, 0
	s_cmp_lg_u64 s[10:11], 0
	s_addc_u32 s12, s13, s12
	s_ashr_i32 s10, s9, 31
	s_add_u32 s8, s5, s10
	s_mov_b32 s11, s10
	s_addc_u32 s9, s9, s10
	s_xor_b64 s[8:9], s[8:9], s[10:11]
	s_mul_i32 s15, s8, s12
	s_mul_hi_u32 s16, s8, s14
	s_mul_hi_u32 s13, s8, s12
	s_add_u32 s15, s16, s15
	s_addc_u32 s13, 0, s13
	s_mul_hi_u32 s17, s9, s14
	s_mul_i32 s14, s9, s14
	s_add_u32 s14, s15, s14
	s_mul_hi_u32 s16, s9, s12
	s_addc_u32 s13, s13, s17
	s_addc_u32 s14, s16, 0
	s_mul_i32 s12, s9, s12
	s_add_u32 s16, s13, s12
	s_addc_u32 s17, 0, s14
	s_mul_i32 s12, s6, s17
	s_mul_hi_u32 s13, s6, s16
	s_add_i32 s12, s13, s12
	s_mul_i32 s13, s7, s16
	s_add_i32 s18, s12, s13
	s_sub_i32 s14, s9, s18
	s_mul_i32 s12, s6, s16
	s_sub_u32 s8, s8, s12
	s_cselect_b64 s[12:13], -1, 0
	s_cmp_lg_u64 s[12:13], 0
	s_subb_u32 s19, s14, s7
	s_sub_u32 s20, s8, s6
	s_cselect_b64 s[14:15], -1, 0
	s_cmp_lg_u64 s[14:15], 0
	s_subb_u32 s14, s19, 0
	s_cmp_ge_u32 s14, s7
	s_cselect_b32 s15, -1, 0
	s_cmp_ge_u32 s20, s6
	s_cselect_b32 s19, -1, 0
	s_cmp_eq_u32 s14, s7
	s_cselect_b32 s14, s19, s15
	s_add_u32 s15, s16, 1
	s_addc_u32 s19, s17, 0
	s_add_u32 s20, s16, 2
	s_addc_u32 s21, s17, 0
	s_cmp_lg_u32 s14, 0
	s_cselect_b32 s14, s20, s15
	s_cselect_b32 s15, s21, s19
	s_cmp_lg_u64 s[12:13], 0
	s_subb_u32 s9, s9, s18
	s_cmp_ge_u32 s9, s7
	s_cselect_b32 s12, -1, 0
	s_cmp_ge_u32 s8, s6
	s_cselect_b32 s6, -1, 0
	s_cmp_eq_u32 s9, s7
	s_cselect_b32 s6, s6, s12
	s_cmp_lg_u32 s6, 0
	s_cselect_b32 s7, s15, s17
	s_cselect_b32 s6, s14, s16
	s_xor_b64 s[8:9], s[10:11], 0
	s_xor_b64 s[6:7], s[6:7], s[8:9]
	s_sub_u32 s6, s6, s8
	s_subb_u32 s7, s7, s9
	s_branch .LBB29_8
.LBB29_7:
	s_mov_b64 s[2:3], -1
                                        ; implicit-def: $sgpr6_sgpr7
.LBB29_8:
	s_load_dwordx2 s[8:9], s[0:1], 0x5c
	s_andn2_b64 vcc, exec, s[2:3]
	v_mov_b64_e32 v[46:47], s[6:7]
	s_waitcnt lgkmcnt(0)
	v_writelane_b32 v254, s8, 10
	s_nop 1
	v_writelane_b32 v254, s9, 11
	s_cbranch_vccnz .LBB29_10
; %bb.9:
	v_rcp_iflag_f32_e32 v0, v0
	s_sub_i32 s2, 0, s61
	v_mul_f32_e32 v0, 0x4f7ffffe, v0
	v_cvt_u32_f32_e32 v0, v0
	v_mul_lo_u32 v1, s2, v0
	v_mul_hi_u32 v1, v0, v1
	v_add_u32_e32 v0, v0, v1
	v_mul_hi_u32 v0, s5, v0
	v_mul_lo_u32 v2, v0, s61
	v_sub_u32_e32 v2, s5, v2
	v_add_u32_e32 v1, 1, v0
	v_subrev_u32_e32 v3, s61, v2
	v_cmp_le_u32_e32 vcc, s61, v2
	s_nop 1
	v_cndmask_b32_e32 v2, v2, v3, vcc
	v_cndmask_b32_e32 v0, v0, v1, vcc
	v_add_u32_e32 v1, 1, v0
	v_cmp_le_u32_e32 vcc, s61, v2
	s_nop 1
	v_cndmask_b32_e32 v46, v0, v1, vcc
.LBB29_10:
	s_load_dwordx16 s[16:31], s[0:1], 0x0
	s_load_dwordx4 s[36:39], s[0:1], 0x40
	s_load_dword s2, s[0:1], 0x50
	s_ashr_i32 s53, s99, 3
	v_cmp_ge_i32_e32 vcc, s56, v46
	v_bfe_u32 v192, v24, 10, 10
	s_waitcnt lgkmcnt(0)
	v_cvt_f16_f32_e32 v25, s36
	v_writelane_b32 v254, s2, 12
	s_load_dwordx2 s[2:3], s[0:1], 0x8c
	s_load_dwordx4 s[4:7], s[0:1], 0x98
	s_load_dwordx2 s[8:9], s[0:1], 0xa8
	s_load_dwordx2 s[10:11], s[0:1], 0xb8
	s_nop 0
	s_load_dwordx2 s[0:1], s[0:1], 0xc8
	s_mov_b32 s69, 0
	s_waitcnt lgkmcnt(0)
	s_ashr_i32 s62, s2, 2
	s_ashr_i32 s90, s6, 2
	v_writelane_b32 v254, s8, 13
	s_ashr_i32 s12, s11, 1
	v_cmp_lt_i32_e64 s[44:45], s56, v46
	v_writelane_b32 v254, s9, 14
	v_writelane_b32 v254, s0, 15
	v_lshlrev_b32_e32 v214, 3, v192
	v_add_u32_e32 v198, 4, v192
	v_writelane_b32 v254, s1, 16
	s_mov_b32 s1, s3
	v_readlane_b32 s8, v254, 1
	s_abs_i32 s9, s8
	v_cvt_f32_u32_e32 v0, s9
	v_writelane_b32 v254, s0, 17
	s_mov_b32 s3, s7
	v_add_u32_e32 v159, 8, v192
	v_rcp_iflag_f32_e32 v0, v0
	v_writelane_b32 v254, s1, 18
	s_mov_b64 s[0:1], s[4:5]
	v_writelane_b32 v254, s0, 19
	v_mul_f32_e32 v0, 0x4f7ffffe, v0
	v_cvt_u32_f32_e32 v0, v0
	v_writelane_b32 v254, s1, 20
	v_writelane_b32 v254, s2, 21
	;; [unrolled: 1-line block ×3, first 2 shown]
	s_sub_i32 s3, 0, s9
	v_readfirstlane_b32 s33, v0
	s_mul_i32 s3, s3, s33
	s_ashr_i32 s1, s8, 31
	s_mul_hi_u32 s3, s33, s3
	v_writelane_b32 v254, s1, 23
	s_add_i32 s2, s33, s3
	v_writelane_b32 v254, s2, 24
	v_writelane_b32 v254, s9, 25
	s_abs_i32 s1, s56
	v_writelane_b32 v254, s16, 26
	s_mul_hi_u32 s3, s1, s2
	s_mul_i32 s3, s3, s9
	v_writelane_b32 v254, s17, 27
	v_writelane_b32 v254, s18, 28
	s_sub_i32 s1, s1, s3
	v_writelane_b32 v254, s19, 29
	s_ashr_i32 s0, s56, 31
	s_sub_i32 s3, s1, s9
	v_writelane_b32 v254, s20, 30
	s_cmp_ge_u32 s1, s9
	v_writelane_b32 v254, s21, 31
	s_cselect_b32 s1, s3, s1
	v_writelane_b32 v254, s22, 32
	s_sub_i32 s3, s1, s9
	v_writelane_b32 v254, s23, 33
	s_cmp_ge_u32 s1, s9
	v_writelane_b32 v254, s24, 34
	s_cselect_b32 s1, s3, s1
	v_writelane_b32 v254, s25, 35
	s_xor_b32 s1, s1, s0
	v_writelane_b32 v254, s26, 36
	s_sub_i32 s52, s1, s0
	v_subrev_u32_e32 v0, s56, v46
	v_writelane_b32 v254, s27, 37
	v_add_u32_e32 v0, s52, v0
	v_writelane_b32 v254, s28, 38
	v_cmp_gt_i32_e64 s[0:1], s8, v0
	v_writelane_b32 v254, s29, 39
	s_or_b64 s[0:1], s[0:1], vcc
	v_writelane_b32 v254, s30, 40
	v_min_i32_e32 v99, s8, v0
	s_and_b64 vcc, exec, s[0:1]
	v_add_u32_e32 v158, 12, v192
	v_add_u32_e32 v157, 16, v192
	;; [unrolled: 1-line block ×5, first 2 shown]
	v_lshlrev_b32_e32 v213, 4, v192
	v_writelane_b32 v254, s31, 41
	s_cbranch_vccz .LBB29_13
; %bb.11:
	s_andn2_b64 vcc, exec, s[44:45]
	s_cbranch_vccz .LBB29_320
.LBB29_12:
	s_endpgm
.LBB29_13:
	s_cmp_lg_u64 s[22:23], 0
	v_writelane_b32 v254, s61, 42
	s_cselect_b64 s[0:1], -1, 0
	v_writelane_b32 v254, s0, 43
	s_cmp_eq_u64 s[24:25], 0
	s_mov_b64 s[2:3], s[38:39]
	v_writelane_b32 v254, s1, 44
	s_mul_i32 s0, s96, s97
	v_writelane_b32 v254, s0, 45
	s_cselect_b64 s[0:1], -1, 0
	v_writelane_b32 v254, s0, 46
	v_and_b32_e32 v48, 0x3ff, v24
	v_and_b32_e32 v2, 15, v24
	v_writelane_b32 v254, s1, 47
	s_mov_b32 s1, s37
	v_writelane_b32 v254, s0, 48
	v_lshrrev_b32_e32 v4, 1, v24
	s_mov_b64 s[86:87], s[30:31]
	v_writelane_b32 v254, s1, 49
	v_lshlrev_b32_e32 v0, 2, v48
	v_mul_u32_u24_e32 v3, 0x210, v2
	v_and_b32_e32 v4, 0x78, v4
	v_bfe_u32 v8, v24, 5, 5
	v_writelane_b32 v254, s2, 50
	s_mov_b64 s[84:85], s[28:29]
	s_mov_b64 s[82:83], s[26:27]
	;; [unrolled: 1-line block ×7, first 2 shown]
	v_and_b32_e32 v1, 0x7f0, v214
	s_movk_i32 s22, 0x210
	v_add3_u32 v3, 0, v3, v4
	v_and_b32_e32 v6, 16, v213
	v_lshl_add_u32 v201, v192, 1, v8
	v_and_b32_e32 v52, 0x7c, v0
	v_writelane_b32 v254, s3, 51
	v_cmp_nle_f32_e64 s[0:1], s37, 0
	v_mad_u32_u24 v200, v1, s22, v3
	v_mul_u32_u24_e32 v8, 0x210, v201
	v_lshlrev_b32_e32 v9, 2, v52
	v_mad_u32_u24 v203, v6, s22, v3
	v_bfe_u32 v3, v24, 2, 8
	v_writelane_b32 v254, s0, 52
	s_cmp_lg_u64 s[26:27], 0
	v_and_b32_e32 v7, 8, v214
	s_movk_i32 s5, 0x420
	v_add3_u32 v202, 0, v8, v9
	v_and_b32_e32 v8, 60, v3
	v_or_b32_e32 v3, 3, v3
	v_writelane_b32 v254, s1, 53
	s_cselect_b64 s[0:1], -1, 0
	v_mad_u32_u24 v7, v7, s5, 0
	v_mul_u32_u24_e32 v3, 0x210, v3
	v_lshlrev_b32_e32 v9, 1, v2
	v_writelane_b32 v254, s0, 54
	v_or_b32_e32 v1, v1, v2
	v_add3_u32 v206, v7, v3, v9
	v_bfe_u32 v3, v24, 10, 1
	v_or_b32_e32 v2, v213, v2
	v_writelane_b32 v254, s1, 55
	v_cmp_eq_u32_e64 s[0:1], 0, v3
	v_mul_u32_u24_e32 v2, 0x210, v2
	v_and_b32_e32 v3, 0x400, v24
	v_writelane_b32 v254, s0, 56
	v_add3_u32 v207, 0, v2, v4
	v_lshrrev_b32_e32 v2, 10, v24
	v_add_u32_e32 v204, v8, v6
	v_add_u16_e32 v6, v8, v6
	v_mul_u32_u24_e32 v8, 0x210, v8
	v_writelane_b32 v254, s1, 57
	v_cmp_ne_u32_e64 s[0:1], 0, v3
	v_or_b32_e32 v3, v214, v48
	v_bfe_u32 v21, v2, 1, 9
	v_add3_u32 v205, v7, v8, v9
	v_lshlrev_b32_e32 v50, 3, v3
	v_bfe_u32 v3, v192, 1, 4
	s_movk_i32 s5, 0xe0
	v_add_u32_e32 v7, 2, v21
	v_and_or_b32 v2, v2, s5, v3
	v_lshlrev_b32_e32 v4, 1, v7
	v_accvgpr_write_b32 a23, v7
	v_and_b32_e32 v7, 15, v7
	s_movk_i32 s5, 0x1e0
	v_add_u32_e32 v8, 4, v21
	v_and_or_b32 v4, v4, s5, v7
	v_lshlrev_b32_e32 v7, 1, v8
	v_accvgpr_write_b32 a24, v8
	v_and_b32_e32 v8, 15, v8
	v_add_u32_e32 v9, 6, v21
	v_and_or_b32 v7, v7, s5, v8
	v_lshlrev_b32_e32 v8, 1, v9
	v_accvgpr_write_b32 a25, v9
	v_and_b32_e32 v9, 15, v9
	v_add_u32_e32 v10, 8, v21
	v_and_or_b32 v8, v8, s5, v9
	v_lshlrev_b32_e32 v9, 1, v10
	v_accvgpr_write_b32 a26, v10
	v_and_b32_e32 v10, 15, v10
	v_add_u32_e32 v11, 10, v21
	v_and_or_b32 v9, v9, s5, v10
	v_lshlrev_b32_e32 v10, 1, v11
	v_accvgpr_write_b32 a27, v11
	v_and_b32_e32 v11, 15, v11
	v_add_u32_e32 v12, 12, v21
	v_and_or_b32 v10, v10, s5, v11
	v_lshlrev_b32_e32 v11, 1, v12
	v_accvgpr_write_b32 a28, v12
	v_and_b32_e32 v12, 15, v12
	v_add_u32_e32 v13, 14, v21
	v_and_or_b32 v11, v11, s5, v12
	v_lshlrev_b32_e32 v12, 1, v13
	v_accvgpr_write_b32 a29, v13
	v_and_b32_e32 v13, 15, v13
	v_and_or_b32 v12, v12, s5, v13
	v_add_u32_e32 v13, 16, v21
	v_accvgpr_write_b32 a30, v13
	v_lshlrev_b32_e32 v13, 1, v13
	v_add_u32_e32 v14, 18, v21
	v_writelane_b32 v254, s0, 58
	v_and_or_b32 v3, v13, s5, v3
	v_lshlrev_b32_e32 v13, 1, v14
	v_accvgpr_write_b32 a31, v14
	v_and_b32_e32 v14, 15, v14
	v_add_u32_e32 v15, 20, v21
	v_writelane_b32 v254, s1, 59
	s_lshl_b32 s68, s60, 5
	v_and_or_b32 v13, v13, s5, v14
	v_lshlrev_b32_e32 v14, 1, v15
	v_accvgpr_write_b32 a32, v15
	v_and_b32_e32 v15, 15, v15
	v_add_u32_e32 v16, 22, v21
	s_ashr_i32 s13, s12, 31
	s_movk_i32 s24, 0x90
	v_mul_u32_u24_e32 v5, 0x90, v192
	s_ashr_i32 s63, s62, 31
	s_ashr_i32 s91, s90, 31
	s_lshl_b32 s25, s62, 3
	s_lshl_b32 s26, s90, 3
	v_writelane_b32 v254, s60, 60
	s_lshl_b64 s[6:7], s[68:69], 3
	v_and_or_b32 v14, v14, s5, v15
	v_lshlrev_b32_e32 v15, 1, v16
	v_accvgpr_write_b32 a33, v16
	v_and_b32_e32 v16, 15, v16
	v_add_u32_e32 v17, 24, v21
	v_lshlrev_b32_e32 v54, 1, v48
	s_add_u32 s20, s86, s6
	v_and_or_b32 v15, v15, s5, v16
	v_lshlrev_b32_e32 v16, 1, v17
	v_accvgpr_write_b32 a34, v17
	v_and_b32_e32 v17, 15, v17
	v_add_u32_e32 v18, 26, v21
	v_readlane_b32 s2, v254, 7
	v_add3_u32 v227, 0, v5, v54
	v_mad_u32_u24 v1, v1, s24, 0
	v_lshrrev_b16_e32 v5, 1, v6
	v_add_u32_e32 v160, 32, v204
	v_add_u32_e32 v161, 34, v204
	s_addc_u32 s21, s87, s7
	v_and_or_b32 v16, v16, s5, v17
	v_lshlrev_b32_e32 v17, 1, v18
	v_accvgpr_write_b32 a35, v18
	v_and_b32_e32 v18, 15, v18
	s_abs_i32 s33, s2
	v_lshl_add_u32 v228, v5, 2, v1
	v_lshl_add_u32 v230, v160, 1, v1
	;; [unrolled: 1-line block ×3, first 2 shown]
	v_add_u32_e32 v1, v213, v48
	v_and_or_b32 v17, v17, s5, v18
	v_cvt_f32_u32_e32 v18, s33
	v_mul_u32_u24_e32 v1, 0x210, v1
	v_accvgpr_write_b32 a43, v1
	v_and_b32_e32 v1, 31, v24
	v_add_u32_e32 v5, v213, v1
	v_mad_u32_u24 v2, v2, s22, 0
	v_mul_u32_u24_e32 v5, 0x210, v5
	v_mad_u32_u24 v4, v4, s22, 0
	v_accvgpr_write_b32 a45, v2
	v_add_u32_e32 v2, v2, v0
	v_rcp_iflag_f32_e32 v18, v18
	v_accvgpr_write_b32 a44, v5
	v_mad_u32_u24 v5, v7, s22, 0
	v_accvgpr_write_b32 a61, v2
	v_add_u32_e32 v2, v4, v0
	v_mad_u32_u24 v6, v8, s22, 0
	v_accvgpr_write_b32 a62, v2
	v_add_u32_e32 v2, v5, v0
	v_readlane_b32 s1, v254, 6
	v_mad_u32_u24 v7, v9, s22, 0
	v_accvgpr_write_b32 a63, v2
	v_add_u32_e32 v2, v6, v0
	s_abs_i32 s68, s1
	v_mad_u32_u24 v8, v10, s22, 0
	v_accvgpr_write_b32 a64, v2
	v_add_u32_e32 v2, v7, v0
	v_mul_f32_e32 v18, 0x4f7ffffe, v18
	v_cvt_f32_u32_e32 v22, s68
	v_mad_u32_u24 v9, v11, s22, 0
	v_accvgpr_write_b32 a65, v2
	v_add_u32_e32 v2, v8, v0
	v_add_u32_e32 v20, 28, v21
	v_cvt_u32_f32_e32 v18, v18
	v_mad_u32_u24 v10, v12, s22, 0
	v_accvgpr_write_b32 a66, v2
	v_add_u32_e32 v2, v9, v0
	v_lshlrev_b32_e32 v19, 1, v20
	v_accvgpr_write_b32 a36, v20
	v_and_b32_e32 v20, 15, v20
	v_accvgpr_write_b32 a22, v21
	v_add_u32_e32 v21, 30, v21
	v_mad_u32_u24 v3, v3, s22, 0
	v_accvgpr_write_b32 a67, v2
	v_add_u32_e32 v2, v10, v0
	v_and_or_b32 v19, v19, s5, v20
	v_lshlrev_b32_e32 v20, 1, v21
	v_accvgpr_write_b32 a37, v21
	v_and_b32_e32 v21, 15, v21
	v_mad_u32_u24 v11, v13, s22, 0
	v_accvgpr_write_b32 a68, v2
	v_add_u32_e32 v2, v3, v0
	v_and_or_b32 v20, v20, s5, v21
	s_sub_i32 s5, 0, s33
	v_rcp_iflag_f32_e32 v21, v22
	v_mad_u32_u24 v12, v14, s22, 0
	v_accvgpr_write_b32 a69, v2
	v_add_u32_e32 v2, v11, v0
	v_mul_lo_u32 v22, s5, v18
	v_mad_u32_u24 v13, v15, s22, 0
	v_accvgpr_write_b32 a70, v2
	v_add_u32_e32 v2, v12, v0
	v_mul_hi_u32 v22, v18, v22
	v_readlane_b32 s0, v254, 3
	v_mad_u32_u24 v14, v16, s22, 0
	v_accvgpr_write_b32 a71, v2
	v_add_u32_e32 v2, v13, v0
	v_add_u32_e32 v18, v18, v22
	s_abs_i32 s3, s0
	v_mad_u32_u24 v15, v17, s22, 0
	v_accvgpr_write_b32 a72, v2
	v_add_u32_e32 v2, v14, v0
	v_accvgpr_write_b32 a38, v18
	v_mul_f32_e32 v18, 0x4f7ffffe, v21
	v_cvt_f32_u32_e32 v21, s3
	v_mad_u32_u24 v16, v19, s22, 0
	v_mad_u32_u24 v17, v20, s22, 0
	v_accvgpr_write_b32 a73, v2
	v_add_u32_e32 v2, v15, v0
	s_mov_b32 s4, s10
	v_add_u32_e32 v251, 0, v0
	v_accvgpr_write_b32 a74, v2
	v_add_u32_e32 v2, v16, v0
	v_add_u32_e32 v0, v17, v0
	v_mov_b32_e32 v51, 0
	v_writelane_b32 v254, s4, 61
	v_accvgpr_write_b32 a76, v0
                                        ; implicit-def: $vgpr0
	v_lshlrev_b32_e32 v88, 4, v1
	v_writelane_b32 v254, s5, 62
	s_abs_i32 s4, s10
	v_lshl_add_u64 v[0:1], s[20:21], 0, v[50:51]
	v_cvt_f32_u32_e32 v22, s4
	v_rcp_iflag_f32_e32 v21, v21
	v_accvgpr_write_b32 a79, v1
	v_accvgpr_write_b32 a78, v0
	v_add_u32_e32 v1, 40, v201
	v_accvgpr_write_b32 a84, v1
	v_add_u32_e32 v1, 48, v201
	v_cvt_u32_f32_e32 v18, v18
	v_accvgpr_write_b32 a85, v1
	v_add_u32_e32 v1, 56, v201
	v_rcp_iflag_f32_e32 v22, v22
	v_mul_f32_e32 v21, 0x4f7ffffe, v21
	v_accvgpr_write_b32 a86, v1
	v_or_b32_e32 v1, 1, v204
	v_cvt_u32_f32_e32 v21, v21
	v_accvgpr_write_b32 a87, v1
	v_or_b32_e32 v1, 2, v204
	s_sub_i32 s6, 0, s68
	v_accvgpr_write_b32 a88, v1
	v_or_b32_e32 v1, 3, v204
	v_mul_lo_u32 v23, s6, v18
	v_writelane_b32 v254, s4, 63
	s_sub_i32 s6, 0, s4
	s_lshl_b32 s4, s97, 7
                                        ; implicit-def: $vgpr255 : SGPR spill to VGPR lane
	v_mbcnt_lo_u32_b32 v0, -1, 0
	v_accvgpr_write_b32 a89, v1
	v_add_u32_e32 v1, 33, v204
	v_mul_f32_e32 v22, 0x4f7ffffe, v22
	v_writelane_b32 v255, s4, 0
	s_ashr_i32 s2, s2, 31
	v_mbcnt_hi_u32_b32 v219, -1, v0
	v_mad_u32_u24 v0, v192, s22, v251
	v_accvgpr_write_b32 a90, v1
	v_add_u32_e32 v1, 35, v204
	v_cvt_u32_f32_e32 v22, v22
	v_readfirstlane_b32 s27, v21
	v_writelane_b32 v255, s2, 1
	s_ashr_i32 s1, s1, 31
	s_sub_i32 s24, 0, s3
	v_accvgpr_write_b32 a91, v1
	v_add_u32_e32 v1, 0x840, v0
	v_writelane_b32 v255, s1, 2
	s_ashr_i32 s0, s0, 31
	s_mul_i32 s24, s24, s27
	v_accvgpr_write_b32 a92, v1
	v_add_u32_e32 v1, 0x1080, v0
	v_mul_hi_u32 v23, v18, v23
	v_writelane_b32 v255, s0, 3
	s_mul_hi_u32 s24, s27, s24
	v_accvgpr_write_b32 a93, v1
	v_add_u32_e32 v1, 0x18c0, v0
	v_add_u32_e32 v18, v18, v23
	v_writelane_b32 v255, s3, 4
	s_add_i32 s0, s27, s24
	v_accvgpr_write_b32 a94, v1
	v_add_u32_e32 v1, 0x2100, v0
	v_accvgpr_write_b32 a39, v18
	v_mul_lo_u32 v18, s6, v22
	v_mul_lo_u32 v72, s90, v201
	v_writelane_b32 v255, s0, 5
	v_accvgpr_write_b32 a95, v1
	v_add_u32_e32 v1, 0x2940, v0
	s_mov_b64 s[20:21], s[12:13]
	v_readlane_b32 s0, v254, 26
	v_ashrrev_i32_e32 v73, 31, v72
	v_accvgpr_write_b32 a96, v1
	v_add_u32_e32 v1, 0x3180, v0
	v_accvgpr_write_b32 a77, v0
	v_add_u32_e32 v0, 0x39c0, v0
	v_readlane_b32 s4, v254, 30
	v_readlane_b32 s5, v254, 31
	v_add_u32_e32 v74, s26, v72
	v_accvgpr_write_b32 a97, v1
	v_accvgpr_write_b32 a98, v0
	v_lshl_add_u64 v[0:1], v[72:73], 2, s[4:5]
	v_ashrrev_i32_e32 v75, 31, v74
	v_accvgpr_write_b32 a101, v1
	v_add_u32_e32 v76, s26, v74
	v_accvgpr_write_b32 a100, v0
	v_lshl_add_u64 v[0:1], v[74:75], 2, s[4:5]
	v_ashrrev_i32_e32 v77, 31, v76
	v_accvgpr_write_b32 a103, v1
	v_add_u32_e32 v78, s26, v76
	;; [unrolled: 5-line block ×6, first 2 shown]
	v_accvgpr_write_b32 a110, v0
	v_lshl_add_u64 v[0:1], v[84:85], 2, s[4:5]
	v_ashrrev_i32_e32 v87, 31, v86
	v_accvgpr_write_b32 a113, v1
	v_mul_lo_u32 v56, s62, v201
	v_accvgpr_write_b32 a112, v0
	v_lshl_add_u64 v[0:1], v[86:87], 2, s[4:5]
	v_ashrrev_i32_e32 v57, 31, v56
	v_readlane_b32 s2, v254, 28
	v_readlane_b32 s3, v254, 29
	v_accvgpr_write_b32 a115, v1
	v_add_u32_e32 v58, s25, v56
	v_accvgpr_write_b32 a114, v0
	v_lshl_add_u64 v[0:1], v[56:57], 2, s[2:3]
	v_ashrrev_i32_e32 v59, 31, v58
	v_accvgpr_write_b32 a117, v1
	v_add_u32_e32 v60, s25, v58
	v_accvgpr_write_b32 a116, v0
	v_lshl_add_u64 v[0:1], v[58:59], 2, s[2:3]
	v_ashrrev_i32_e32 v61, 31, v60
	;; [unrolled: 5-line block ×4, first 2 shown]
	v_readlane_b32 s1, v254, 27
	v_accvgpr_write_b32 a123, v1
	v_add_u32_e32 v66, s25, v64
	v_accvgpr_write_b32 a122, v0
	v_lshl_add_u64 v[0:1], v[64:65], 2, s[2:3]
	v_cmp_gt_u32_e64 s[0:1], 16, v48
	v_ashrrev_i32_e32 v67, 31, v66
	v_accvgpr_write_b32 a125, v1
	v_writelane_b32 v255, s0, 6
	v_add_u32_e32 v68, s25, v66
	v_readlane_b32 s12, v254, 38
	v_readlane_b32 s13, v254, 39
	v_accvgpr_write_b32 a124, v0
	v_lshl_add_u64 v[0:1], v[66:67], 2, s[2:3]
	v_writelane_b32 v255, s1, 7
	v_cmp_gt_u32_e64 s[0:1], 32, v48
	v_ashrrev_i32_e32 v69, 31, v68
	s_mov_b64 s[12:13], s[20:21]
	v_accvgpr_write_b32 a127, v1
	v_writelane_b32 v255, s0, 8
	v_add_u32_e32 v70, s25, v68
	v_accvgpr_write_b32 a126, v0
	v_lshl_add_u64 v[0:1], v[68:69], 2, s[2:3]
	v_writelane_b32 v255, s1, 9
	s_lshl_b64 s[0:1], s[12:13], 1
	v_ashrrev_i32_e32 v71, 31, v70
	v_accvgpr_write_b32 a129, v1
	v_writelane_b32 v255, s0, 10
	v_mul_hi_u32 v18, v22, v18
	v_accvgpr_write_b32 a128, v0
	v_lshl_add_u64 v[0:1], v[70:71], 2, s[2:3]
	v_writelane_b32 v255, s1, 11
	s_mov_b64 s[40:41], src_private_base
	s_mov_b32 s23, 0x10001
	v_add_u32_e32 v18, v22, v18
	v_add_u32_e32 v162, 8, v201
	;; [unrolled: 1-line block ×5, first 2 shown]
	v_accvgpr_write_b32 a131, v1
	s_lshl_b64 s[80:81], s[62:63], 8
	v_writelane_b32 v255, s62, 12
	v_cmp_lt_u32_e64 s[84:85], 63, v48
	v_accvgpr_write_b32 a13, v214
	v_accvgpr_write_b32 a40, v18
	v_cmp_gt_u32_e64 s[92:93], 64, v201
	v_cmp_gt_u32_e64 s[94:95], 56, v201
	;; [unrolled: 1-line block ×7, first 2 shown]
	v_accvgpr_write_b32 a14, v24
	v_accvgpr_write_b32 a12, v213
	;; [unrolled: 1-line block ×18, first 2 shown]
	v_mov_b32_e32 v55, v51
	v_mov_b32_e32 v89, v51
	s_mov_b32 s87, 0x42b17218
	s_mov_b32 s40, 0x3fb8aa3b
	;; [unrolled: 1-line block ×3, first 2 shown]
	v_accvgpr_write_b32 a21, v25
	v_mul_lo_u32 v220, v25, s23
	s_mov_b32 s88, 0xc1a00000
	v_accvgpr_write_b32 a8, v51
	v_accvgpr_write_b32 a9, v51
	;; [unrolled: 1-line block ×4, first 2 shown]
	s_mov_b32 s89, 0x5040100
	v_add_u32_e32 v217, 0x240, v227
	v_add_u32_e32 v223, 0x480, v227
	;; [unrolled: 1-line block ×14, first 2 shown]
	v_mul_u32_u24_e32 v216, 0x210, v192
	v_mov_b32_e32 v94, 0x7f800000
	v_mov_b32_e32 v96, 0
	v_accvgpr_write_b32 a130, v0
	v_cmp_gt_u32_e64 s[20:21], 8, v201
	v_cmp_gt_u32_e64 s[22:23], 64, v204
	;; [unrolled: 1-line block ×9, first 2 shown]
	s_lshl_b64 s[42:43], s[90:91], 8
	s_mov_b64 s[54:55], 0x80
	v_writelane_b32 v255, s63, 13
	v_accvgpr_write_b32 a18, v157
	v_accvgpr_write_b32 a19, v158
	;; [unrolled: 1-line block ×9, first 2 shown]
	v_readlane_b32 s6, v254, 32
	v_readlane_b32 s7, v254, 33
	;; [unrolled: 1-line block ×8, first 2 shown]
	s_branch .LBB29_16
.LBB29_14:                              ;   in Loop: Header=BB29_16 Depth=1
	s_or_b64 exec, exec, s[44:45]
	s_barrier
.LBB29_15:                              ;   in Loop: Header=BB29_16 Depth=1
	v_readlane_b32 s0, v254, 1
	s_add_i32 s4, s56, s0
	s_abs_i32 s45, s4
	v_readlane_b32 s1, v254, 24
	s_mul_hi_u32 s46, s45, s1
	v_readlane_b32 s1, v254, 25
	s_mul_i32 s46, s46, s1
	s_sub_i32 s45, s45, s46
	s_ashr_i32 s44, s4, 31
	s_sub_i32 s46, s45, s1
	s_cmp_ge_u32 s45, s1
	s_cselect_b32 s45, s46, s45
	s_sub_i32 s46, s45, s1
	s_cmp_ge_u32 s45, s1
	s_cselect_b32 s45, s46, s45
	s_xor_b32 s45, s45, s44
	s_sub_i32 s44, s44, s45
	s_add_i32 s56, s4, s44
	v_subrev_u32_e32 v0, s56, v46
	v_cmp_lt_i32_e64 s[44:45], s56, v46
	v_cmp_le_i32_e32 vcc, s0, v0
	s_and_b64 s[46:47], vcc, s[44:45]
	v_min_i32_e32 v99, s0, v0
	s_mov_b32 s52, 0
	s_and_b64 vcc, exec, s[46:47]
	s_cbranch_vccz .LBB29_319
.LBB29_16:                              ; =>This Loop Header: Depth=1
                                        ;     Child Loop BB29_213 Depth 2
                                        ;     Child Loop BB29_58 Depth 2
	s_abs_i32 s45, s56
	v_accvgpr_read_b32 v0, a38
	v_mul_hi_u32 v0, s45, v0
	v_mul_lo_u32 v1, v0, s33
	v_sub_u32_e32 v1, s45, v1
	v_add_u32_e32 v2, 1, v0
	v_subrev_u32_e32 v3, s33, v1
	v_cmp_le_u32_e32 vcc, s33, v1
	s_ashr_i32 s44, s56, 31
	v_readlane_b32 s0, v255, 1
	v_cndmask_b32_e32 v0, v0, v2, vcc
	v_cndmask_b32_e32 v1, v1, v3, vcc
	v_add_u32_e32 v2, 1, v0
	v_cmp_le_u32_e32 vcc, s33, v1
	s_xor_b32 s44, s44, s0
	v_readlane_b32 s0, v254, 43
	v_cndmask_b32_e32 v0, v0, v2, vcc
	v_xor_b32_e32 v0, s44, v0
	v_subrev_u32_e32 v0, s44, v0
	v_readlane_b32 s1, v254, 44
	s_mov_b32 s51, s53
	s_mov_b32 s50, s12
	s_andn2_b64 vcc, exec, s[0:1]
	v_ashrrev_i32_e32 v1, 31, v0
	s_cbranch_vccnz .LBB29_18
; %bb.17:                               ;   in Loop: Header=BB29_16 Depth=1
	v_sub_u32_e32 v2, 0, v0
	v_max_i32_e32 v2, v0, v2
	v_accvgpr_read_b32 v3, a40
	v_mul_hi_u32 v3, v2, v3
	v_readlane_b32 s0, v254, 63
	s_nop 1
	v_mul_lo_u32 v3, v3, s0
	v_sub_u32_e32 v2, v2, v3
	v_subrev_u32_e32 v3, s0, v2
	v_cmp_le_u32_e32 vcc, s0, v2
	s_nop 1
	v_cndmask_b32_e32 v2, v2, v3, vcc
	v_subrev_u32_e32 v3, s0, v2
	v_cmp_le_u32_e32 vcc, s0, v2
	v_readlane_b32 s0, v254, 15
	v_readlane_b32 s1, v254, 16
	v_cndmask_b32_e32 v2, v2, v3, vcc
	v_xor_b32_e32 v2, v2, v1
	v_sub_u32_e32 v2, v2, v1
	v_ashrrev_i32_e32 v3, 31, v2
	v_mul_lo_u32 v3, s0, v3
	v_mul_hi_u32 v4, s0, v2
	v_add_u32_e32 v3, v4, v3
	v_mul_lo_u32 v4, s1, v2
	v_mul_lo_u32 v2, s0, v2
	v_readlane_b32 s0, v254, 26
	v_add_u32_e32 v3, v3, v4
	v_readlane_b32 s6, v254, 32
	v_readlane_b32 s7, v254, 33
	;; [unrolled: 1-line block ×4, first 2 shown]
	v_lshl_add_u64 v[132:133], s[6:7], 0, v[2:3]
	v_readlane_b32 s3, v254, 29
	v_readlane_b32 s4, v254, 30
	;; [unrolled: 1-line block ×11, first 2 shown]
	s_branch .LBB29_19
.LBB29_18:                              ;   in Loop: Header=BB29_16 Depth=1
	v_mov_b64_e32 v[132:133], 0
.LBB29_19:                              ;   in Loop: Header=BB29_16 Depth=1
	v_readlane_b32 s0, v254, 7
	v_accvgpr_read_b32 v5, a39
	v_mov_b32_e32 v130, 1.0
	v_mul_lo_u32 v2, v0, s0
	v_sub_u32_e32 v2, s56, v2
	v_sub_u32_e32 v4, 0, v2
	v_max_i32_e32 v4, v2, v4
	v_mul_hi_u32 v5, v4, v5
	v_mul_lo_u32 v6, v5, s68
	v_sub_u32_e32 v4, v4, v6
	v_add_u32_e32 v6, 1, v5
	v_subrev_u32_e32 v7, s68, v4
	v_cmp_le_u32_e32 vcc, s68, v4
	v_ashrrev_i32_e32 v3, 31, v2
	v_readlane_b32 s0, v255, 2
	v_cndmask_b32_e32 v5, v5, v6, vcc
	v_cndmask_b32_e32 v4, v4, v7, vcc
	v_add_u32_e32 v6, 1, v5
	v_cmp_le_u32_e32 vcc, s68, v4
	v_xor_b32_e32 v3, s0, v3
	v_readlane_b32 s0, v254, 6
	v_cndmask_b32_e32 v4, v5, v6, vcc
	v_xor_b32_e32 v4, v4, v3
	v_sub_u32_e32 v4, v4, v3
	v_mul_lo_u32 v3, v4, s0
	v_sub_u32_e32 v3, v2, v3
	v_ashrrev_i32_e32 v2, 31, v3
	v_readlane_b32 s0, v255, 3
	v_sub_u32_e32 v5, 0, v3
	v_max_i32_e32 v5, v3, v5
	v_xor_b32_e32 v2, s0, v2
	v_readlane_b32 s0, v255, 5
	s_nop 1
	v_mul_hi_u32 v6, v5, s0
	v_readlane_b32 s0, v255, 4
	s_nop 1
	v_mul_lo_u32 v7, v6, s0
	v_sub_u32_e32 v5, v5, v7
	v_add_u32_e32 v7, 1, v6
	v_subrev_u32_e32 v8, s0, v5
	v_cmp_le_u32_e32 vcc, s0, v5
	s_nop 1
	v_cndmask_b32_e32 v6, v6, v7, vcc
	v_cndmask_b32_e32 v5, v5, v8, vcc
	v_add_u32_e32 v7, 1, v6
	v_cmp_le_u32_e32 vcc, s0, v5
	v_readlane_b32 s0, v254, 2
	s_nop 0
	v_cndmask_b32_e32 v5, v6, v7, vcc
	v_xor_b32_e32 v5, v5, v2
	v_sub_u32_e32 v5, v5, v2
	v_mul_lo_u32 v2, v4, s0
	v_readlane_b32 s0, v254, 52
	v_readlane_b32 s1, v254, 53
	v_add_u32_e32 v2, v2, v5
	s_andn2_b64 vcc, exec, s[0:1]
	s_cbranch_vccnz .LBB29_21
; %bb.20:                               ;   in Loop: Header=BB29_16 Depth=1
	v_readlane_b32 s0, v254, 48
	v_readlane_b32 s0, v254, 12
	v_add_u32_e32 v7, 1, v2
	v_readlane_b32 s2, v254, 50
	v_subrev_co_u32_e32 v8, vcc, s0, v2
	v_lshlrev_b32_e32 v8, 1, v8
	v_or_b32_e32 v8, 1, v8
	v_cndmask_b32_e32 v7, v8, v7, vcc
	v_readlane_b32 s3, v254, 51
	v_cvt_f32_i32_e32 v7, v7
	v_mov_b32_e32 v8, s2
	v_mov_b32_e32 v6, s3
	v_cndmask_b32_e32 v6, v6, v8, vcc
	v_cmp_neq_f32_e32 vcc, 1.0, v6
	s_mov_b32 s44, 0x3f2aaaab
	s_movk_i32 s0, 0x204
	v_cndmask_b32_e32 v22, 1.0, v7, vcc
	v_cmp_neq_f32_e32 vcc, 0, v22
	v_readlane_b32 s1, v254, 49
	s_brev_b32 s1, -2
	v_cndmask_b32_e32 v23, 1.0, v6, vcc
	v_frexp_mant_f32_e64 v6, |v23|
	v_cmp_gt_f32_e32 vcc, s44, v6
	s_mov_b32 s44, 0x3f317218
	v_cmp_gt_f32_e64 s[46:47], 0, v22
	v_cndmask_b32_e64 v7, 1.0, 2.0, vcc
	v_mul_f32_e32 v6, v6, v7
	v_add_f32_e32 v9, 1.0, v6
	v_rcp_f32_e32 v14, v9
	v_add_f32_e32 v7, -1.0, v9
	v_sub_f32_e32 v11, v6, v7
	v_add_f32_e32 v7, -1.0, v6
	v_mul_f32_e32 v15, v7, v14
	v_mul_f32_e32 v8, v9, v15
	v_fma_f32 v10, v15, v9, -v8
	v_fmac_f32_e32 v10, v15, v11
	v_add_f32_e32 v6, v8, v10
	v_sub_f32_e32 v9, v7, v6
	v_pk_add_f32 v[12:13], v[6:7], v[8:9] neg_lo:[0,1] neg_hi:[0,1]
	v_mov_b32_e32 v11, v6
	v_pk_add_f32 v[6:7], v[12:13], v[10:11] neg_lo:[0,1] neg_hi:[0,1]
	v_mov_b32_e32 v10, 0x3e91f4c4
	v_add_f32_e32 v6, v6, v7
	v_add_f32_e32 v6, v9, v6
	v_mul_f32_e32 v7, v14, v6
	v_add_f32_e32 v6, v15, v7
	v_sub_f32_e32 v8, v6, v15
	v_sub_f32_e32 v16, v7, v8
	v_mul_f32_e32 v7, v6, v6
	v_fma_f32 v9, v6, v6, -v7
	v_add_f32_e32 v8, v16, v16
	v_fmac_f32_e32 v9, v6, v8
	v_add_f32_e32 v8, v7, v9
	v_fmamk_f32 v10, v8, 0x3e76c4e1, v10
	v_fmaak_f32 v10, v8, v10, 0x3ecccdef
	v_sub_f32_e32 v7, v8, v7
	v_sub_f32_e32 v17, v9, v7
	v_mul_f32_e32 v7, v8, v10
	v_fma_f32 v9, v8, v10, -v7
	v_fmac_f32_e32 v9, v17, v10
	v_add_f32_e32 v10, v7, v9
	v_add_f32_e32 v11, 0x3f2aaaaa, v10
	v_sub_f32_e32 v7, v10, v7
	v_sub_f32_e32 v7, v9, v7
	v_add_f32_e32 v9, 0xbf2aaaaa, v11
	v_add_f32_e32 v7, 0x31739010, v7
	v_sub_f32_e32 v9, v10, v9
	v_pk_mul_f32 v[12:13], v[6:7], v[8:9]
	v_pk_add_f32 v[14:15], v[6:7], v[8:9]
	v_fma_f32 v10, v8, v6, -v12
	v_fmac_f32_e32 v10, v8, v16
	v_mov_b32_e32 v13, v15
	v_fmac_f32_e32 v10, v17, v6
	v_pk_add_f32 v[8:9], v[12:13], v[10:11]
	v_ldexp_f32 v18, v16, 1
	v_sub_f32_e32 v7, v8, v12
	v_sub_f32_e32 v7, v10, v7
	;; [unrolled: 1-line block ×3, first 2 shown]
	v_add_f32_e32 v14, v15, v10
	v_pk_mul_f32 v[10:11], v[8:9], v[8:9] op_sel:[0,1] op_sel_hi:[1,0]
	v_cvt_f64_f32_e64 v[12:13], |v23|
	v_frexp_exp_i32_f64_e32 v11, v[12:13]
	v_subbrev_co_u32_e32 v11, vcc, 0, v11, vcc
	v_cvt_f32_i32_e32 v11, v11
	v_fma_f32 v12, v8, v9, -v10
	v_fmac_f32_e32 v12, v8, v14
	v_fmac_f32_e32 v12, v7, v9
	v_mul_f32_e32 v8, 0x3f317218, v11
	v_fma_f32 v14, v11, s44, -v8
	v_fmac_f32_e32 v14, 0xb102e308, v11
	v_ldexp_f32 v15, v6, 1
	v_add_f32_e32 v9, v10, v12
	v_pk_add_f32 v[6:7], v[8:9], v[14:15]
	v_mov_b32_e32 v16, v9
	v_mov_b32_e32 v17, v7
	;; [unrolled: 1-line block ×3, first 2 shown]
	v_pk_add_f32 v[10:11], v[16:17], v[10:11] neg_lo:[0,1] neg_hi:[0,1]
	v_mov_b32_e32 v13, v9
	v_pk_add_f32 v[10:11], v[12:13], v[10:11] neg_lo:[0,1] neg_hi:[0,1]
	v_mov_b32_e32 v15, v6
	v_add_f32_e32 v9, v18, v10
	v_add_f32_e32 v9, v9, v11
	v_pk_add_f32 v[10:11], v[6:7], v[8:9] neg_lo:[0,1] neg_hi:[0,1]
	v_pk_add_f32 v[12:13], v[6:7], v[8:9]
	v_mov_b32_e32 v20, v7
	v_mov_b32_e32 v11, v13
	v_pk_add_f32 v[16:17], v[14:15], v[10:11] neg_lo:[0,1] neg_hi:[0,1]
	v_pk_add_f32 v[10:11], v[14:15], v[10:11]
	v_mov_b32_e32 v8, v9
	v_pk_add_f32 v[14:15], v[10:11], v[6:7] op_sel:[1,0] op_sel_hi:[0,1] neg_lo:[0,1] neg_hi:[0,1]
	v_pk_add_f32 v[18:19], v[12:13], v[14:15] op_sel_hi:[1,0] neg_lo:[0,1] neg_hi:[0,1]
	v_mov_b32_e32 v12, v13
	v_mov_b32_e32 v13, v11
	;; [unrolled: 1-line block ×3, first 2 shown]
	v_pk_add_f32 v[12:13], v[12:13], v[20:21] neg_lo:[0,1] neg_hi:[0,1]
	v_mov_b32_e32 v9, v6
	v_pk_add_f32 v[6:7], v[8:9], v[12:13] neg_lo:[0,1] neg_hi:[0,1]
	v_mov_b32_e32 v18, v16
	v_pk_add_f32 v[8:9], v[18:19], v[6:7]
	v_mov_b32_e32 v17, v11
	v_pk_add_f32 v[12:13], v[8:9], v[8:9] op_sel:[0,1] op_sel_hi:[1,0]
	s_mov_b32 s44, 0x7f800000
	v_pk_add_f32 v[10:11], v[10:11], v[12:13] op_sel:[1,0] op_sel_hi:[0,1]
	v_mov_b32_e32 v9, v10
	v_pk_add_f32 v[14:15], v[8:9], v[16:17] neg_lo:[0,1] neg_hi:[0,1]
	v_mov_b32_e32 v7, v12
	v_sub_f32_e32 v8, v8, v14
	v_pk_add_f32 v[6:7], v[6:7], v[14:15] neg_lo:[0,1] neg_hi:[0,1]
	v_sub_f32_e32 v8, v16, v8
	v_add_f32_e32 v6, v6, v8
	v_add_f32_e32 v6, v6, v7
	v_add_f32_e32 v7, v10, v6
	v_sub_f32_e32 v8, v7, v10
	v_sub_f32_e32 v6, v6, v8
	v_mul_f32_e32 v8, v22, v7
	v_fma_f32 v7, v22, v7, -v8
	v_fmac_f32_e32 v7, v22, v6
	v_add_f32_e32 v6, v8, v7
	v_cmp_class_f32_e64 vcc, v8, s0
	v_sub_f32_e32 v9, v6, v8
	v_sub_f32_e32 v7, v7, v9
	v_cndmask_b32_e32 v6, v6, v8, vcc
	v_mov_b32_e32 v8, 0x37000000
	v_cmp_eq_f32_e32 vcc, s87, v6
	v_cmp_class_f32_e64 s[48:49], v23, s0
	s_nop 0
	v_cndmask_b32_e32 v8, 0, v8, vcc
	v_sub_f32_e32 v9, v6, v8
	v_mul_f32_e32 v10, 0x3fb8aa3b, v9
	v_fma_f32 v11, v9, s40, -v10
	v_rndne_f32_e32 v12, v10
	v_fmac_f32_e32 v11, 0x32a5705f, v9
	v_sub_f32_e32 v10, v10, v12
	v_add_f32_e32 v10, v10, v11
	v_exp_f32_e32 v10, v10
	v_cvt_i32_f32_e32 v11, v12
	v_cmp_neq_f32_e64 vcc, |v6|, s44
	s_nop 1
	v_cndmask_b32_e32 v6, 0, v7, vcc
	v_ldexp_f32 v7, v10, v11
	v_cmp_ngt_f32_e32 vcc, s97, v9
	v_add_f32_e32 v6, v8, v6
	s_nop 0
	v_cndmask_b32_e32 v7, 0, v7, vcc
	v_cmp_nlt_f32_e32 vcc, s87, v9
	v_mov_b32_e32 v9, 0x7fc00000
	s_nop 0
	v_cndmask_b32_e32 v7, v94, v7, vcc
	v_fma_f32 v6, v7, v6, v7
	v_cmp_class_f32_e64 vcc, v7, s0
	s_nop 1
	v_cndmask_b32_e32 v6, v6, v7, vcc
	v_trunc_f32_e32 v7, v22
	v_cmp_eq_f32_e32 vcc, v7, v22
	v_mul_f32_e32 v7, 0.5, v22
	v_trunc_f32_e32 v8, v7
	v_cmp_neq_f32_e64 s[44:45], v8, v7
	s_and_b64 s[44:45], vcc, s[44:45]
	s_nop 0
	v_cndmask_b32_e64 v7, 1.0, v23, s[44:45]
	v_bfi_b32 v6, s1, v6, v7
	v_cndmask_b32_e32 v7, v9, v6, vcc
	v_cmp_gt_f32_e32 vcc, 0, v23
	v_cndmask_b32_e64 v8, 0, v23, s[44:45]
	s_nop 0
	v_cndmask_b32_e32 v6, v6, v7, vcc
	v_cmp_eq_f32_e32 vcc, 0, v23
	s_xor_b64 s[46:47], s[46:47], vcc
	v_cndmask_b32_e64 v7, v94, 0, s[46:47]
	v_bfi_b32 v7, s1, v7, v8
	s_or_b64 vcc, vcc, s[48:49]
	v_cndmask_b32_e32 v6, v6, v7, vcc
	v_cmp_o_f32_e32 vcc, v23, v23
	s_nop 1
	v_cndmask_b32_e32 v130, v9, v6, vcc
.LBB29_21:                              ;   in Loop: Header=BB29_16 Depth=1
	v_readlane_b32 s0, v254, 3
	s_nop 1
	v_mul_lo_u32 v5, v5, s0
	v_sub_u32_e32 v3, v3, v5
	v_ashrrev_i32_e32 v5, 31, v3
	v_readlane_b32 s0, v254, 23
	v_sub_u32_e32 v6, 0, v3
	v_max_i32_e32 v3, v3, v6
	v_xor_b32_e32 v5, s0, v5
	v_readlane_b32 s0, v254, 24
	s_nop 1
	v_mul_hi_u32 v6, v3, s0
	v_readlane_b32 s0, v254, 25
	s_nop 1
	v_mul_lo_u32 v7, v6, s0
	v_sub_u32_e32 v3, v3, v7
	v_add_u32_e32 v7, 1, v6
	v_subrev_u32_e32 v8, s0, v3
	v_cmp_le_u32_e32 vcc, s0, v3
	s_nop 1
	v_cndmask_b32_e32 v6, v6, v7, vcc
	v_cndmask_b32_e32 v3, v3, v8, vcc
	v_add_u32_e32 v7, 1, v6
	v_cmp_le_u32_e32 vcc, s0, v3
	v_readlane_b32 s0, v254, 54
	v_readlane_b32 s1, v254, 55
	v_cndmask_b32_e32 v3, v6, v7, vcc
	v_xor_b32_e32 v3, v3, v5
	s_andn2_b64 vcc, exec, s[0:1]
	v_readlane_b32 s0, v254, 26
	v_sub_u32_e32 v5, v3, v5
	v_readlane_b32 s1, v254, 27
	v_readlane_b32 s2, v254, 28
	;; [unrolled: 1-line block ×15, first 2 shown]
	s_cbranch_vccnz .LBB29_23
; %bb.22:                               ;   in Loop: Header=BB29_16 Depth=1
	v_readlane_b32 s6, v254, 0
	s_nop 1
	v_mul_lo_u32 v3, v0, s6
	v_add_u32_e32 v6, v5, v3
	v_ashrrev_i32_e32 v7, 31, v6
	v_lshlrev_b64 v[6:7], 2, v[6:7]
	v_lshl_add_u64 v[6:7], s[10:11], 0, v[6:7]
	global_load_dword v3, v[6:7], off
	s_waitcnt vmcnt(0)
	v_ashrrev_i32_e32 v6, 31, v3
	v_lshrrev_b32_e32 v6, 26, v6
	v_add_u32_e32 v3, v3, v6
	v_ashrrev_i32_e32 v3, 6, v3
	v_min_i32_e32 v99, v99, v3
.LBB29_23:                              ;   in Loop: Header=BB29_16 Depth=1
	v_readlane_b32 s6, v254, 45
	v_lshlrev_b32_e32 v97, 5, v5
	s_cmp_lg_u32 s52, 0
	v_mul_lo_u32 v3, s6, v0
	v_add_u32_e32 v3, v2, v3
	v_lshlrev_b32_e32 v50, 7, v3
	v_lshlrev_b64 v[6:7], 3, v[50:51]
	v_readlane_b32 s6, v254, 13
	v_lshl_add_u64 v[124:125], s[12:13], 0, v[6:7]
	v_readlane_b32 s7, v254, 14
	v_mul_lo_u32 v3, s6, v1
	v_mul_hi_u32 v6, s6, v0
	v_add_u32_e32 v3, v6, v3
	v_mul_lo_u32 v6, s7, v0
	v_add_u32_e32 v137, v3, v6
	v_mul_lo_u32 v136, s6, v0
	v_lshl_add_u64 v[6:7], s[4:5], 0, v[136:137]
	v_readlane_b32 s4, v254, 19
	v_readlane_b32 s7, v254, 22
	;; [unrolled: 1-line block ×3, first 2 shown]
	v_ashrrev_i32_e32 v3, 31, v2
	v_mul_lo_u32 v138, v4, s7
	v_ashrrev_i32_e32 v139, 31, v138
	v_lshl_add_u64 v[128:129], v[6:7], 0, v[138:139]
	v_lshlrev_b64 v[6:7], 2, v[2:3]
	v_readlane_b32 s6, v254, 46
	v_lshl_add_u64 v[6:7], s[8:9], 0, v[6:7]
	v_readlane_b32 s7, v254, 47
	v_readlane_b32 s5, v254, 20
	v_mul_lo_u32 v1, s4, v1
	v_cndmask_b32_e64 v127, v7, 0, s[6:7]
	v_cndmask_b32_e64 v126, v6, 0, s[6:7]
	v_readlane_b32 s6, v254, 8
	v_readlane_b32 s7, v254, 9
	v_mul_lo_u32 v140, s4, v0
	v_mul_lo_u32 v2, v2, s6
	;; [unrolled: 1-line block ×3, first 2 shown]
	v_ashrrev_i32_e32 v7, 31, v6
	v_lshl_add_u64 v[6:7], s[0:1], 0, v[6:7]
	v_ashrrev_i32_e32 v3, 31, v2
	v_lshl_add_u64 v[144:145], v[6:7], 0, v[2:3]
	v_mul_hi_u32 v2, s4, v0
	v_readlane_b32 s0, v254, 17
	v_add_u32_e32 v1, v2, v1
	v_mul_lo_u32 v2, s5, v0
	v_readlane_b32 s1, v254, 18
	v_add_u32_e32 v141, v1, v2
	v_lshl_add_u64 v[0:1], s[2:3], 0, v[140:141]
	v_mul_lo_u32 v142, v4, s1
	v_ashrrev_i32_e32 v143, 31, v142
	v_lshl_add_u64 v[134:135], v[0:1], 0, v[142:143]
	v_add_u32_e32 v98, v192, v97
	s_mov_b32 s53, s51
	s_cbranch_scc0 .LBB29_68
; %bb.24:                               ;   in Loop: Header=BB29_16 Depth=1
	v_cmp_le_i32_e32 vcc, s96, v98
	s_and_saveexec_b64 s[44:45], vcc
	s_xor_b64 s[44:45], exec, s[44:45]
	s_mov_b32 s12, s50
; %bb.25:                               ;   in Loop: Header=BB29_16 Depth=1
	v_add_u32_e32 v0, v251, v216
	ds_write2st64_b32 v0, v51, v51 offset1:1
; %bb.26:                               ;   in Loop: Header=BB29_16 Depth=1
	s_andn2_saveexec_b64 s[44:45], s[44:45]
	s_cbranch_execz .LBB29_28
; %bb.27:                               ;   in Loop: Header=BB29_16 Depth=1
	v_mad_u64_u32 v[0:1], s[46:47], v98, s53, v[48:49]
	v_ashrrev_i32_e32 v1, 31, v0
	v_lshl_add_u64 v[0:1], v[0:1], 3, v[144:145]
	global_load_dwordx2 v[2:3], v[0:1], off
	s_waitcnt vmcnt(0)
	v_cvt_pk_f16_f32 v2, v2, v3
	global_load_dwordx2 v[0:1], v[0:1], off offset:512
	v_pk_mul_f16 v2, v2, v220
	s_waitcnt vmcnt(0)
	v_cvt_pk_f16_f32 v0, v0, v1
	v_pk_mul_f16 v0, v0, v220
	v_accvgpr_read_b32 v1, a77
	ds_write2st64_b32 v1, v2, v0 offset1:1
.LBB29_28:                              ;   in Loop: Header=BB29_16 Depth=1
	s_or_b64 exec, exec, s[44:45]
	v_add_u32_e32 v172, v198, v97
	v_cmp_le_i32_e32 vcc, s96, v172
	s_and_saveexec_b64 s[44:45], vcc
	s_xor_b64 s[44:45], exec, s[44:45]
; %bb.29:                               ;   in Loop: Header=BB29_16 Depth=1
	v_add_u32_e32 v0, v251, v216
	v_add_u32_e32 v0, 64, v0
	ds_write2st64_b32 v0, v51, v51 offset0:8 offset1:9
; %bb.30:                               ;   in Loop: Header=BB29_16 Depth=1
	s_andn2_saveexec_b64 s[44:45], s[44:45]
	s_cbranch_execz .LBB29_32
; %bb.31:                               ;   in Loop: Header=BB29_16 Depth=1
	v_mad_u64_u32 v[0:1], s[46:47], v172, s53, v[48:49]
	v_ashrrev_i32_e32 v1, 31, v0
	v_lshl_add_u64 v[0:1], v[0:1], 3, v[144:145]
	global_load_dwordx2 v[2:3], v[0:1], off
	s_waitcnt vmcnt(0)
	v_cvt_pk_f16_f32 v2, v2, v3
	global_load_dwordx2 v[0:1], v[0:1], off offset:512
	v_pk_mul_f16 v2, v2, v220
	s_waitcnt vmcnt(0)
	v_cvt_pk_f16_f32 v0, v0, v1
	v_pk_mul_f16 v0, v0, v220
	v_accvgpr_read_b32 v1, a92
	ds_write2st64_b32 v1, v2, v0 offset1:1
.LBB29_32:                              ;   in Loop: Header=BB29_16 Depth=1
	s_or_b64 exec, exec, s[44:45]
	v_add_u32_e32 v173, v159, v97
	v_cmp_le_i32_e32 vcc, s96, v173
	s_and_saveexec_b64 s[44:45], vcc
	s_xor_b64 s[44:45], exec, s[44:45]
; %bb.33:                               ;   in Loop: Header=BB29_16 Depth=1
	v_add_u32_e32 v0, v251, v216
	v_add_u32_e32 v0, 0x80, v0
	ds_write2st64_b32 v0, v51, v51 offset0:16 offset1:17
	;; [unrolled: 27-line block ×3, first 2 shown]
; %bb.38:                               ;   in Loop: Header=BB29_16 Depth=1
	s_andn2_saveexec_b64 s[44:45], s[44:45]
	s_cbranch_execz .LBB29_40
; %bb.39:                               ;   in Loop: Header=BB29_16 Depth=1
	v_mad_u64_u32 v[0:1], s[46:47], v175, s53, v[48:49]
	v_ashrrev_i32_e32 v1, 31, v0
	v_lshl_add_u64 v[0:1], v[0:1], 3, v[144:145]
	global_load_dwordx2 v[2:3], v[0:1], off
	s_waitcnt vmcnt(0)
	v_cvt_pk_f16_f32 v2, v2, v3
	global_load_dwordx2 v[0:1], v[0:1], off offset:512
	v_pk_mul_f16 v2, v2, v220
	s_waitcnt vmcnt(0)
	v_cvt_pk_f16_f32 v0, v0, v1
	v_pk_mul_f16 v0, v0, v220
	v_accvgpr_read_b32 v1, a94
	ds_write2st64_b32 v1, v2, v0 offset1:1
.LBB29_40:                              ;   in Loop: Header=BB29_16 Depth=1
	s_or_b64 exec, exec, s[44:45]
	v_add_u32_e32 v174, v157, v97
	v_cmp_le_i32_e32 vcc, s96, v174
	s_and_saveexec_b64 s[44:45], vcc
	s_xor_b64 s[44:45], exec, s[44:45]
; %bb.41:                               ;   in Loop: Header=BB29_16 Depth=1
	v_add_u32_e32 v0, v251, v216
	ds_write2st64_b32 v0, v51, v51 offset0:33 offset1:34
; %bb.42:                               ;   in Loop: Header=BB29_16 Depth=1
	s_andn2_saveexec_b64 s[44:45], s[44:45]
	s_cbranch_execz .LBB29_44
; %bb.43:                               ;   in Loop: Header=BB29_16 Depth=1
	v_mad_u64_u32 v[0:1], s[46:47], v174, s53, v[48:49]
	v_ashrrev_i32_e32 v1, 31, v0
	v_lshl_add_u64 v[0:1], v[0:1], 3, v[144:145]
	global_load_dwordx2 v[2:3], v[0:1], off
	s_waitcnt vmcnt(0)
	v_cvt_pk_f16_f32 v2, v2, v3
	global_load_dwordx2 v[0:1], v[0:1], off offset:512
	v_pk_mul_f16 v2, v2, v220
	s_waitcnt vmcnt(0)
	v_cvt_pk_f16_f32 v0, v0, v1
	v_pk_mul_f16 v0, v0, v220
	v_accvgpr_read_b32 v1, a95
	ds_write2st64_b32 v1, v2, v0 offset1:1
.LBB29_44:                              ;   in Loop: Header=BB29_16 Depth=1
	s_or_b64 exec, exec, s[44:45]
	v_add_u32_e32 v176, v226, v97
	v_cmp_le_i32_e32 vcc, s96, v176
	s_and_saveexec_b64 s[44:45], vcc
	s_xor_b64 s[44:45], exec, s[44:45]
; %bb.45:                               ;   in Loop: Header=BB29_16 Depth=1
	v_add_u32_e32 v0, v251, v216
	v_add_u32_e32 v0, 64, v0
	ds_write2st64_b32 v0, v51, v51 offset0:41 offset1:42
; %bb.46:                               ;   in Loop: Header=BB29_16 Depth=1
	s_andn2_saveexec_b64 s[44:45], s[44:45]
	s_cbranch_execz .LBB29_48
; %bb.47:                               ;   in Loop: Header=BB29_16 Depth=1
	v_mad_u64_u32 v[0:1], s[46:47], v176, s53, v[48:49]
	v_ashrrev_i32_e32 v1, 31, v0
	v_lshl_add_u64 v[0:1], v[0:1], 3, v[144:145]
	global_load_dwordx2 v[2:3], v[0:1], off
	s_waitcnt vmcnt(0)
	v_cvt_pk_f16_f32 v2, v2, v3
	global_load_dwordx2 v[0:1], v[0:1], off offset:512
	v_pk_mul_f16 v2, v2, v220
	s_waitcnt vmcnt(0)
	v_cvt_pk_f16_f32 v0, v0, v1
	v_pk_mul_f16 v0, v0, v220
	v_accvgpr_read_b32 v1, a96
	ds_write2st64_b32 v1, v2, v0 offset1:1
.LBB29_48:                              ;   in Loop: Header=BB29_16 Depth=1
	s_or_b64 exec, exec, s[44:45]
	v_add_u32_e32 v177, v225, v97
	v_cmp_le_i32_e32 vcc, s96, v177
	s_and_saveexec_b64 s[44:45], vcc
	s_xor_b64 s[44:45], exec, s[44:45]
; %bb.49:                               ;   in Loop: Header=BB29_16 Depth=1
	v_add_u32_e32 v0, v251, v216
	;; [unrolled: 27-line block ×3, first 2 shown]
	v_add_u32_e32 v0, 0xc0, v0
	ds_write2st64_b32 v0, v51, v51 offset0:57 offset1:58
; %bb.54:                               ;   in Loop: Header=BB29_16 Depth=1
	s_andn2_saveexec_b64 s[44:45], s[44:45]
	s_cbranch_execz .LBB29_56
; %bb.55:                               ;   in Loop: Header=BB29_16 Depth=1
	v_mad_u64_u32 v[0:1], s[46:47], v178, s53, v[48:49]
	v_ashrrev_i32_e32 v1, 31, v0
	v_lshl_add_u64 v[0:1], v[0:1], 3, v[144:145]
	global_load_dwordx2 v[2:3], v[0:1], off
	s_waitcnt vmcnt(0)
	v_cvt_pk_f16_f32 v2, v2, v3
	global_load_dwordx2 v[0:1], v[0:1], off offset:512
	v_pk_mul_f16 v2, v2, v220
	s_waitcnt vmcnt(0)
	v_cvt_pk_f16_f32 v0, v0, v1
	v_pk_mul_f16 v0, v0, v220
	v_accvgpr_read_b32 v1, a98
	ds_write2st64_b32 v1, v2, v0 offset1:1
.LBB29_56:                              ;   in Loop: Header=BB29_16 Depth=1
	s_or_b64 exec, exec, s[44:45]
	s_waitcnt lgkmcnt(0)
	s_barrier
	ds_read2_b64 v[30:33], v200 offset1:4
	ds_read2_b64 v[26:29], v200 offset0:8 offset1:12
	ds_read2_b64 v[22:25], v200 offset0:16 offset1:20
	;; [unrolled: 1-line block ×7, first 2 shown]
	v_add_u32_e32 v100, -1, v99
	v_cmp_ge_i32_e32 vcc, s52, v100
	s_waitcnt lgkmcnt(0)
	s_barrier
	s_cbranch_vccnz .LBB29_69
; %bb.57:                               ;   in Loop: Header=BB29_16 Depth=1
	v_readlane_b32 s0, v254, 10
	v_readlane_b32 s1, v254, 11
	v_xor_b32_e32 v1, 32, v219
	v_mul_hi_u32 v0, s0, v98
	v_add_u32_e32 v0, v98, v0
	v_lshrrev_b32_e32 v0, s1, v0
	v_mul_lo_u32 v0, v0, s96
	v_sub_u32_e32 v0, v98, v0
	v_mad_i64_i32 v[148:149], s[46:47], v0, s12, 0
	v_mul_hi_u32 v0, s0, v172
	v_add_u32_e32 v0, v172, v0
	v_lshrrev_b32_e32 v0, s1, v0
	v_mul_lo_u32 v0, v0, s96
	v_sub_u32_e32 v0, v172, v0
	v_mad_i64_i32 v[150:151], s[46:47], v0, s12, 0
	;; [unrolled: 6-line block ×8, first 2 shown]
	v_and_b32_e32 v0, 64, v219
	v_add_u32_e32 v0, 64, v0
	v_cmp_lt_i32_e32 vcc, v1, v0
	v_lshlrev_b32_e32 v50, 1, v48
	v_cmp_ne_u64_e64 s[44:45], 0, v[132:133]
	v_cndmask_b32_e32 v1, v219, v1, vcc
	v_lshlrev_b32_e32 v101, 2, v1
	v_xor_b32_e32 v1, 16, v219
	v_cmp_lt_i32_e32 vcc, v1, v0
	v_lshl_add_u64 v[146:147], v[132:133], 0, v[50:51]
	v_mov_b32_e32 v164, v130
	v_cndmask_b32_e32 v0, v219, v1, vcc
	v_lshlrev_b32_e32 v102, 2, v0
	v_mov_b32_e32 v165, v130
	s_lshl_b32 s48, s52, 6
	v_mov_b32_e32 v103, 0
	v_mov_b32_e32 v53, 0xfeffffff
	;; [unrolled: 1-line block ×34, first 2 shown]
.LBB29_58:                              ;   Parent Loop BB29_16 Depth=1
                                        ; =>  This Inner Loop Header: Depth=2
	v_cndmask_b32_e64 v1, 0, 1, s[44:45]
	v_cmp_ne_u32_e64 s[46:47], 1, v1
	s_andn2_b64 vcc, exec, s[44:45]
	s_ashr_i32 s49, s48, 31
	s_cbranch_vccnz .LBB29_64
; %bb.59:                               ;   in Loop: Header=BB29_58 Depth=2
	s_and_saveexec_b64 s[50:51], s[84:85]
	s_xor_b64 s[50:51], exec, s[50:51]
	s_cbranch_execz .LBB29_61
; %bb.60:                               ;   in Loop: Header=BB29_58 Depth=2
	ds_write_b16 v227, v51 offset:33792
	ds_write_b16 v217, v51 offset:33792
	;; [unrolled: 1-line block ×4, first 2 shown]
.LBB29_61:                              ;   in Loop: Header=BB29_58 Depth=2
	s_or_saveexec_b64 s[50:51], s[50:51]
	v_mov_b32_e32 v1, 0
	v_mov_b32_e32 v34, 0
	v_mov_b32_e32 v35, 0
	v_mov_b32_e32 v36, 0
	s_xor_b64 exec, exec, s[50:51]
	s_cbranch_execz .LBB29_63
; %bb.62:                               ;   in Loop: Header=BB29_58 Depth=2
	v_lshl_add_u64 v[36:37], s[48:49], 1, v[146:147]
	v_lshl_add_u64 v[34:35], v[148:149], 1, v[36:37]
	global_load_ushort v1, v[34:35], off
	v_lshl_add_u64 v[34:35], v[150:151], 1, v[36:37]
	global_load_ushort v38, v[34:35], off
	v_lshl_add_u64 v[34:35], v[152:153], 1, v[36:37]
	global_load_ushort v39, v[34:35], off
	v_lshl_add_u64 v[34:35], v[154:155], 1, v[36:37]
	global_load_ushort v34, v[34:35], off
	s_waitcnt vmcnt(3)
	ds_write_b16 v227, v1 offset:33792
	s_waitcnt vmcnt(2)
	ds_write_b16 v217, v38 offset:33792
	;; [unrolled: 2-line block ×4, first 2 shown]
	v_lshl_add_u64 v[34:35], v[156:157], 1, v[36:37]
	global_load_ushort v1, v[34:35], off
	v_lshl_add_u64 v[34:35], v[158:159], 1, v[36:37]
	v_lshl_add_u64 v[38:39], v[160:161], 1, v[36:37]
	;; [unrolled: 1-line block ×3, first 2 shown]
	global_load_ushort v34, v[34:35], off
	s_nop 0
	global_load_ushort v36, v[36:37], off
	s_nop 0
	global_load_ushort v35, v[38:39], off
.LBB29_63:                              ;   in Loop: Header=BB29_58 Depth=2
	s_or_b64 exec, exec, s[50:51]
	s_waitcnt vmcnt(3)
	ds_write_b16 v214, v1 offset:33792
	s_waitcnt vmcnt(2)
	ds_write_b16 v213, v34 offset:33792
	;; [unrolled: 2-line block ×3, first 2 shown]
	ds_write_b16 v249, v36 offset:33792
.LBB29_64:                              ;   in Loop: Header=BB29_58 Depth=2
	s_mul_hi_i32 s51, s48, s62
	s_mul_i32 s50, s48, s62
	s_lshl_b64 s[50:51], s[50:51], 2
	v_lshl_add_u64 v[38:39], v[134:135], 0, s[50:51]
	v_lshl_add_u64 v[34:35], v[56:57], 2, v[38:39]
	v_lshlrev_b32_e32 v50, 2, v52
	v_lshl_add_u64 v[34:35], v[34:35], 0, v[50:51]
	v_mov_b32_e32 v1, s41
	v_cndmask_b32_e64 v35, v1, v35, s[92:93]
	v_cndmask_b32_e64 v34, v96, v34, s[92:93]
	scratch_store_dwordx4 off, a[8:11], off
	flat_load_dwordx4 v[34:37], v[34:35]
	v_lshl_add_u64 v[40:41], v[58:59], 2, v[38:39]
	v_lshl_add_u64 v[40:41], v[40:41], 0, v[50:51]
	v_cndmask_b32_e64 v41, v1, v41, s[94:95]
	v_cndmask_b32_e64 v40, v96, v40, s[94:95]
	s_and_b64 vcc, exec, s[46:47]
	s_waitcnt vmcnt(0) lgkmcnt(0)
	ds_write_b128 v202, v[34:37]
	flat_load_dwordx4 v[34:37], v[40:41]
	v_lshl_add_u64 v[40:41], v[60:61], 2, v[38:39]
	v_lshl_add_u64 v[40:41], v[40:41], 0, v[50:51]
	v_cndmask_b32_e64 v41, v1, v41, s[78:79]
	v_cndmask_b32_e64 v40, v96, v40, s[78:79]
	s_waitcnt vmcnt(0) lgkmcnt(0)
	ds_write_b128 v247, v[34:37]
	flat_load_dwordx4 v[34:37], v[40:41]
	v_lshl_add_u64 v[40:41], v[62:63], 2, v[38:39]
	v_lshl_add_u64 v[40:41], v[40:41], 0, v[50:51]
	v_cndmask_b32_e64 v41, v1, v41, s[98:99]
	v_cndmask_b32_e64 v40, v96, v40, s[98:99]
	;; [unrolled: 7-line block ×5, first 2 shown]
	v_lshl_add_u64 v[38:39], v[70:71], 2, v[38:39]
	v_lshl_add_u64 v[38:39], v[38:39], 0, v[50:51]
	v_cndmask_b32_e64 v39, v1, v39, s[20:21]
	v_cndmask_b32_e64 v38, v96, v38, s[20:21]
	v_add_u32_e32 v1, 0x4000, v203
	s_waitcnt vmcnt(0) lgkmcnt(0)
	ds_write_b128 v241, v[34:37]
	flat_load_dwordx4 v[34:37], v[40:41]
	s_waitcnt vmcnt(0) lgkmcnt(0)
	ds_write_b128 v211, v[34:37]
	flat_load_dwordx4 v[34:37], v[38:39]
	s_waitcnt vmcnt(0) lgkmcnt(0)
	ds_write_b128 v222, v[34:37]
	s_waitcnt lgkmcnt(0)
	s_barrier
	ds_read2_b64 v[34:37], v203 offset1:4
	ds_read2_b64 v[38:41], v1 offset0:64 offset1:68
	s_waitcnt lgkmcnt(1)
	v_mfma_f32_16x16x16_f16 a[0:3], v[34:35], v[30:31], 0
	s_waitcnt lgkmcnt(0)
	v_mfma_f32_16x16x16_f16 a[4:7], v[38:39], v[30:31], 0
	v_mfma_f32_16x16x16_f16 a[0:3], v[36:37], v[32:33], a[0:3]
	ds_read2_b64 v[34:37], v203 offset0:8 offset1:12
	v_mfma_f32_16x16x16_f16 a[4:7], v[40:41], v[32:33], a[4:7]
	ds_read2_b64 v[38:41], v1 offset0:72 offset1:76
	s_waitcnt lgkmcnt(1)
	v_mfma_f32_16x16x16_f16 a[0:3], v[34:35], v[26:27], a[0:3]
	s_waitcnt lgkmcnt(0)
	v_mfma_f32_16x16x16_f16 a[4:7], v[38:39], v[26:27], a[4:7]
	v_mfma_f32_16x16x16_f16 a[0:3], v[36:37], v[28:29], a[0:3]
	ds_read2_b64 v[34:37], v203 offset0:16 offset1:20
	v_mfma_f32_16x16x16_f16 a[4:7], v[40:41], v[28:29], a[4:7]
	;; [unrolled: 8-line block ×7, first 2 shown]
	ds_read2_b64 v[38:41], v1 offset0:120 offset1:124
	s_waitcnt lgkmcnt(0)
	s_barrier
	v_mfma_f32_16x16x16_f16 a[0:3], v[34:35], v[2:3], a[0:3]
	v_mfma_f32_16x16x16_f16 a[4:7], v[38:39], v[2:3], a[4:7]
	;; [unrolled: 1-line block ×4, first 2 shown]
	s_cbranch_vccnz .LBB29_66
; %bb.65:                               ;   in Loop: Header=BB29_58 Depth=2
	v_add_u32_e32 v1, 0x8400, v228
	ds_read2_b32 v[118:119], v1 offset1:1
	ds_read_b32 v1, v230 offset:33792
	s_nop 2
	v_accvgpr_read_b32 v41, a3
	v_accvgpr_read_b32 v39, a1
	;; [unrolled: 1-line block ×3, first 2 shown]
	s_waitcnt lgkmcnt(1)
	v_cvt_f32_f16_e32 v120, v118
	v_cvt_f32_f16_sdwa v121, v118 dst_sel:DWORD dst_unused:UNUSED_PAD src0_sel:WORD_1
	v_cvt_f32_f16_e32 v118, v119
	v_cvt_f32_f16_sdwa v119, v119 dst_sel:DWORD dst_unused:UNUSED_PAD src0_sel:WORD_1
	v_accvgpr_read_b32 v40, a2
	v_mov_b32_e32 v131, v130
	v_pk_fma_f32 v[38:39], v[164:165], v[120:121], v[38:39]
	v_pk_fma_f32 v[40:41], v[130:131], v[118:119], v[40:41]
	v_accvgpr_read_b32 v37, a7
	v_accvgpr_write_b32 a0, v38
	v_accvgpr_write_b32 a1, v39
	;; [unrolled: 1-line block ×4, first 2 shown]
	s_waitcnt lgkmcnt(0)
	v_cvt_f32_f16_sdwa v39, v1 dst_sel:DWORD dst_unused:UNUSED_PAD src0_sel:WORD_1
	v_cvt_f32_f16_e32 v38, v1
	ds_read_b32 v1, v232 offset:33792
	v_accvgpr_read_b32 v35, a5
	v_accvgpr_read_b32 v34, a4
	;; [unrolled: 1-line block ×3, first 2 shown]
	v_pk_fma_f32 v[34:35], v[164:165], v[38:39], v[34:35]
	s_waitcnt lgkmcnt(0)
	v_cvt_f32_f16_sdwa v41, v1 dst_sel:DWORD dst_unused:UNUSED_PAD src0_sel:WORD_1
	v_cvt_f32_f16_e32 v40, v1
	v_pk_fma_f32 v[36:37], v[130:131], v[40:41], v[36:37]
	s_nop 0
	v_accvgpr_write_b32 a4, v34
	v_accvgpr_write_b32 a5, v35
	;; [unrolled: 1-line block ×4, first 2 shown]
.LBB29_66:                              ;   in Loop: Header=BB29_58 Depth=2
	s_nop 5
	v_accvgpr_read_b32 v41, a3
	v_accvgpr_read_b32 v38, a0
	v_add_f32_e32 v1, 0x40051340, v38
	v_max_f32_e32 v34, v53, v53
	v_max_f32_e32 v1, v34, v1
	v_accvgpr_read_b32 v39, a1
	v_cndmask_b32_e64 v1, v53, v1, s[22:23]
	v_add_f32_e32 v34, 0x40051340, v39
	v_max_f32_e32 v35, v1, v1
	v_max_f32_e32 v34, v35, v34
	v_accvgpr_read_b32 v40, a2
	v_cndmask_b32_e64 v1, v1, v34, s[24:25]
	v_add_f32_e32 v34, 0x40051340, v40
	v_max_f32_e32 v35, v1, v1
	v_max_f32_e32 v34, v35, v34
	v_cndmask_b32_e64 v1, v1, v34, s[26:27]
	v_add_f32_e32 v34, 0x40051340, v41
	v_max_f32_e32 v35, v1, v1
	v_accvgpr_read_b32 v121, a7
	v_max_f32_e32 v34, v35, v34
	v_accvgpr_read_b32 v118, a4
	v_cndmask_b32_e64 v1, v1, v34, s[28:29]
	v_add_f32_e32 v34, 0x40051340, v118
	v_max_f32_e32 v35, v1, v1
	v_max_f32_e32 v34, v35, v34
	v_accvgpr_read_b32 v119, a5
	v_cndmask_b32_e64 v1, v1, v34, s[30:31]
	v_add_f32_e32 v34, 0x40051340, v119
	v_max_f32_e32 v35, v1, v1
	v_max_f32_e32 v34, v35, v34
	v_accvgpr_read_b32 v120, a6
	v_cndmask_b32_e64 v1, v1, v34, s[34:35]
	v_add_f32_e32 v34, 0x40051340, v120
	v_max_f32_e32 v35, v1, v1
	v_max_f32_e32 v34, v35, v34
	v_cndmask_b32_e64 v1, v1, v34, s[36:37]
	v_add_f32_e32 v34, 0x40051340, v121
	v_max_f32_e32 v35, v1, v1
	v_max_f32_e32 v34, v35, v34
	v_cndmask_b32_e64 v1, v1, v34, s[38:39]
	ds_bpermute_b32 v34, v101, v1
	v_max_f32_e32 v1, v1, v1
	s_mul_hi_i32 s47, s48, s90
	s_mul_i32 s46, s48, s90
	s_lshl_b64 s[46:47], s[46:47], 2
	s_waitcnt lgkmcnt(0)
	v_max_f32_e32 v34, v34, v34
	v_max_f32_e32 v1, v1, v34
	ds_bpermute_b32 v34, v102, v1
	scratch_store_dwordx4 off, a[8:11], off
	s_add_i32 s52, s52, 1
	s_add_i32 s48, s48, 64
	s_waitcnt lgkmcnt(0)
	v_max_f32_e32 v34, v34, v34
	v_max_f32_e32 v37, v1, v34
	v_sub_f32_e32 v1, v38, v37
	v_mul_f32_e32 v34, 0x3fb8aa3b, v1
	v_fma_f32 v35, v1, s40, -v34
	v_rndne_f32_e32 v36, v34
	v_fmac_f32_e32 v35, 0x32a5705f, v1
	v_sub_f32_e32 v34, v34, v36
	v_add_f32_e32 v34, v34, v35
	v_exp_f32_e32 v34, v34
	v_cvt_i32_f32_e32 v35, v36
	v_cmp_ngt_f32_e32 vcc, s97, v1
	v_sub_f32_e32 v53, v53, v37
	v_ldexp_f32 v34, v34, v35
	v_cndmask_b32_e32 v34, 0, v34, vcc
	v_cmp_nlt_f32_e32 vcc, s87, v1
	s_nop 1
	v_cndmask_b32_e32 v1, v94, v34, vcc
	v_cndmask_b32_e64 v38, 0, v1, s[22:23]
	v_sub_f32_e32 v1, v39, v37
	v_mul_f32_e32 v34, 0x3fb8aa3b, v1
	v_fma_f32 v35, v1, s40, -v34
	v_rndne_f32_e32 v36, v34
	v_fmac_f32_e32 v35, 0x32a5705f, v1
	v_sub_f32_e32 v34, v34, v36
	v_add_f32_e32 v34, v34, v35
	v_exp_f32_e32 v34, v34
	v_cvt_i32_f32_e32 v35, v36
	v_cmp_ngt_f32_e32 vcc, s97, v1
	v_ldexp_f32 v34, v34, v35
	s_nop 0
	v_cndmask_b32_e32 v34, 0, v34, vcc
	v_cmp_nlt_f32_e32 vcc, s87, v1
	v_mov_b32_e32 v1, s69
	s_nop 0
	v_cndmask_b32_e32 v34, v94, v34, vcc
	v_add_f32_e32 v36, v34, v38
	v_cndmask_b32_e64 v35, v1, v34, s[24:25]
	v_sub_f32_e32 v34, v40, v37
	v_cndmask_b32_e64 v1, v38, v36, s[24:25]
	v_mul_f32_e32 v36, 0x3fb8aa3b, v34
	v_fma_f32 v39, v34, s40, -v36
	v_rndne_f32_e32 v40, v36
	v_fmac_f32_e32 v39, 0x32a5705f, v34
	v_sub_f32_e32 v36, v36, v40
	v_add_f32_e32 v36, v36, v39
	v_exp_f32_e32 v36, v36
	v_cvt_i32_f32_e32 v39, v40
	v_cmp_ngt_f32_e32 vcc, s97, v34
	v_cvt_pk_f16_f32 v38, v38, v35
	v_ldexp_f32 v36, v36, v39
	v_cndmask_b32_e32 v36, 0, v36, vcc
	v_cmp_nlt_f32_e32 vcc, s87, v34
	v_mov_b32_e32 v34, s69
	s_nop 0
	v_cndmask_b32_e32 v36, v94, v36, vcc
	v_cndmask_b32_e64 v40, v34, v36, s[26:27]
	v_sub_f32_e32 v34, v41, v37
	v_add_f32_e32 v39, v1, v36
	v_mul_f32_e32 v36, 0x3fb8aa3b, v34
	v_cndmask_b32_e64 v1, v1, v39, s[26:27]
	v_fma_f32 v39, v34, s40, -v36
	v_rndne_f32_e32 v41, v36
	v_fmac_f32_e32 v39, 0x32a5705f, v34
	v_sub_f32_e32 v36, v36, v41
	v_add_f32_e32 v36, v36, v39
	v_exp_f32_e32 v36, v36
	v_cvt_i32_f32_e32 v39, v41
	v_cmp_ngt_f32_e32 vcc, s97, v34
	v_ldexp_f32 v36, v36, v39
	s_nop 0
	v_cndmask_b32_e32 v36, 0, v36, vcc
	v_cmp_nlt_f32_e32 vcc, s87, v34
	v_mov_b32_e32 v39, s69
	s_nop 0
	v_cndmask_b32_e32 v34, v94, v36, vcc
	v_add_f32_e32 v36, v1, v34
	v_cndmask_b32_e64 v39, v39, v34, s[28:29]
	v_sub_f32_e32 v34, v118, v37
	v_cndmask_b32_e64 v1, v1, v36, s[28:29]
	v_mul_f32_e32 v36, 0x3fb8aa3b, v34
	v_fma_f32 v41, v34, s40, -v36
	v_rndne_f32_e32 v118, v36
	v_fmac_f32_e32 v41, 0x32a5705f, v34
	v_sub_f32_e32 v36, v36, v118
	v_add_f32_e32 v36, v36, v41
	v_exp_f32_e32 v36, v36
	v_cvt_i32_f32_e32 v41, v118
	v_cmp_ngt_f32_e32 vcc, s97, v34
	v_cvt_pk_f16_f32 v39, v40, v39
	v_ldexp_f32 v36, v36, v41
	v_cndmask_b32_e32 v36, 0, v36, vcc
	v_cmp_nlt_f32_e32 vcc, s87, v34
	v_mov_b32_e32 v34, s69
	s_nop 0
	v_cndmask_b32_e32 v36, v94, v36, vcc
	v_add_f32_e32 v41, v36, v1
	v_cndmask_b32_e64 v34, v34, v36, s[30:31]
	v_cndmask_b32_e64 v36, v1, v41, s[30:31]
	v_sub_f32_e32 v1, v119, v37
	v_mul_f32_e32 v41, 0x3fb8aa3b, v1
	v_fma_f32 v118, v1, s40, -v41
	v_rndne_f32_e32 v119, v41
	v_fmac_f32_e32 v118, 0x32a5705f, v1
	v_sub_f32_e32 v41, v41, v119
	v_add_f32_e32 v41, v41, v118
	v_exp_f32_e32 v41, v41
	v_cvt_i32_f32_e32 v118, v119
	v_cmp_ngt_f32_e32 vcc, s97, v1
	v_ldexp_f32 v41, v41, v118
	s_nop 0
	v_cndmask_b32_e32 v41, 0, v41, vcc
	v_cmp_nlt_f32_e32 vcc, s87, v1
	v_mov_b32_e32 v1, s69
	s_nop 0
	v_cndmask_b32_e32 v41, v94, v41, vcc
	v_add_f32_e32 v118, v41, v36
	v_cndmask_b32_e64 v1, v1, v41, s[34:35]
	v_cndmask_b32_e64 v41, v36, v118, s[34:35]
	v_sub_f32_e32 v36, v120, v37
	v_mul_f32_e32 v118, 0x3fb8aa3b, v36
	v_fma_f32 v119, v36, s40, -v118
	v_rndne_f32_e32 v120, v118
	v_fmac_f32_e32 v119, 0x32a5705f, v36
	v_sub_f32_e32 v118, v118, v120
	v_add_f32_e32 v118, v118, v119
	v_exp_f32_e32 v118, v118
	v_cvt_i32_f32_e32 v119, v120
	v_cmp_ngt_f32_e32 vcc, s97, v36
	v_cvt_pk_f16_f32 v34, v34, v1
	v_ldexp_f32 v118, v118, v119
	v_cndmask_b32_e32 v118, 0, v118, vcc
	v_cmp_nlt_f32_e32 vcc, s87, v36
	v_mov_b32_e32 v36, s69
	s_nop 0
	v_cndmask_b32_e32 v118, v94, v118, vcc
	v_add_f32_e32 v119, v118, v41
	v_cndmask_b32_e64 v36, v36, v118, s[36:37]
	v_cndmask_b32_e64 v118, v41, v119, s[36:37]
	v_sub_f32_e32 v41, v121, v37
	v_mul_f32_e32 v119, 0x3fb8aa3b, v41
	v_fma_f32 v120, v41, s40, -v119
	v_rndne_f32_e32 v121, v119
	v_fmac_f32_e32 v120, 0x32a5705f, v41
	v_sub_f32_e32 v119, v119, v121
	v_add_f32_e32 v119, v119, v120
	v_exp_f32_e32 v119, v119
	v_cvt_i32_f32_e32 v120, v121
	v_cmp_ngt_f32_e32 vcc, s97, v41
	v_ldexp_f32 v119, v119, v120
	s_nop 0
	v_cndmask_b32_e32 v119, 0, v119, vcc
	v_cmp_nlt_f32_e32 vcc, s87, v41
	v_mov_b32_e32 v41, s69
	s_nop 0
	v_cndmask_b32_e32 v119, v94, v119, vcc
	v_add_f32_e32 v120, v119, v118
	v_cndmask_b32_e64 v121, v41, v119, s[38:39]
	v_cndmask_b32_e64 v41, v118, v120, s[38:39]
	v_mul_f32_e32 v118, 0x3fb8aa3b, v53
	v_fma_f32 v119, v53, s40, -v118
	v_rndne_f32_e32 v120, v118
	v_fmac_f32_e32 v119, 0x32a5705f, v53
	v_sub_f32_e32 v118, v118, v120
	v_add_f32_e32 v118, v118, v119
	v_exp_f32_e32 v118, v118
	v_cvt_i32_f32_e32 v119, v120
	v_cmp_ngt_f32_e32 vcc, s97, v53
	v_ldexp_f32 v118, v118, v119
	s_nop 0
	v_cndmask_b32_e32 v118, 0, v118, vcc
	v_cmp_nlt_f32_e32 vcc, s87, v53
	s_nop 1
	v_cndmask_b32_e32 v118, v94, v118, vcc
	v_cmp_le_f32_e32 vcc, s88, v53
	s_nop 1
	v_cndmask_b32_e32 v53, 0, v118, vcc
	v_fmac_f32_e32 v41, v44, v53
	v_cvt_f16_f32_e32 v44, v53
	v_cmp_lt_i32_e32 vcc, s52, v100
	s_and_b64 vcc, exec, vcc
	v_mul_u32_u24_e32 v44, 0x10001, v44
	v_pk_mul_f16 v122, v42, v44
	v_pk_mul_f16 v118, v43, v44
	v_lshl_add_u64 v[42:43], v[128:129], 0, s[46:47]
	v_lshl_add_u64 v[166:167], v[74:75], 2, v[42:43]
	v_pk_mul_f16 v181, v47, v44
	v_mov_b32_e32 v47, s41
	v_lshl_add_u64 v[166:167], v[166:167], 0, v[50:51]
	v_cndmask_b32_e64 v187, v47, v167, s[94:95]
	v_cndmask_b32_e64 v186, v96, v166, s[94:95]
	v_lshl_add_u64 v[166:167], v[76:77], 2, v[42:43]
	v_lshl_add_u64 v[166:167], v[166:167], 0, v[50:51]
	v_cndmask_b32_e64 v189, v47, v167, s[78:79]
	v_cndmask_b32_e64 v188, v96, v166, s[78:79]
	v_lshl_add_u64 v[166:167], v[78:79], 2, v[42:43]
	;; [unrolled: 4-line block ×4, first 2 shown]
	v_pk_mul_f16 v123, v117, v44
	v_pk_mul_f16 v117, v45, v44
	v_pk_mul_f16 v116, v116, v44
	v_pk_mul_f16 v115, v115, v44
	v_pk_mul_f16 v120, v95, v44
	v_pk_mul_f16 v119, v93, v44
	v_pk_mul_f16 v93, v92, v44
	v_pk_mul_f16 v90, v90, v44
	v_pk_mul_f16 v92, v168, v44
	v_pk_mul_f16 v91, v91, v44
	v_pk_mul_f16 v95, v180, v44
	v_pk_mul_f16 v0, v0, v44
	v_pk_mul_f16 v184, v171, v44
	v_pk_mul_f16 v183, v170, v44
	v_pk_mul_f16 v182, v49, v44
	v_pk_mul_f16 v180, v179, v44
	v_pk_mul_f16 v179, v114, v44
	v_pk_mul_f16 v114, v113, v44
	v_pk_mul_f16 v113, v112, v44
	v_pk_mul_f16 v112, v111, v44
	v_pk_mul_f16 v111, v110, v44
	v_pk_mul_f16 v110, v109, v44
	v_pk_mul_f16 v109, v108, v44
	v_pk_mul_f16 v108, v107, v44
	v_pk_mul_f16 v107, v106, v44
	v_pk_mul_f16 v106, v105, v44
	v_pk_mul_f16 v105, v104, v44
	v_pk_mul_f16 v104, v103, v44
	v_pk_mul_f16 v103, v212, v44
	v_lshl_add_u64 v[44:45], v[72:73], 2, v[42:43]
	v_lshl_add_u64 v[166:167], v[166:167], 0, v[50:51]
	;; [unrolled: 1-line block ×3, first 2 shown]
	v_cndmask_b32_e64 v171, v47, v167, s[16:17]
	v_cndmask_b32_e64 v170, v96, v166, s[16:17]
	v_lshl_add_u64 v[166:167], v[84:85], 2, v[42:43]
	v_lshl_add_u64 v[42:43], v[86:87], 2, v[42:43]
	v_cndmask_b32_e64 v45, v47, v45, s[92:93]
	v_cndmask_b32_e64 v44, v96, v44, s[92:93]
	v_lshl_add_u64 v[42:43], v[42:43], 0, v[50:51]
	v_cndmask_b32_e64 v169, v47, v43, s[20:21]
	v_cndmask_b32_e64 v168, v96, v42, s[20:21]
	flat_load_dwordx4 v[42:45], v[44:45]
	v_lshl_add_u64 v[166:167], v[166:167], 0, v[50:51]
	v_cndmask_b32_e64 v167, v47, v167, s[18:19]
	v_cndmask_b32_e64 v166, v96, v166, s[18:19]
	v_cvt_f32_f16_sdwa v47, v123 dst_sel:DWORD dst_unused:UNUSED_PAD src0_sel:WORD_1
	v_cvt_f32_f16_e32 v49, v122
	v_cvt_f32_f16_sdwa v50, v122 dst_sel:DWORD dst_unused:UNUSED_PAD src0_sel:WORD_1
	v_cvt_f32_f16_e32 v185, v184
	v_accvgpr_write_b32 a1, v47
	v_accvgpr_write_b32 a2, v49
	;; [unrolled: 1-line block ×3, first 2 shown]
	v_cvt_f32_f16_sdwa v184, v184 dst_sel:DWORD dst_unused:UNUSED_PAD src0_sel:WORD_1
	v_cvt_f32_f16_e32 v193, v114
	v_cvt_f32_f16_sdwa v114, v114 dst_sel:DWORD dst_unused:UNUSED_PAD src0_sel:WORD_1
	v_cvt_f32_f16_e32 v196, v111
	;; [unrolled: 2-line block ×7, first 2 shown]
	v_cvt_f32_f16_sdwa v103, v103 dst_sel:DWORD dst_unused:UNUSED_PAD src0_sel:WORD_1
	s_waitcnt vmcnt(0) lgkmcnt(0)
	ds_write_b128 v202, v[42:45]
	flat_load_dwordx4 v[42:45], v[186:187]
	v_cvt_f32_f16_e32 v186, v183
	v_cvt_f32_f16_sdwa v183, v183 dst_sel:DWORD dst_unused:UNUSED_PAD src0_sel:WORD_1
	s_waitcnt vmcnt(0) lgkmcnt(0)
	ds_write_b128 v247, v[42:45]
	flat_load_dwordx4 v[42:45], v[188:189]
	v_cvt_f32_f16_e32 v188, v182
	v_cvt_f32_f16_sdwa v182, v182 dst_sel:DWORD dst_unused:UNUSED_PAD src0_sel:WORD_1
	v_cvt_f32_f16_e32 v189, v181
	v_cvt_f32_f16_sdwa v181, v181 dst_sel:DWORD dst_unused:UNUSED_PAD src0_sel:WORD_1
	s_waitcnt vmcnt(0) lgkmcnt(0)
	ds_write_b128 v245, v[42:45]
	flat_load_dwordx4 v[42:45], v[190:191]
	v_cvt_f32_f16_e32 v190, v180
	v_cvt_f32_f16_sdwa v180, v180 dst_sel:DWORD dst_unused:UNUSED_PAD src0_sel:WORD_1
	;; [unrolled: 7-line block ×3, first 2 shown]
	s_waitcnt vmcnt(0) lgkmcnt(0)
	ds_write_b128 v242, v[42:45]
	flat_load_dwordx4 v[42:45], v[170:171]
	v_cvt_f32_f16_e32 v170, v95
	v_cvt_f32_f16_sdwa v95, v95 dst_sel:DWORD dst_unused:UNUSED_PAD src0_sel:WORD_1
	v_cvt_f32_f16_e32 v171, v0
	v_cvt_f32_f16_sdwa v0, v0 dst_sel:DWORD dst_unused:UNUSED_PAD src0_sel:WORD_1
	s_waitcnt vmcnt(0) lgkmcnt(0)
	ds_write_b128 v241, v[42:45]
	flat_load_dwordx4 v[42:45], v[166:167]
	s_waitcnt vmcnt(0) lgkmcnt(0)
	ds_write_b128 v211, v[42:45]
	flat_load_dwordx4 v[42:45], v[168:169]
	v_cvt_f32_f16_e32 v168, v90
	v_cvt_f32_f16_sdwa v90, v90 dst_sel:DWORD dst_unused:UNUSED_PAD src0_sel:WORD_1
	v_cvt_f32_f16_e32 v169, v91
	v_cvt_f32_f16_sdwa v91, v91 dst_sel:DWORD dst_unused:UNUSED_PAD src0_sel:WORD_1
	s_waitcnt vmcnt(0) lgkmcnt(0)
	ds_write_b128 v222, v[42:45]
	s_waitcnt lgkmcnt(0)
	s_barrier
	ds_read_u16 v42, v205 offset:528
	ds_read_u16 v44, v205 offset:1056
	ds_read_u16 v53, v206
	ds_read_u16 v43, v206 offset:32
	v_cvt_f32_f16_e32 v45, v123
	s_waitcnt lgkmcnt(1)
	v_perm_b32 v123, v53, v44, s89
	ds_read_u16 v53, v205
	ds_read_u16 v44, v205 offset:32
	v_accvgpr_write_b32 a0, v45
	s_waitcnt lgkmcnt(1)
	v_perm_b32 v122, v42, v53, s89
	s_nop 1
	v_mfma_f32_16x16x16_f16 a[0:3], v[122:123], v[38:39], a[0:3]
	ds_read_u16 v47, v205 offset:16896
	ds_read_u16 v49, v205 offset:17424
	ds_read_u16 v50, v205 offset:17952
	ds_read_u16 v53, v206 offset:16896
	s_nop 3
	v_accvgpr_read_b32 v45, a3
	v_cvt_f16_f32_e32 v45, v45
	v_accvgpr_read_b32 v35, a0
	v_accvgpr_read_b32 v40, a1
	;; [unrolled: 1-line block ×3, first 2 shown]
	v_cvt_f16_f32_e32 v35, v35
	v_cvt_f16_f32_e32 v40, v40
	;; [unrolled: 1-line block ×3, first 2 shown]
	v_cvt_f32_f16_e32 v45, v45
	v_cvt_f32_f16_e32 v131, v35
	;; [unrolled: 1-line block ×4, first 2 shown]
	s_waitcnt lgkmcnt(0)
	v_perm_b32 v123, v53, v50, s89
	v_perm_b32 v122, v49, v47, s89
	v_accvgpr_write_b32 a3, v45
	ds_read_u16 v47, v205 offset:560
	ds_read_u16 v45, v205 offset:1088
	v_cvt_pk_f16_f32 v35, v36, v121
	v_accvgpr_write_b32 a0, v131
	v_accvgpr_write_b32 a1, v40
	;; [unrolled: 1-line block ×3, first 2 shown]
	v_cvt_f32_f16_e32 v49, v118
	v_cvt_f32_f16_sdwa v50, v118 dst_sel:DWORD dst_unused:UNUSED_PAD src0_sel:WORD_1
	v_mfma_f32_16x16x16_f16 a[0:3], v[122:123], v[34:35], a[0:3]
	v_cvt_f32_f16_e32 v53, v117
	v_cvt_f32_f16_sdwa v117, v117 dst_sel:DWORD dst_unused:UNUSED_PAD src0_sel:WORD_1
	s_waitcnt lgkmcnt(0)
	v_perm_b32 v45, v43, v45, s89
	v_perm_b32 v44, v47, v44, s89
	v_cvt_f32_f16_e32 v122, v115
	v_cvt_f32_f16_sdwa v115, v115 dst_sel:DWORD dst_unused:UNUSED_PAD src0_sel:WORD_1
	v_cvt_f32_f16_sdwa v123, v120 dst_sel:DWORD dst_unused:UNUSED_PAD src0_sel:WORD_1
	v_cvt_f32_f16_e32 v131, v119
	v_accvgpr_read_b32 v1, a0
	v_accvgpr_read_b32 v36, a1
	;; [unrolled: 1-line block ×4, first 2 shown]
	v_accvgpr_write_b32 a0, v49
	v_accvgpr_write_b32 a1, v50
	;; [unrolled: 1-line block ×4, first 2 shown]
	ds_read_u16 v49, v205 offset:16928
	ds_read_u16 v50, v205 offset:17456
	;; [unrolled: 1-line block ×4, first 2 shown]
	v_mfma_f32_16x16x16_f16 a[0:3], v[44:45], v[38:39], a[0:3]
	v_cvt_f32_f16_sdwa v119, v119 dst_sel:DWORD dst_unused:UNUSED_PAD src0_sel:WORD_1
	v_cvt_pk_f16_f32 v42, v40, v42
	s_nop 5
	v_accvgpr_read_b32 v47, a3
	v_cvt_f16_f32_e32 v47, v47
	v_accvgpr_read_b32 v43, a0
	v_accvgpr_read_b32 v44, a1
	;; [unrolled: 1-line block ×3, first 2 shown]
	v_cvt_f16_f32_e32 v43, v43
	v_cvt_f16_f32_e32 v44, v44
	;; [unrolled: 1-line block ×3, first 2 shown]
	v_cvt_f32_f16_e32 v47, v47
	v_cvt_f32_f16_e32 v43, v43
	;; [unrolled: 1-line block ×4, first 2 shown]
	s_waitcnt lgkmcnt(0)
	v_perm_b32 v45, v117, v53, s89
	v_perm_b32 v44, v50, v49, s89
	v_accvgpr_write_b32 a3, v47
	ds_read_u16 v47, v205 offset:64
	ds_read_u16 v49, v205 offset:592
	;; [unrolled: 1-line block ×4, first 2 shown]
	v_accvgpr_write_b32 a0, v43
	v_accvgpr_write_b32 a1, v118
	;; [unrolled: 1-line block ×3, first 2 shown]
	v_cvt_f32_f16_e32 v118, v116
	v_cvt_f32_f16_sdwa v121, v116 dst_sel:DWORD dst_unused:UNUSED_PAD src0_sel:WORD_1
	v_mfma_f32_16x16x16_f16 a[0:3], v[44:45], v[34:35], a[0:3]
	s_waitcnt lgkmcnt(0)
	v_perm_b32 v117, v117, v53, s89
	v_perm_b32 v116, v49, v47, s89
	s_nop 4
	v_accvgpr_read_b32 v43, a0
	v_accvgpr_read_b32 v44, a1
	;; [unrolled: 1-line block ×4, first 2 shown]
	v_accvgpr_write_b32 a0, v118
	v_accvgpr_write_b32 a1, v121
	;; [unrolled: 1-line block ×4, first 2 shown]
	v_cvt_f32_f16_e32 v122, v120
	v_cvt_pk_f16_f32 v43, v43, v44
	v_mfma_f32_16x16x16_f16 a[0:3], v[116:117], v[38:39], a[0:3]
	ds_read_u16 v116, v205 offset:16960
	ds_read_u16 v118, v205 offset:17488
	;; [unrolled: 1-line block ×4, first 2 shown]
	v_cvt_pk_f16_f32 v45, v45, v50
	s_waitcnt lgkmcnt(2)
	v_perm_b32 v116, v118, v116, s89
	s_waitcnt lgkmcnt(0)
	v_perm_b32 v117, v121, v117, s89
	v_accvgpr_read_b32 v47, a0
	v_accvgpr_read_b32 v49, a1
	;; [unrolled: 1-line block ×3, first 2 shown]
	v_cvt_f16_f32_e32 v47, v47
	v_cvt_f16_f32_e32 v49, v49
	;; [unrolled: 1-line block ×3, first 2 shown]
	v_accvgpr_read_b32 v115, a3
	v_cvt_f16_f32_e32 v115, v115
	v_cvt_f32_f16_e32 v47, v47
	v_cvt_f32_f16_e32 v49, v49
	;; [unrolled: 1-line block ×4, first 2 shown]
	v_accvgpr_write_b32 a0, v47
	v_accvgpr_write_b32 a1, v49
	;; [unrolled: 1-line block ×3, first 2 shown]
	ds_read_u16 v47, v205 offset:96
	ds_read_u16 v49, v205 offset:624
	;; [unrolled: 1-line block ×4, first 2 shown]
	v_accvgpr_write_b32 a3, v115
	s_waitcnt lgkmcnt(2)
	v_perm_b32 v120, v49, v47, s89
	v_mfma_f32_16x16x16_f16 a[0:3], v[116:117], v[34:35], a[0:3]
	s_waitcnt lgkmcnt(0)
	v_perm_b32 v121, v121, v53, s89
	s_nop 5
	v_accvgpr_read_b32 v115, a0
	v_accvgpr_read_b32 v116, a1
	;; [unrolled: 1-line block ×4, first 2 shown]
	v_accvgpr_write_b32 a0, v122
	v_accvgpr_write_b32 a1, v123
	v_accvgpr_write_b32 a2, v131
	v_accvgpr_write_b32 a3, v119
	v_cvt_f32_f16_e32 v131, v93
	v_cvt_f32_f16_sdwa v93, v93 dst_sel:DWORD dst_unused:UNUSED_PAD src0_sel:WORD_1
	v_mfma_f32_16x16x16_f16 a[0:3], v[120:121], v[38:39], a[0:3]
	ds_read_u16 v120, v205 offset:16992
	ds_read_u16 v122, v205 offset:17520
	ds_read_u16 v121, v205 offset:18048
	ds_read_u16 v123, v206 offset:16992
	v_cvt_pk_f16_f32 v116, v115, v116
	v_cvt_pk_f16_f32 v115, v117, v118
	s_waitcnt lgkmcnt(2)
	v_perm_b32 v120, v122, v120, s89
	v_cvt_pk_f16_f32 v117, v1, v36
	v_accvgpr_read_b32 v47, a0
	v_accvgpr_read_b32 v49, a1
	;; [unrolled: 1-line block ×3, first 2 shown]
	v_cvt_f16_f32_e32 v47, v47
	v_cvt_f16_f32_e32 v49, v49
	v_cvt_f16_f32_e32 v53, v53
	v_accvgpr_read_b32 v119, a3
	v_cvt_f16_f32_e32 v119, v119
	v_cvt_f32_f16_e32 v47, v47
	v_cvt_f32_f16_e32 v49, v49
	;; [unrolled: 1-line block ×4, first 2 shown]
	s_waitcnt lgkmcnt(0)
	v_perm_b32 v121, v123, v121, s89
	v_accvgpr_write_b32 a0, v47
	v_accvgpr_write_b32 a1, v49
	;; [unrolled: 1-line block ×3, first 2 shown]
	ds_read_u16 v47, v205 offset:128
	ds_read_u16 v49, v205 offset:656
	;; [unrolled: 1-line block ×4, first 2 shown]
	v_accvgpr_write_b32 a3, v119
	s_waitcnt lgkmcnt(2)
	v_perm_b32 v166, v49, v47, s89
	v_mfma_f32_16x16x16_f16 a[0:3], v[120:121], v[34:35], a[0:3]
	s_waitcnt lgkmcnt(0)
	v_perm_b32 v167, v123, v53, s89
	s_nop 5
	v_accvgpr_read_b32 v119, a0
	v_accvgpr_read_b32 v120, a1
	;; [unrolled: 1-line block ×4, first 2 shown]
	v_accvgpr_write_b32 a0, v131
	v_accvgpr_write_b32 a1, v93
	;; [unrolled: 1-line block ×4, first 2 shown]
	v_cvt_f32_f16_sdwa v168, v92 dst_sel:DWORD dst_unused:UNUSED_PAD src0_sel:WORD_1
	s_nop 0
	v_mfma_f32_16x16x16_f16 a[0:3], v[166:167], v[38:39], a[0:3]
	ds_read_u16 v93, v205 offset:17024
	ds_read_u16 v123, v205 offset:17552
	;; [unrolled: 1-line block ×4, first 2 shown]
	s_waitcnt lgkmcnt(0)
	v_perm_b32 v167, v166, v131, s89
	s_nop 1
	v_accvgpr_read_b32 v47, a0
	v_accvgpr_read_b32 v49, a1
	;; [unrolled: 1-line block ×3, first 2 shown]
	v_cvt_f16_f32_e32 v47, v47
	v_cvt_f16_f32_e32 v49, v49
	;; [unrolled: 1-line block ×3, first 2 shown]
	v_accvgpr_read_b32 v90, a3
	v_cvt_f16_f32_e32 v90, v90
	v_cvt_f32_f16_e32 v47, v47
	v_cvt_f32_f16_e32 v49, v49
	;; [unrolled: 1-line block ×4, first 2 shown]
	v_perm_b32 v166, v123, v93, s89
	v_accvgpr_write_b32 a0, v47
	v_accvgpr_write_b32 a1, v49
	;; [unrolled: 1-line block ×3, first 2 shown]
	ds_read_u16 v47, v205 offset:160
	ds_read_u16 v49, v205 offset:688
	;; [unrolled: 1-line block ×4, first 2 shown]
	v_accvgpr_write_b32 a3, v90
	s_waitcnt lgkmcnt(0)
	v_perm_b32 v93, v93, v53, s89
	v_mfma_f32_16x16x16_f16 a[0:3], v[166:167], v[34:35], a[0:3]
	v_cvt_f32_f16_e32 v167, v92
	v_perm_b32 v92, v49, v47, s89
	s_nop 5
	v_accvgpr_read_b32 v90, a0
	v_accvgpr_read_b32 v123, a1
	;; [unrolled: 1-line block ×4, first 2 shown]
	v_accvgpr_write_b32 a0, v167
	v_accvgpr_write_b32 a1, v168
	;; [unrolled: 1-line block ×4, first 2 shown]
	s_nop 1
	v_mfma_f32_16x16x16_f16 a[0:3], v[92:93], v[38:39], a[0:3]
	ds_read_u16 v92, v205 offset:17056
	ds_read_u16 v167, v205 offset:17584
	;; [unrolled: 1-line block ×4, first 2 shown]
	s_waitcnt lgkmcnt(2)
	v_perm_b32 v92, v167, v92, s89
	s_waitcnt lgkmcnt(0)
	v_perm_b32 v93, v168, v93, s89
	v_accvgpr_read_b32 v47, a0
	v_accvgpr_read_b32 v49, a1
	;; [unrolled: 1-line block ×3, first 2 shown]
	v_cvt_f16_f32_e32 v47, v47
	v_cvt_f16_f32_e32 v49, v49
	;; [unrolled: 1-line block ×3, first 2 shown]
	v_accvgpr_read_b32 v91, a3
	v_cvt_f16_f32_e32 v91, v91
	v_cvt_f32_f16_e32 v47, v47
	v_cvt_f32_f16_e32 v49, v49
	;; [unrolled: 1-line block ×4, first 2 shown]
	v_accvgpr_write_b32 a0, v47
	v_accvgpr_write_b32 a1, v49
	v_accvgpr_write_b32 a2, v53
	ds_read_u16 v47, v205 offset:192
	ds_read_u16 v49, v205 offset:720
	;; [unrolled: 1-line block ×4, first 2 shown]
	v_accvgpr_write_b32 a3, v91
	s_waitcnt lgkmcnt(0)
	v_perm_b32 v169, v168, v53, s89
	v_mfma_f32_16x16x16_f16 a[0:3], v[92:93], v[34:35], a[0:3]
	v_perm_b32 v168, v49, v47, s89
	s_nop 6
	v_accvgpr_read_b32 v91, a0
	v_accvgpr_read_b32 v92, a1
	;; [unrolled: 1-line block ×4, first 2 shown]
	v_accvgpr_write_b32 a0, v170
	v_accvgpr_write_b32 a1, v95
	;; [unrolled: 1-line block ×4, first 2 shown]
	s_nop 1
	v_mfma_f32_16x16x16_f16 a[0:3], v[168:169], v[38:39], a[0:3]
	ds_read_u16 v95, v205 offset:17088
	ds_read_u16 v168, v205 offset:17616
	ds_read_u16 v169, v205 offset:18144
	ds_read_u16 v170, v206 offset:17088
	s_waitcnt lgkmcnt(2)
	v_perm_b32 v168, v168, v95, s89
	s_waitcnt lgkmcnt(0)
	v_perm_b32 v169, v170, v169, s89
	v_accvgpr_read_b32 v47, a1
	v_accvgpr_read_b32 v49, a2
	;; [unrolled: 1-line block ×3, first 2 shown]
	v_cvt_f16_f32_e32 v47, v47
	v_cvt_f16_f32_e32 v49, v49
	;; [unrolled: 1-line block ×3, first 2 shown]
	v_accvgpr_read_b32 v0, a0
	v_cvt_f16_f32_e32 v0, v0
	v_cvt_f32_f16_e32 v47, v47
	v_cvt_f32_f16_e32 v49, v49
	;; [unrolled: 1-line block ×4, first 2 shown]
	v_accvgpr_write_b32 a1, v47
	v_accvgpr_write_b32 a2, v49
	;; [unrolled: 1-line block ×3, first 2 shown]
	ds_read_u16 v47, v205 offset:224
	ds_read_u16 v49, v205 offset:752
	;; [unrolled: 1-line block ×4, first 2 shown]
	v_accvgpr_write_b32 a0, v0
	s_waitcnt lgkmcnt(0)
	v_perm_b32 v171, v170, v53, s89
	v_mfma_f32_16x16x16_f16 a[0:3], v[168:169], v[34:35], a[0:3]
	v_perm_b32 v170, v49, v47, s89
	s_nop 6
	v_accvgpr_read_b32 v0, a0
	v_accvgpr_read_b32 v95, a1
	;; [unrolled: 1-line block ×4, first 2 shown]
	v_accvgpr_write_b32 a0, v185
	v_accvgpr_write_b32 a1, v184
	v_accvgpr_write_b32 a2, v186
	v_accvgpr_write_b32 a3, v183
	s_nop 1
	v_mfma_f32_16x16x16_f16 a[0:3], v[170:171], v[38:39], a[0:3]
	ds_read_u16 v183, v205 offset:17120
	ds_read_u16 v184, v205 offset:17648
	;; [unrolled: 1-line block ×4, first 2 shown]
	s_waitcnt lgkmcnt(0)
	v_perm_b32 v171, v185, v171, s89
	s_nop 1
	v_accvgpr_read_b32 v47, a0
	v_accvgpr_read_b32 v49, a1
	;; [unrolled: 1-line block ×3, first 2 shown]
	v_cvt_f16_f32_e32 v47, v47
	v_cvt_f16_f32_e32 v49, v49
	;; [unrolled: 1-line block ×3, first 2 shown]
	v_accvgpr_read_b32 v170, a3
	v_cvt_f16_f32_e32 v170, v170
	v_cvt_f32_f16_e32 v47, v47
	v_cvt_f32_f16_e32 v49, v49
	;; [unrolled: 1-line block ×4, first 2 shown]
	v_perm_b32 v170, v184, v183, s89
	v_accvgpr_write_b32 a0, v47
	v_accvgpr_write_b32 a1, v49
	v_accvgpr_write_b32 a2, v53
	ds_read_u16 v47, v205 offset:256
	ds_read_u16 v49, v205 offset:784
	;; [unrolled: 1-line block ×4, first 2 shown]
	v_accvgpr_write_b32 a3, v186
	s_waitcnt lgkmcnt(2)
	v_perm_b32 v186, v49, v47, s89
	v_mfma_f32_16x16x16_f16 a[0:3], v[170:171], v[34:35], a[0:3]
	s_waitcnt lgkmcnt(0)
	v_perm_b32 v187, v185, v53, s89
	s_nop 5
	v_accvgpr_read_b32 v170, a0
	v_accvgpr_read_b32 v171, a1
	;; [unrolled: 1-line block ×4, first 2 shown]
	v_accvgpr_write_b32 a0, v188
	v_accvgpr_write_b32 a1, v182
	v_accvgpr_write_b32 a2, v189
	v_accvgpr_write_b32 a3, v181
	v_cvt_pk_f16_f32 v171, v170, v171
	v_cvt_pk_f16_f32 v170, v183, v184
	v_mfma_f32_16x16x16_f16 a[0:3], v[186:187], v[38:39], a[0:3]
	ds_read_u16 v182, v205 offset:17152
	ds_read_u16 v185, v205 offset:17680
	;; [unrolled: 1-line block ×4, first 2 shown]
	s_waitcnt lgkmcnt(0)
	v_perm_b32 v187, v187, v186, s89
	s_nop 1
	v_accvgpr_read_b32 v47, a0
	v_accvgpr_read_b32 v49, a1
	;; [unrolled: 1-line block ×4, first 2 shown]
	v_cvt_f16_f32_e32 v47, v47
	v_cvt_f16_f32_e32 v49, v49
	v_cvt_f16_f32_e32 v53, v53
	v_cvt_f16_f32_e32 v181, v181
	v_cvt_f32_f16_e32 v47, v47
	v_cvt_f32_f16_e32 v49, v49
	;; [unrolled: 1-line block ×4, first 2 shown]
	v_perm_b32 v186, v185, v182, s89
	v_accvgpr_write_b32 a0, v47
	v_accvgpr_write_b32 a1, v49
	;; [unrolled: 1-line block ×4, first 2 shown]
	s_nop 1
	v_mfma_f32_16x16x16_f16 a[0:3], v[186:187], v[34:35], a[0:3]
	ds_read_u16 v47, v205 offset:288
	ds_read_u16 v49, v205 offset:816
	;; [unrolled: 1-line block ×4, first 2 shown]
	s_waitcnt lgkmcnt(2)
	v_perm_b32 v188, v49, v47, s89
	s_waitcnt lgkmcnt(0)
	v_perm_b32 v189, v187, v53, s89
	v_accvgpr_read_b32 v181, a0
	v_accvgpr_read_b32 v182, a1
	;; [unrolled: 1-line block ×4, first 2 shown]
	v_accvgpr_write_b32 a0, v190
	v_accvgpr_write_b32 a1, v180
	;; [unrolled: 1-line block ×4, first 2 shown]
	s_nop 1
	v_mfma_f32_16x16x16_f16 a[0:3], v[188:189], v[38:39], a[0:3]
	ds_read_u16 v180, v205 offset:17184
	ds_read_u16 v187, v205 offset:17712
	;; [unrolled: 1-line block ×4, first 2 shown]
	s_waitcnt lgkmcnt(0)
	v_perm_b32 v189, v189, v188, s89
	s_nop 1
	v_accvgpr_read_b32 v47, a0
	v_accvgpr_read_b32 v49, a1
	;; [unrolled: 1-line block ×4, first 2 shown]
	v_cvt_f16_f32_e32 v47, v47
	v_cvt_f16_f32_e32 v49, v49
	;; [unrolled: 1-line block ×4, first 2 shown]
	v_cvt_f32_f16_e32 v47, v47
	v_cvt_f32_f16_e32 v49, v49
	;; [unrolled: 1-line block ×4, first 2 shown]
	v_perm_b32 v188, v187, v180, s89
	v_accvgpr_write_b32 a0, v47
	v_accvgpr_write_b32 a1, v49
	;; [unrolled: 1-line block ×4, first 2 shown]
	s_nop 1
	v_mfma_f32_16x16x16_f16 a[0:3], v[188:189], v[34:35], a[0:3]
	ds_read_u16 v47, v205 offset:320
	ds_read_u16 v49, v205 offset:848
	;; [unrolled: 1-line block ×4, first 2 shown]
	s_waitcnt lgkmcnt(2)
	v_perm_b32 v190, v49, v47, s89
	s_waitcnt lgkmcnt(0)
	v_perm_b32 v191, v189, v53, s89
	v_accvgpr_read_b32 v179, a0
	v_accvgpr_read_b32 v180, a1
	v_accvgpr_read_b32 v187, a2
	v_accvgpr_read_b32 v188, a3
	v_accvgpr_write_b32 a0, v193
	v_accvgpr_write_b32 a1, v114
	;; [unrolled: 1-line block ×4, first 2 shown]
	v_cvt_f32_f16_e32 v193, v112
	v_cvt_f32_f16_sdwa v112, v112 dst_sel:DWORD dst_unused:UNUSED_PAD src0_sel:WORD_1
	v_mfma_f32_16x16x16_f16 a[0:3], v[190:191], v[38:39], a[0:3]
	ds_read_u16 v114, v205 offset:17216
	ds_read_u16 v189, v205 offset:17744
	;; [unrolled: 1-line block ×4, first 2 shown]
	v_cvt_pk_f16_f32 v179, v179, v180
	v_cvt_pk_f16_f32 v180, v0, v95
	;; [unrolled: 1-line block ×4, first 2 shown]
	v_accvgpr_read_b32 v47, a0
	v_accvgpr_read_b32 v49, a1
	;; [unrolled: 1-line block ×4, first 2 shown]
	v_cvt_f16_f32_e32 v47, v47
	v_cvt_f16_f32_e32 v49, v49
	v_cvt_f16_f32_e32 v53, v53
	v_cvt_f16_f32_e32 v113, v113
	v_cvt_f32_f16_e32 v47, v47
	v_cvt_f32_f16_e32 v49, v49
	;; [unrolled: 1-line block ×4, first 2 shown]
	s_waitcnt lgkmcnt(0)
	v_perm_b32 v191, v191, v190, s89
	v_perm_b32 v190, v189, v114, s89
	v_accvgpr_write_b32 a0, v47
	v_accvgpr_write_b32 a1, v49
	;; [unrolled: 1-line block ×4, first 2 shown]
	v_cvt_pk_f16_f32 v91, v93, v167
	v_cvt_pk_f16_f32 v92, v90, v123
	v_mfma_f32_16x16x16_f16 a[0:3], v[190:191], v[34:35], a[0:3]
	ds_read_u16 v47, v205 offset:352
	ds_read_u16 v49, v205 offset:880
	;; [unrolled: 1-line block ×4, first 2 shown]
	v_cvt_pk_f16_f32 v90, v131, v166
	v_cvt_pk_f16_f32 v95, v119, v120
	s_waitcnt lgkmcnt(2)
	v_perm_b32 v194, v49, v47, s89
	v_cvt_pk_f16_f32 v93, v121, v122
	s_waitcnt lgkmcnt(0)
	v_perm_b32 v195, v191, v53, s89
	v_accvgpr_read_b32 v113, a0
	v_accvgpr_read_b32 v114, a1
	;; [unrolled: 1-line block ×4, first 2 shown]
	v_accvgpr_write_b32 a0, v193
	v_accvgpr_write_b32 a1, v112
	;; [unrolled: 1-line block ×4, first 2 shown]
	v_cvt_f32_f16_e32 v196, v110
	v_cvt_f32_f16_sdwa v110, v110 dst_sel:DWORD dst_unused:UNUSED_PAD src0_sel:WORD_1
	v_mfma_f32_16x16x16_f16 a[0:3], v[194:195], v[38:39], a[0:3]
	ds_read_u16 v112, v205 offset:17248
	ds_read_u16 v191, v205 offset:17776
	;; [unrolled: 1-line block ×4, first 2 shown]
	v_cvt_pk_f16_f32 v113, v113, v114
	v_cvt_pk_f16_f32 v114, v187, v188
	s_waitcnt lgkmcnt(0)
	v_perm_b32 v195, v194, v193, s89
	v_accvgpr_read_b32 v47, a0
	v_accvgpr_read_b32 v49, a1
	;; [unrolled: 1-line block ×4, first 2 shown]
	v_cvt_f16_f32_e32 v47, v47
	v_cvt_f16_f32_e32 v49, v49
	;; [unrolled: 1-line block ×4, first 2 shown]
	v_cvt_f32_f16_e32 v47, v47
	v_cvt_f32_f16_e32 v49, v49
	;; [unrolled: 1-line block ×4, first 2 shown]
	v_perm_b32 v194, v191, v112, s89
	v_accvgpr_write_b32 a0, v47
	v_accvgpr_write_b32 a1, v49
	v_accvgpr_write_b32 a2, v53
	v_accvgpr_write_b32 a3, v111
	s_nop 1
	v_mfma_f32_16x16x16_f16 a[0:3], v[194:195], v[34:35], a[0:3]
	ds_read_u16 v47, v205 offset:384
	ds_read_u16 v49, v205 offset:912
	;; [unrolled: 1-line block ×4, first 2 shown]
	s_waitcnt lgkmcnt(0)
	v_perm_b32 v195, v194, v53, s89
	v_perm_b32 v194, v49, v47, s89
	s_nop 0
	v_accvgpr_read_b32 v111, a0
	v_accvgpr_read_b32 v112, a1
	;; [unrolled: 1-line block ×4, first 2 shown]
	v_accvgpr_write_b32 a0, v196
	v_accvgpr_write_b32 a1, v110
	;; [unrolled: 1-line block ×4, first 2 shown]
	v_cvt_pk_f16_f32 v111, v111, v112
	v_cvt_pk_f16_f32 v112, v189, v190
	v_mfma_f32_16x16x16_f16 a[0:3], v[194:195], v[38:39], a[0:3]
	ds_read_u16 v110, v205 offset:17280
	ds_read_u16 v194, v205 offset:17808
	ds_read_u16 v195, v205 offset:18336
	ds_read_u16 v196, v206 offset:17280
	s_waitcnt lgkmcnt(2)
	v_perm_b32 v194, v194, v110, s89
	s_waitcnt lgkmcnt(0)
	v_perm_b32 v195, v196, v195, s89
	v_accvgpr_read_b32 v47, a0
	v_accvgpr_read_b32 v49, a1
	;; [unrolled: 1-line block ×4, first 2 shown]
	v_cvt_f16_f32_e32 v47, v47
	v_cvt_f16_f32_e32 v49, v49
	v_cvt_f16_f32_e32 v53, v53
	v_cvt_f16_f32_e32 v109, v109
	v_cvt_f32_f16_e32 v47, v47
	v_cvt_f32_f16_e32 v49, v49
	;; [unrolled: 1-line block ×4, first 2 shown]
	v_accvgpr_write_b32 a0, v47
	v_accvgpr_write_b32 a1, v49
	;; [unrolled: 1-line block ×4, first 2 shown]
	s_nop 1
	v_mfma_f32_16x16x16_f16 a[0:3], v[194:195], v[34:35], a[0:3]
	ds_read_u16 v47, v205 offset:416
	ds_read_u16 v49, v205 offset:944
	ds_read_u16 v53, v205 offset:1472
	ds_read_u16 v195, v206 offset:416
	s_waitcnt lgkmcnt(2)
	v_perm_b32 v196, v49, v47, s89
	s_waitcnt lgkmcnt(0)
	v_perm_b32 v197, v195, v53, s89
	v_accvgpr_read_b32 v109, a0
	v_accvgpr_read_b32 v110, a1
	;; [unrolled: 1-line block ×4, first 2 shown]
	v_accvgpr_write_b32 a0, v208
	v_accvgpr_write_b32 a1, v108
	;; [unrolled: 1-line block ×4, first 2 shown]
	v_cvt_f32_f16_e32 v208, v106
	v_cvt_f32_f16_sdwa v106, v106 dst_sel:DWORD dst_unused:UNUSED_PAD src0_sel:WORD_1
	v_mfma_f32_16x16x16_f16 a[0:3], v[196:197], v[38:39], a[0:3]
	ds_read_u16 v108, v205 offset:17312
	ds_read_u16 v195, v205 offset:17840
	;; [unrolled: 1-line block ×4, first 2 shown]
	v_cvt_pk_f16_f32 v109, v109, v110
	v_cvt_pk_f16_f32 v110, v191, v193
	s_waitcnt lgkmcnt(0)
	v_perm_b32 v197, v197, v196, s89
	v_accvgpr_read_b32 v47, a0
	v_accvgpr_read_b32 v49, a1
	;; [unrolled: 1-line block ×3, first 2 shown]
	v_cvt_f16_f32_e32 v47, v47
	v_cvt_f16_f32_e32 v49, v49
	;; [unrolled: 1-line block ×3, first 2 shown]
	v_accvgpr_read_b32 v107, a3
	v_cvt_f16_f32_e32 v107, v107
	v_cvt_f32_f16_e32 v47, v47
	v_cvt_f32_f16_e32 v49, v49
	;; [unrolled: 1-line block ×4, first 2 shown]
	v_perm_b32 v196, v195, v108, s89
	v_accvgpr_write_b32 a0, v47
	v_accvgpr_write_b32 a1, v49
	;; [unrolled: 1-line block ×3, first 2 shown]
	ds_read_u16 v47, v205 offset:448
	ds_read_u16 v49, v205 offset:976
	;; [unrolled: 1-line block ×4, first 2 shown]
	v_accvgpr_write_b32 a3, v107
	s_nop 1
	v_mfma_f32_16x16x16_f16 a[0:3], v[196:197], v[34:35], a[0:3]
	s_waitcnt lgkmcnt(0)
	v_perm_b32 v197, v195, v53, s89
	v_perm_b32 v196, v49, v47, s89
	s_nop 4
	v_accvgpr_read_b32 v107, a0
	v_accvgpr_read_b32 v108, a1
	;; [unrolled: 1-line block ×4, first 2 shown]
	v_accvgpr_write_b32 a0, v208
	v_accvgpr_write_b32 a1, v106
	;; [unrolled: 1-line block ×4, first 2 shown]
	v_cvt_f32_f16_e32 v212, v104
	v_cvt_f32_f16_sdwa v104, v104 dst_sel:DWORD dst_unused:UNUSED_PAD src0_sel:WORD_1
	v_mfma_f32_16x16x16_f16 a[0:3], v[196:197], v[38:39], a[0:3]
	ds_read_u16 v106, v205 offset:17344
	ds_read_u16 v195, v205 offset:17872
	;; [unrolled: 1-line block ×4, first 2 shown]
	v_cvt_pk_f16_f32 v107, v107, v108
	v_cvt_pk_f16_f32 v108, v194, v199
	s_waitcnt lgkmcnt(0)
	v_perm_b32 v197, v197, v196, s89
	v_accvgpr_read_b32 v47, a0
	v_accvgpr_read_b32 v49, a1
	;; [unrolled: 1-line block ×3, first 2 shown]
	v_cvt_f16_f32_e32 v47, v47
	v_cvt_f16_f32_e32 v49, v49
	;; [unrolled: 1-line block ×3, first 2 shown]
	v_accvgpr_read_b32 v105, a3
	v_cvt_f16_f32_e32 v105, v105
	v_cvt_f32_f16_e32 v47, v47
	v_cvt_f32_f16_e32 v49, v49
	;; [unrolled: 1-line block ×4, first 2 shown]
	v_perm_b32 v196, v195, v106, s89
	v_accvgpr_write_b32 a0, v47
	v_accvgpr_write_b32 a1, v49
	;; [unrolled: 1-line block ×3, first 2 shown]
	ds_read_u16 v47, v205 offset:480
	ds_read_u16 v49, v205 offset:1008
	;; [unrolled: 1-line block ×4, first 2 shown]
	v_accvgpr_write_b32 a3, v105
	s_nop 1
	v_mfma_f32_16x16x16_f16 a[0:3], v[196:197], v[34:35], a[0:3]
	s_waitcnt lgkmcnt(0)
	v_perm_b32 v197, v195, v53, s89
	v_perm_b32 v196, v49, v47, s89
	s_nop 4
	v_accvgpr_read_b32 v105, a0
	v_accvgpr_read_b32 v106, a1
	;; [unrolled: 1-line block ×4, first 2 shown]
	v_accvgpr_write_b32 a0, v212
	v_accvgpr_write_b32 a1, v104
	;; [unrolled: 1-line block ×4, first 2 shown]
	v_cvt_pk_f16_f32 v105, v105, v106
	v_cvt_pk_f16_f32 v106, v209, v210
	v_mfma_f32_16x16x16_f16 a[0:3], v[196:197], v[38:39], a[0:3]
	s_nop 7
	v_accvgpr_read_b32 v49, a3
	v_accvgpr_read_b32 v38, a0
	;; [unrolled: 1-line block ×4, first 2 shown]
	v_cvt_f16_f32_e32 v103, v49
	ds_read_u16 v49, v205 offset:17376
	ds_read_u16 v104, v205 offset:17904
	;; [unrolled: 1-line block ×4, first 2 shown]
	v_cvt_f16_f32_e32 v38, v38
	v_cvt_f16_f32_e32 v39, v39
	;; [unrolled: 1-line block ×3, first 2 shown]
	v_cvt_f32_f16_e32 v103, v103
	v_cvt_f32_f16_e32 v195, v38
	;; [unrolled: 1-line block ×4, first 2 shown]
	s_waitcnt lgkmcnt(0)
	v_perm_b32 v39, v53, v212, s89
	v_perm_b32 v38, v104, v49, s89
	v_accvgpr_write_b32 a0, v195
	v_accvgpr_write_b32 a1, v196
	;; [unrolled: 1-line block ×4, first 2 shown]
	v_cvt_pk_f16_f32 v104, v208, v218
	v_cvt_pk_f16_f32 v49, v181, v182
	v_mfma_f32_16x16x16_f16 a[0:3], v[38:39], v[34:35], a[0:3]
	v_cvt_pk_f16_f32 v47, v185, v186
	s_barrier
	s_nop 5
	v_accvgpr_read_b32 v34, a0
	v_accvgpr_read_b32 v35, a1
	;; [unrolled: 1-line block ×4, first 2 shown]
	v_cvt_pk_f16_f32 v103, v34, v35
	v_cvt_pk_f16_f32 v212, v38, v39
	s_cbranch_vccz .LBB29_70
; %bb.67:                               ;   in Loop: Header=BB29_58 Depth=2
	v_mov_b32_e32 v44, v41
	v_mov_b32_e32 v53, v37
	s_branch .LBB29_58
.LBB29_68:                              ;   in Loop: Header=BB29_16 Depth=1
	s_mov_b32 s12, s50
	s_cbranch_execz .LBB29_15
	s_branch .LBB29_174
.LBB29_69:                              ;   in Loop: Header=BB29_16 Depth=1
	v_mov_b32_e32 v37, 0xfeffffff
	v_mov_b32_e32 v41, 0
	;; [unrolled: 1-line block ×34, first 2 shown]
	s_branch .LBB29_71
.LBB29_70:                              ;   in Loop: Header=BB29_16 Depth=1
	v_accvgpr_read_b32 v157, a18
	v_accvgpr_read_b32 v158, a19
	;; [unrolled: 1-line block ×9, first 2 shown]
.LBB29_71:                              ;   in Loop: Header=BB29_16 Depth=1
	s_mov_b64 s[6:7], s[84:85]
	s_lshl_b32 s84, s52, 6
	v_readlane_b32 s2, v254, 4
	v_cmp_eq_u64_e32 vcc, 0, v[132:133]
	s_sub_i32 s76, s2, s84
	v_cmp_ne_u64_e64 s[60:61], 0, v[132:133]
	s_ashr_i32 s85, s84, 31
	v_readlane_b32 s3, v254, 5
	s_cbranch_vccnz .LBB29_81
; %bb.72:                               ;   in Loop: Header=BB29_16 Depth=1
	v_cmp_le_i32_e32 vcc, s76, v48
	s_and_saveexec_b64 s[44:45], vcc
	s_xor_b64 s[44:45], exec, s[44:45]
	s_cbranch_execz .LBB29_74
; %bb.73:                               ;   in Loop: Header=BB29_16 Depth=1
	ds_write_b16 v227, v51 offset:33792
	ds_write_b16 v217, v51 offset:33792
                                        ; implicit-def: $vgpr172
                                        ; implicit-def: $vgpr173
                                        ; implicit-def: $vgpr175
.LBB29_74:                              ;   in Loop: Header=BB29_16 Depth=1
	s_or_saveexec_b64 s[44:45], s[44:45]
	s_lshl_b64 s[46:47], s[84:85], 1
	v_lshl_add_u64 v[34:35], v[132:133], 0, s[46:47]
	v_lshlrev_b32_e32 v50, 1, v48
	v_lshl_add_u64 v[34:35], v[34:35], 0, v[50:51]
	v_mov_b32_e32 v1, 0
	v_mov_b32_e32 v36, 0
	s_xor_b64 exec, exec, s[44:45]
	s_cbranch_execz .LBB29_76
; %bb.75:                               ;   in Loop: Header=BB29_16 Depth=1
	v_readlane_b32 s2, v254, 10
	v_readlane_b32 s3, v254, 11
	s_nop 0
	v_mul_hi_u32 v1, s2, v98
	v_add_u32_e32 v1, v98, v1
	v_lshrrev_b32_e32 v1, s3, v1
	v_mul_hi_u32 v36, s2, v172
	v_mul_lo_u32 v1, v1, s96
	v_add_u32_e32 v36, v172, v36
	v_sub_u32_e32 v1, v98, v1
	v_lshrrev_b32_e32 v36, s3, v36
	v_mad_i64_i32 v[38:39], s[46:47], v1, s12, 0
	v_mul_lo_u32 v36, v36, s96
	v_lshl_add_u64 v[38:39], v[38:39], 1, v[34:35]
	v_sub_u32_e32 v36, v172, v36
	global_load_ushort v1, v[38:39], off
	v_mad_i64_i32 v[38:39], s[46:47], v36, s12, 0
	v_lshl_add_u64 v[38:39], v[38:39], 1, v[34:35]
	global_load_ushort v36, v[38:39], off
	s_waitcnt vmcnt(1)
	ds_write_b16 v227, v1 offset:33792
	s_waitcnt vmcnt(0)
	ds_write_b16 v217, v36 offset:33792
	v_mul_hi_u32 v1, s2, v173
	v_add_u32_e32 v1, v173, v1
	v_lshrrev_b32_e32 v1, s3, v1
	v_mul_hi_u32 v36, s2, v175
	v_mul_lo_u32 v1, v1, s96
	v_add_u32_e32 v36, v175, v36
	v_sub_u32_e32 v1, v173, v1
	v_lshrrev_b32_e32 v36, s3, v36
	v_mad_i64_i32 v[38:39], s[46:47], v1, s12, 0
	v_mul_lo_u32 v36, v36, s96
	v_lshl_add_u64 v[38:39], v[38:39], 1, v[34:35]
	v_sub_u32_e32 v36, v175, v36
	global_load_ushort v1, v[38:39], off
	v_mad_i64_i32 v[38:39], s[46:47], v36, s12, 0
	v_lshl_add_u64 v[38:39], v[38:39], 1, v[34:35]
	global_load_ushort v36, v[38:39], off
.LBB29_76:                              ;   in Loop: Header=BB29_16 Depth=1
	s_or_b64 exec, exec, s[44:45]
	s_waitcnt vmcnt(1)
	ds_write_b16 v223, v1 offset:33792
	s_waitcnt vmcnt(0)
	ds_write_b16 v215, v36 offset:33792
	s_and_saveexec_b64 s[44:45], vcc
	s_xor_b64 s[44:45], exec, s[44:45]
	s_cbranch_execz .LBB29_78
; %bb.77:                               ;   in Loop: Header=BB29_16 Depth=1
	ds_write_b16 v214, v51 offset:33792
	ds_write_b16 v213, v51 offset:33792
                                        ; implicit-def: $vgpr174
                                        ; implicit-def: $vgpr34_vgpr35
                                        ; implicit-def: $vgpr176
                                        ; implicit-def: $vgpr177
                                        ; implicit-def: $vgpr178
.LBB29_78:                              ;   in Loop: Header=BB29_16 Depth=1
	s_or_saveexec_b64 s[44:45], s[44:45]
	v_mov_b32_e32 v1, 0
	v_mov_b32_e32 v36, 0
	s_xor_b64 exec, exec, s[44:45]
	s_cbranch_execz .LBB29_80
; %bb.79:                               ;   in Loop: Header=BB29_16 Depth=1
	v_readlane_b32 s2, v254, 10
	v_readlane_b32 s3, v254, 11
	s_nop 0
	v_mul_hi_u32 v1, s2, v174
	v_add_u32_e32 v1, v174, v1
	v_lshrrev_b32_e32 v1, s3, v1
	v_mul_hi_u32 v36, s2, v176
	v_mul_lo_u32 v1, v1, s96
	v_add_u32_e32 v36, v176, v36
	v_sub_u32_e32 v1, v174, v1
	v_lshrrev_b32_e32 v36, s3, v36
	v_mad_i64_i32 v[38:39], s[46:47], v1, s12, 0
	v_mul_lo_u32 v36, v36, s96
	v_lshl_add_u64 v[38:39], v[38:39], 1, v[34:35]
	v_sub_u32_e32 v36, v176, v36
	global_load_ushort v1, v[38:39], off
	v_mad_i64_i32 v[38:39], s[46:47], v36, s12, 0
	v_lshl_add_u64 v[38:39], v[38:39], 1, v[34:35]
	global_load_ushort v36, v[38:39], off
	s_waitcnt vmcnt(1)
	ds_write_b16 v214, v1 offset:33792
	s_waitcnt vmcnt(0)
	ds_write_b16 v213, v36 offset:33792
	v_mul_hi_u32 v1, s2, v177
	v_add_u32_e32 v1, v177, v1
	v_lshrrev_b32_e32 v1, s3, v1
	v_mul_hi_u32 v36, s2, v178
	v_mul_lo_u32 v1, v1, s96
	v_add_u32_e32 v36, v178, v36
	v_sub_u32_e32 v1, v177, v1
	v_lshrrev_b32_e32 v36, s3, v36
	v_mad_i64_i32 v[38:39], s[46:47], v1, s12, 0
	v_mul_lo_u32 v36, v36, s96
	v_lshl_add_u64 v[38:39], v[38:39], 1, v[34:35]
	v_sub_u32_e32 v36, v178, v36
	global_load_ushort v1, v[38:39], off
	v_mad_i64_i32 v[38:39], s[46:47], v36, s12, 0
	v_lshl_add_u64 v[34:35], v[38:39], 1, v[34:35]
	global_load_ushort v36, v[34:35], off
.LBB29_80:                              ;   in Loop: Header=BB29_16 Depth=1
	s_or_b64 exec, exec, s[44:45]
	s_waitcnt vmcnt(1)
	ds_write_b16 v250, v1 offset:33792
	s_waitcnt vmcnt(0)
	ds_write_b16 v249, v36 offset:33792
.LBB29_81:                              ;   in Loop: Header=BB29_16 Depth=1
	s_mul_hi_i32 s45, s84, s62
	s_mul_i32 s44, s84, s62
	s_lshl_b64 s[44:45], s[44:45], 2
	v_lshl_add_u64 v[34:35], v[134:135], 0, s[44:45]
	v_lshl_add_u64 v[38:39], v[56:57], 2, v[34:35]
	v_lshlrev_b32_e32 v50, 2, v52
	v_lshl_add_u64 v[38:39], v[38:39], 0, v[50:51]
	v_mov_b32_e32 v1, s41
	v_cmp_gt_i32_e64 s[44:45], s76, v201
	scratch_store_dwordx4 off, a[8:11], off
	v_cmp_gt_i32_e64 s[46:47], s76, v162
	v_cndmask_b32_e64 v39, v1, v39, s[44:45]
	v_cndmask_b32_e64 v38, v96, v38, s[44:45]
	flat_load_dwordx4 v[118:121], v[38:39]
	v_lshl_add_u64 v[38:39], v[58:59], 2, v[34:35]
	v_lshl_add_u64 v[38:39], v[38:39], 0, v[50:51]
	v_cndmask_b32_e64 v39, v1, v39, s[46:47]
	v_cndmask_b32_e64 v38, v96, v38, s[46:47]
	v_cmp_gt_i32_e64 s[48:49], s76, v163
	v_cmp_gt_i32_e64 s[50:51], s76, v164
	s_mov_b32 s3, s53
	v_cmp_gt_i32_e64 s[52:53], s76, v165
	v_accvgpr_read_b32 v36, a84
	v_cmp_gt_i32_e64 s[54:55], s76, v36
	v_accvgpr_read_b32 v36, a85
	s_mov_b32 s2, s56
	v_cmp_gt_i32_e64 s[56:57], s76, v36
	v_accvgpr_read_b32 v36, a86
	v_cmp_gt_i32_e64 s[58:59], s76, v36
	s_andn2_b64 vcc, exec, s[60:61]
	s_waitcnt vmcnt(0) lgkmcnt(0)
	ds_write_b128 v202, v[118:121]
	flat_load_dwordx4 v[118:121], v[38:39]
	v_lshl_add_u64 v[38:39], v[60:61], 2, v[34:35]
	v_lshl_add_u64 v[38:39], v[38:39], 0, v[50:51]
	v_cndmask_b32_e64 v39, v1, v39, s[48:49]
	v_cndmask_b32_e64 v38, v96, v38, s[48:49]
	s_waitcnt vmcnt(0) lgkmcnt(0)
	ds_write_b128 v247, v[118:121]
	flat_load_dwordx4 v[118:121], v[38:39]
	v_lshl_add_u64 v[38:39], v[62:63], 2, v[34:35]
	v_lshl_add_u64 v[38:39], v[38:39], 0, v[50:51]
	v_cndmask_b32_e64 v39, v1, v39, s[50:51]
	v_cndmask_b32_e64 v38, v96, v38, s[50:51]
	;; [unrolled: 7-line block ×5, first 2 shown]
	v_lshl_add_u64 v[34:35], v[70:71], 2, v[34:35]
	v_lshl_add_u64 v[34:35], v[34:35], 0, v[50:51]
	v_cndmask_b32_e64 v35, v1, v35, s[58:59]
	v_cndmask_b32_e64 v34, v96, v34, s[58:59]
	v_add_u32_e32 v1, 0x4000, v203
	s_waitcnt vmcnt(0) lgkmcnt(0)
	ds_write_b128 v241, v[118:121]
	flat_load_dwordx4 v[118:121], v[38:39]
	s_waitcnt vmcnt(0) lgkmcnt(0)
	ds_write_b128 v211, v[118:121]
	flat_load_dwordx4 v[118:121], v[34:35]
	s_waitcnt vmcnt(0) lgkmcnt(0)
	ds_write_b128 v222, v[118:121]
	s_waitcnt lgkmcnt(0)
	s_barrier
	ds_read2_b64 v[118:121], v203 offset1:4
	ds_read2_b64 v[146:149], v1 offset0:64 offset1:68
	s_waitcnt lgkmcnt(1)
	v_mfma_f32_16x16x16_f16 a[0:3], v[118:119], v[30:31], 0
	s_waitcnt lgkmcnt(0)
	v_mfma_f32_16x16x16_f16 a[4:7], v[146:147], v[30:31], 0
	v_mfma_f32_16x16x16_f16 a[0:3], v[120:121], v[32:33], a[0:3]
	ds_read2_b64 v[118:121], v1 offset0:72 offset1:76
	v_mfma_f32_16x16x16_f16 a[4:7], v[148:149], v[32:33], a[4:7]
	ds_read2_b64 v[30:33], v203 offset0:8 offset1:12
	s_waitcnt lgkmcnt(0)
	v_mfma_f32_16x16x16_f16 a[0:3], v[30:31], v[26:27], a[0:3]
	v_mfma_f32_16x16x16_f16 a[4:7], v[118:119], v[26:27], a[4:7]
	v_mfma_f32_16x16x16_f16 a[0:3], v[32:33], v[28:29], a[0:3]
	ds_read2_b64 v[30:33], v1 offset0:80 offset1:84
	v_mfma_f32_16x16x16_f16 a[4:7], v[120:121], v[28:29], a[4:7]
	ds_read2_b64 v[26:29], v203 offset0:16 offset1:20
	s_waitcnt lgkmcnt(0)
	v_mfma_f32_16x16x16_f16 a[0:3], v[26:27], v[22:23], a[0:3]
	;; [unrolled: 7-line block ×6, first 2 shown]
	v_mfma_f32_16x16x16_f16 a[4:7], v[14:15], v[6:7], a[4:7]
	v_mfma_f32_16x16x16_f16 a[0:3], v[12:13], v[8:9], a[0:3]
	ds_read2_b64 v[10:13], v1 offset0:120 offset1:124
	v_mfma_f32_16x16x16_f16 a[4:7], v[16:17], v[8:9], a[4:7]
	ds_read2_b64 v[6:9], v203 offset0:56 offset1:60
	s_waitcnt lgkmcnt(0)
	s_barrier
	v_mfma_f32_16x16x16_f16 a[0:3], v[6:7], v[2:3], a[0:3]
	v_mfma_f32_16x16x16_f16 a[4:7], v[10:11], v[2:3], a[4:7]
	;; [unrolled: 1-line block ×4, first 2 shown]
	s_cbranch_vccnz .LBB29_83
; %bb.82:                               ;   in Loop: Header=BB29_16 Depth=1
	v_add_u32_e32 v1, 0x8400, v228
	ds_read2_b32 v[10:11], v1 offset1:1
	ds_read_b32 v1, v230 offset:33792
	s_nop 2
	v_accvgpr_read_b32 v9, a3
	v_accvgpr_read_b32 v7, a1
	;; [unrolled: 1-line block ×3, first 2 shown]
	s_waitcnt lgkmcnt(1)
	v_cvt_f32_f16_e32 v12, v10
	v_cvt_f32_f16_sdwa v13, v10 dst_sel:DWORD dst_unused:UNUSED_PAD src0_sel:WORD_1
	v_cvt_f32_f16_e32 v10, v11
	v_cvt_f32_f16_sdwa v11, v11 dst_sel:DWORD dst_unused:UNUSED_PAD src0_sel:WORD_1
	v_accvgpr_read_b32 v8, a2
	v_pk_fma_f32 v[6:7], v[130:131], v[12:13], v[6:7] op_sel_hi:[0,1,1]
	v_accvgpr_read_b32 v2, a4
	v_pk_fma_f32 v[8:9], v[130:131], v[10:11], v[8:9] op_sel_hi:[0,1,1]
	v_accvgpr_write_b32 a0, v6
	v_accvgpr_write_b32 a1, v7
	;; [unrolled: 1-line block ×4, first 2 shown]
	s_waitcnt lgkmcnt(0)
	v_cvt_f32_f16_sdwa v7, v1 dst_sel:DWORD dst_unused:UNUSED_PAD src0_sel:WORD_1
	v_cvt_f32_f16_e32 v6, v1
	ds_read_b32 v1, v232 offset:33792
	v_accvgpr_read_b32 v4, a6
	v_accvgpr_read_b32 v5, a7
	;; [unrolled: 1-line block ×3, first 2 shown]
	v_pk_fma_f32 v[2:3], v[130:131], v[6:7], v[2:3] op_sel_hi:[0,1,1]
	s_waitcnt lgkmcnt(0)
	v_cvt_f32_f16_sdwa v9, v1 dst_sel:DWORD dst_unused:UNUSED_PAD src0_sel:WORD_1
	v_cvt_f32_f16_e32 v8, v1
	v_pk_fma_f32 v[4:5], v[130:131], v[8:9], v[4:5] op_sel_hi:[0,1,1]
	v_accvgpr_write_b32 a7, v5
	v_accvgpr_write_b32 a6, v4
	;; [unrolled: 1-line block ×4, first 2 shown]
.LBB29_83:                              ;   in Loop: Header=BB29_16 Depth=1
	s_nop 5
	v_accvgpr_read_b32 v5, a3
	v_accvgpr_read_b32 v2, a0
	v_add_f32_e32 v1, 0x40051340, v2
	v_max_f32_e32 v6, v37, v37
	v_cmp_gt_u32_e64 s[70:71], s76, v204
	v_max_f32_e32 v1, v6, v1
	v_accvgpr_read_b32 v3, a1
	v_cndmask_b32_e64 v1, v37, v1, s[70:71]
	v_accvgpr_read_b32 v6, a87
	v_cmp_gt_u32_e64 s[72:73], s76, v6
	v_add_f32_e32 v6, 0x40051340, v3
	v_max_f32_e32 v7, v1, v1
	v_max_f32_e32 v6, v7, v6
	v_accvgpr_read_b32 v4, a2
	v_cndmask_b32_e64 v1, v1, v6, s[72:73]
	v_accvgpr_read_b32 v6, a88
	v_cmp_gt_u32_e64 s[74:75], s76, v6
	v_add_f32_e32 v6, 0x40051340, v4
	v_max_f32_e32 v7, v1, v1
	v_max_f32_e32 v6, v7, v6
	v_cndmask_b32_e64 v1, v1, v6, s[74:75]
	v_accvgpr_read_b32 v6, a89
	v_cmp_gt_u32_e64 s[66:67], s76, v6
	v_add_f32_e32 v6, 0x40051340, v5
	v_max_f32_e32 v7, v1, v1
	v_accvgpr_read_b32 v13, a7
	v_max_f32_e32 v6, v7, v6
	v_accvgpr_read_b32 v10, a4
	v_cndmask_b32_e64 v1, v1, v6, s[66:67]
	v_add_f32_e32 v6, 0x40051340, v10
	v_max_f32_e32 v7, v1, v1
	v_cmp_gt_u32_e64 s[64:65], s76, v160
	v_max_f32_e32 v6, v7, v6
	v_accvgpr_read_b32 v11, a5
	v_cndmask_b32_e64 v1, v1, v6, s[64:65]
	v_accvgpr_read_b32 v6, a90
	v_cmp_gt_u32_e64 s[62:63], s76, v6
	v_add_f32_e32 v6, 0x40051340, v11
	v_max_f32_e32 v7, v1, v1
	v_max_f32_e32 v6, v7, v6
	v_accvgpr_read_b32 v12, a6
	v_cndmask_b32_e64 v1, v1, v6, s[62:63]
	v_add_f32_e32 v6, 0x40051340, v12
	v_max_f32_e32 v7, v1, v1
	v_cmp_gt_u32_e64 s[60:61], s76, v161
	v_max_f32_e32 v6, v7, v6
	v_mov_b32_e32 v18, s41
	v_cndmask_b32_e64 v1, v1, v6, s[60:61]
	v_accvgpr_read_b32 v6, a91
	v_cmp_gt_u32_e32 vcc, s76, v6
	v_add_f32_e32 v6, 0x40051340, v13
	v_max_f32_e32 v7, v1, v1
	v_max_f32_e32 v6, v7, v6
	v_cndmask_b32_e32 v1, v1, v6, vcc
	v_and_b32_e32 v6, 64, v219
	v_add_u32_e32 v6, 64, v6
	v_xor_b32_e32 v7, 32, v219
	v_cmp_lt_i32_e64 s[76:77], v7, v6
	scratch_store_dwordx4 off, a[8:11], off
	v_readlane_b32 s0, v254, 56
	v_cndmask_b32_e64 v7, v219, v7, s[76:77]
	v_lshlrev_b32_e32 v15, 2, v7
	ds_bpermute_b32 v7, v15, v1
	v_max_f32_e32 v1, v1, v1
	v_readlane_b32 s1, v254, 57
	s_waitcnt lgkmcnt(0)
	v_max_f32_e32 v7, v7, v7
	v_max_f32_e32 v1, v1, v7
	v_xor_b32_e32 v7, 16, v219
	v_cmp_lt_i32_e64 s[76:77], v7, v6
	s_nop 1
	v_cndmask_b32_e64 v6, v219, v7, s[76:77]
	v_lshlrev_b32_e32 v9, 2, v6
	ds_bpermute_b32 v6, v9, v1
	s_waitcnt lgkmcnt(0)
	v_max_f32_e32 v6, v6, v6
	v_max_f32_e32 v14, v1, v6
	v_sub_f32_e32 v1, v2, v14
	v_mul_f32_e32 v2, 0x3fb8aa3b, v1
	v_fma_f32 v6, v1, s40, -v2
	v_rndne_f32_e32 v7, v2
	v_fmac_f32_e32 v6, 0x32a5705f, v1
	v_sub_f32_e32 v2, v2, v7
	v_add_f32_e32 v2, v2, v6
	v_exp_f32_e32 v2, v2
	v_cvt_i32_f32_e32 v6, v7
	v_cmp_ngt_f32_e64 s[76:77], s97, v1
	v_ldexp_f32 v2, v2, v6
	s_nop 0
	v_cndmask_b32_e64 v2, 0, v2, s[76:77]
	v_cmp_nlt_f32_e64 s[76:77], s87, v1
	s_nop 1
	v_cndmask_b32_e64 v1, v94, v2, s[76:77]
	v_cndmask_b32_e64 v6, 0, v1, s[70:71]
	v_sub_f32_e32 v1, v3, v14
	v_mul_f32_e32 v2, 0x3fb8aa3b, v1
	v_fma_f32 v3, v1, s40, -v2
	v_rndne_f32_e32 v7, v2
	v_fmac_f32_e32 v3, 0x32a5705f, v1
	v_sub_f32_e32 v2, v2, v7
	v_add_f32_e32 v2, v2, v3
	v_exp_f32_e32 v2, v2
	v_cvt_i32_f32_e32 v3, v7
	v_cmp_ngt_f32_e64 s[70:71], s97, v1
	v_ldexp_f32 v2, v2, v3
	s_nop 0
	v_cndmask_b32_e64 v2, 0, v2, s[70:71]
	v_cmp_nlt_f32_e64 s[70:71], s87, v1
	v_mov_b32_e32 v1, s69
	s_nop 0
	v_cndmask_b32_e64 v2, v94, v2, s[70:71]
	v_add_f32_e32 v7, v2, v6
	v_cndmask_b32_e64 v3, v1, v2, s[72:73]
	v_sub_f32_e32 v2, v4, v14
	v_mul_f32_e32 v4, 0x3fb8aa3b, v2
	v_cndmask_b32_e64 v1, v6, v7, s[72:73]
	v_fma_f32 v7, v2, s40, -v4
	v_rndne_f32_e32 v8, v4
	v_fmac_f32_e32 v7, 0x32a5705f, v2
	v_sub_f32_e32 v4, v4, v8
	v_add_f32_e32 v4, v4, v7
	v_exp_f32_e32 v4, v4
	v_cvt_i32_f32_e32 v7, v8
	v_cmp_ngt_f32_e64 s[70:71], s97, v2
	v_cvt_pk_f16_f32 v6, v6, v3
	v_ldexp_f32 v4, v4, v7
	v_cndmask_b32_e64 v4, 0, v4, s[70:71]
	v_cmp_nlt_f32_e64 s[70:71], s87, v2
	v_mov_b32_e32 v2, s69
	s_nop 0
	v_cndmask_b32_e64 v4, v94, v4, s[70:71]
	v_cndmask_b32_e64 v8, v2, v4, s[74:75]
	v_sub_f32_e32 v2, v5, v14
	v_add_f32_e32 v7, v1, v4
	v_mul_f32_e32 v4, 0x3fb8aa3b, v2
	v_cndmask_b32_e64 v1, v1, v7, s[74:75]
	v_fma_f32 v5, v2, s40, -v4
	v_rndne_f32_e32 v7, v4
	v_fmac_f32_e32 v5, 0x32a5705f, v2
	v_sub_f32_e32 v4, v4, v7
	v_add_f32_e32 v4, v4, v5
	v_exp_f32_e32 v4, v4
	v_cvt_i32_f32_e32 v5, v7
	v_cmp_ngt_f32_e64 s[70:71], s97, v2
	v_ldexp_f32 v4, v4, v5
	s_nop 0
	v_cndmask_b32_e64 v4, 0, v4, s[70:71]
	v_cmp_nlt_f32_e64 s[70:71], s87, v2
	v_mov_b32_e32 v5, s69
	s_nop 0
	v_cndmask_b32_e64 v2, v94, v4, s[70:71]
	v_add_f32_e32 v4, v1, v2
	v_cndmask_b32_e64 v7, v5, v2, s[66:67]
	v_sub_f32_e32 v2, v10, v14
	v_cndmask_b32_e64 v1, v1, v4, s[66:67]
	v_mul_f32_e32 v4, 0x3fb8aa3b, v2
	v_fma_f32 v5, v2, s40, -v4
	v_rndne_f32_e32 v10, v4
	v_fmac_f32_e32 v5, 0x32a5705f, v2
	v_sub_f32_e32 v4, v4, v10
	v_add_f32_e32 v4, v4, v5
	v_exp_f32_e32 v4, v4
	v_cvt_i32_f32_e32 v5, v10
	v_cmp_ngt_f32_e64 s[66:67], s97, v2
	v_cvt_pk_f16_f32 v7, v8, v7
	v_ldexp_f32 v4, v4, v5
	v_cndmask_b32_e64 v4, 0, v4, s[66:67]
	v_cmp_nlt_f32_e64 s[66:67], s87, v2
	v_mov_b32_e32 v2, s69
	s_nop 0
	v_cndmask_b32_e64 v4, v94, v4, s[66:67]
	v_add_f32_e32 v5, v4, v1
	v_cndmask_b32_e64 v2, v2, v4, s[64:65]
	v_cndmask_b32_e64 v4, v1, v5, s[64:65]
	v_sub_f32_e32 v1, v11, v14
	v_mul_f32_e32 v5, 0x3fb8aa3b, v1
	v_fma_f32 v10, v1, s40, -v5
	v_rndne_f32_e32 v11, v5
	v_fmac_f32_e32 v10, 0x32a5705f, v1
	v_sub_f32_e32 v5, v5, v11
	v_add_f32_e32 v5, v5, v10
	v_exp_f32_e32 v5, v5
	v_cvt_i32_f32_e32 v10, v11
	v_cmp_ngt_f32_e64 s[64:65], s97, v1
	v_ldexp_f32 v5, v5, v10
	s_nop 0
	v_cndmask_b32_e64 v5, 0, v5, s[64:65]
	v_cmp_nlt_f32_e64 s[64:65], s87, v1
	v_mov_b32_e32 v1, s69
	s_nop 0
	v_cndmask_b32_e64 v5, v94, v5, s[64:65]
	v_add_f32_e32 v10, v5, v4
	v_cndmask_b32_e64 v1, v1, v5, s[62:63]
	v_cndmask_b32_e64 v5, v4, v10, s[62:63]
	v_sub_f32_e32 v4, v12, v14
	v_mul_f32_e32 v10, 0x3fb8aa3b, v4
	v_fma_f32 v11, v4, s40, -v10
	v_rndne_f32_e32 v12, v10
	v_fmac_f32_e32 v11, 0x32a5705f, v4
	v_sub_f32_e32 v10, v10, v12
	v_add_f32_e32 v10, v10, v11
	v_exp_f32_e32 v10, v10
	v_cvt_i32_f32_e32 v11, v12
	v_cmp_ngt_f32_e64 s[62:63], s97, v4
	v_cvt_pk_f16_f32 v2, v2, v1
	v_ldexp_f32 v10, v10, v11
	v_cndmask_b32_e64 v10, 0, v10, s[62:63]
	v_cmp_nlt_f32_e64 s[62:63], s87, v4
	v_mov_b32_e32 v4, s69
	s_nop 0
	v_cndmask_b32_e64 v10, v94, v10, s[62:63]
	v_add_f32_e32 v11, v10, v5
	v_cndmask_b32_e64 v4, v4, v10, s[60:61]
	v_cndmask_b32_e64 v10, v5, v11, s[60:61]
	v_sub_f32_e32 v5, v13, v14
	v_mul_f32_e32 v11, 0x3fb8aa3b, v5
	v_fma_f32 v12, v5, s40, -v11
	v_rndne_f32_e32 v13, v11
	v_fmac_f32_e32 v12, 0x32a5705f, v5
	v_sub_f32_e32 v11, v11, v13
	v_add_f32_e32 v11, v11, v12
	v_exp_f32_e32 v11, v11
	v_cvt_i32_f32_e32 v12, v13
	v_cmp_ngt_f32_e64 s[60:61], s97, v5
	v_ldexp_f32 v11, v11, v12
	s_nop 0
	v_cndmask_b32_e64 v11, 0, v11, s[60:61]
	v_cmp_nlt_f32_e64 s[60:61], s87, v5
	v_mov_b32_e32 v5, s69
	s_nop 0
	v_cndmask_b32_e64 v11, v94, v11, s[60:61]
	v_add_f32_e32 v12, v11, v10
	v_cndmask_b32_e32 v44, v5, v11, vcc
	v_sub_f32_e32 v5, v37, v14
	v_cndmask_b32_e32 v22, v10, v12, vcc
	v_mul_f32_e32 v10, 0x3fb8aa3b, v5
	v_fma_f32 v11, v5, s40, -v10
	v_rndne_f32_e32 v12, v10
	v_fmac_f32_e32 v11, 0x32a5705f, v5
	v_sub_f32_e32 v10, v10, v12
	v_add_f32_e32 v10, v10, v11
	v_exp_f32_e32 v10, v10
	v_cvt_i32_f32_e32 v11, v12
	v_cmp_ngt_f32_e32 vcc, s97, v5
	s_mul_hi_i32 s61, s84, s90
	s_mul_i32 s60, s84, s90
	v_ldexp_f32 v10, v10, v11
	v_cndmask_b32_e32 v10, 0, v10, vcc
	v_cmp_nlt_f32_e32 vcc, s87, v5
	s_lshl_b64 s[60:61], s[60:61], 2
	v_lshl_add_u64 v[12:13], v[128:129], 0, s[60:61]
	v_cndmask_b32_e32 v10, v94, v10, vcc
	v_cmp_le_f32_e32 vcc, s88, v5
	v_lshl_add_u64 v[16:17], v[82:83], 2, v[12:13]
	v_lshl_add_u64 v[16:17], v[16:17], 0, v[50:51]
	v_cndmask_b32_e32 v5, 0, v10, vcc
	v_fmac_f32_e32 v22, v41, v5
	v_cvt_f16_f32_e32 v5, v5
	v_cndmask_b32_e64 v21, v18, v17, s[54:55]
	v_cndmask_b32_e64 v20, v96, v16, s[54:55]
	v_lshl_add_u64 v[16:17], v[84:85], 2, v[12:13]
	v_mul_u32_u24_e32 v10, 0x10001, v5
	v_pk_mul_f16 v102, v117, v10
	v_pk_mul_f16 v101, v42, v10
	;; [unrolled: 1-line block ×32, first 2 shown]
	v_lshl_add_u64 v[10:11], v[72:73], 2, v[12:13]
	v_lshl_add_u64 v[10:11], v[10:11], 0, v[50:51]
	v_cndmask_b32_e64 v105, v18, v11, s[44:45]
	v_cndmask_b32_e64 v104, v96, v10, s[44:45]
	flat_load_dwordx4 v[104:107], v[104:105]
	v_lshl_add_u64 v[10:11], v[74:75], 2, v[12:13]
	v_lshl_add_u64 v[10:11], v[10:11], 0, v[50:51]
	v_cndmask_b32_e64 v109, v18, v11, s[46:47]
	v_cndmask_b32_e64 v108, v96, v10, s[46:47]
	v_lshl_add_u64 v[10:11], v[76:77], 2, v[12:13]
	v_lshl_add_u64 v[10:11], v[10:11], 0, v[50:51]
	v_cndmask_b32_e64 v111, v18, v11, s[48:49]
	v_cndmask_b32_e64 v110, v96, v10, s[48:49]
	;; [unrolled: 4-line block ×3, first 2 shown]
	v_lshl_add_u64 v[10:11], v[80:81], 2, v[12:13]
	v_lshl_add_u64 v[10:11], v[10:11], 0, v[50:51]
	;; [unrolled: 1-line block ×3, first 2 shown]
	v_cndmask_b32_e64 v11, v18, v11, s[52:53]
	v_cndmask_b32_e64 v10, v96, v10, s[52:53]
	v_lshl_add_u64 v[16:17], v[16:17], 0, v[50:51]
	v_lshl_add_u64 v[12:13], v[12:13], 0, v[50:51]
	v_cndmask_b32_e64 v17, v18, v17, s[56:57]
	v_cndmask_b32_e64 v19, v18, v13, s[58:59]
	;; [unrolled: 1-line block ×4, first 2 shown]
	v_cvt_f32_f16_sdwa v50, v100 dst_sel:DWORD dst_unused:UNUSED_PAD src0_sel:WORD_1
	v_cvt_f32_f16_e32 v53, v95
	v_cvt_f32_f16_sdwa v95, v95 dst_sel:DWORD dst_unused:UNUSED_PAD src0_sel:WORD_1
	v_cvt_f32_f16_e32 v103, v92
	v_cvt_f32_f16_e32 v116, v37
	v_cvt_f32_f16_sdwa v37, v37 dst_sel:DWORD dst_unused:UNUSED_PAD src0_sel:WORD_1
	v_cvt_f32_f16_e32 v118, v36
	v_cvt_f32_f16_sdwa v36, v36 dst_sel:DWORD dst_unused:UNUSED_PAD src0_sel:WORD_1
	;; [unrolled: 2-line block ×14, first 2 shown]
	ds_bpermute_b32 v15, v15, v22
	v_cmp_ne_u64_e32 vcc, 0, v[126:127]
	s_and_b64 s[46:47], s[0:1], vcc
	s_waitcnt lgkmcnt(0)
	v_add_f32_e32 v15, v22, v15
	ds_bpermute_b32 v22, v9, v15
	s_waitcnt lgkmcnt(0)
	v_add_f32_e32 v15, v15, v22
	s_waitcnt vmcnt(0)
	ds_write_b128 v202, v[104:107]
	flat_load_dwordx4 v[104:107], v[108:109]
	s_waitcnt vmcnt(0) lgkmcnt(0)
	ds_write_b128 v247, v[104:107]
	flat_load_dwordx4 v[104:107], v[110:111]
	s_waitcnt vmcnt(0) lgkmcnt(0)
	;; [unrolled: 3-line block ×3, first 2 shown]
	ds_write_b128 v243, v[104:107]
	flat_load_dwordx4 v[10:13], v[10:11]
	v_cvt_f32_f16_sdwa v104, v92 dst_sel:DWORD dst_unused:UNUSED_PAD src0_sel:WORD_1
	v_cvt_f32_f16_e32 v107, v40
	v_cvt_f32_f16_sdwa v40, v40 dst_sel:DWORD dst_unused:UNUSED_PAD src0_sel:WORD_1
	s_waitcnt vmcnt(0) lgkmcnt(0)
	ds_write_b128 v242, v[10:13]
	flat_load_dwordx4 v[10:13], v[20:21]
	s_waitcnt vmcnt(0) lgkmcnt(0)
	ds_write_b128 v241, v[10:13]
	flat_load_dwordx4 v[10:13], v[16:17]
	v_cvt_f32_f16_e32 v16, v101
	v_cvt_f32_f16_sdwa v17, v101 dst_sel:DWORD dst_unused:UNUSED_PAD src0_sel:WORD_1
	v_accvgpr_write_b32 a2, v16
	v_accvgpr_write_b32 a3, v17
	s_waitcnt vmcnt(0) lgkmcnt(0)
	ds_write_b128 v211, v[10:13]
	flat_load_dwordx4 v[10:13], v[18:19]
	s_waitcnt vmcnt(0) lgkmcnt(0)
	ds_write_b128 v222, v[10:13]
	s_waitcnt lgkmcnt(0)
	s_barrier
	ds_read_u16 v10, v205 offset:528
	ds_read_u16 v11, v205 offset:1056
	ds_read_u16 v19, v206
	ds_read_u16 v18, v206 offset:32
	v_cvt_f32_f16_e32 v12, v102
	v_cvt_f32_f16_sdwa v13, v102 dst_sel:DWORD dst_unused:UNUSED_PAD src0_sel:WORD_1
	s_waitcnt lgkmcnt(1)
	v_perm_b32 v11, v19, v11, s89
	ds_read_u16 v20, v205
	ds_read_u16 v19, v205 offset:32
	v_accvgpr_write_b32 a0, v12
	v_accvgpr_write_b32 a1, v13
	ds_read_u16 v12, v205 offset:16896
	ds_read_u16 v13, v205 offset:17424
	ds_read_u16 v16, v205 offset:17952
	ds_read_u16 v17, v206 offset:16896
	s_waitcnt lgkmcnt(5)
	v_perm_b32 v10, v10, v20, s89
	s_nop 1
	v_mfma_f32_16x16x16_f16 a[0:3], v[10:11], v[6:7], a[0:3]
	s_nop 7
	v_accvgpr_read_b32 v3, a0
	v_accvgpr_read_b32 v8, a1
	;; [unrolled: 1-line block ×4, first 2 shown]
	v_cvt_f16_f32_e32 v3, v3
	v_cvt_f16_f32_e32 v8, v8
	;; [unrolled: 1-line block ×4, first 2 shown]
	v_cvt_f32_f16_e32 v20, v3
	v_cvt_f32_f16_e32 v8, v8
	;; [unrolled: 1-line block ×4, first 2 shown]
	s_waitcnt lgkmcnt(0)
	v_perm_b32 v11, v17, v16, s89
	v_perm_b32 v10, v13, v12, s89
	v_cvt_pk_f16_f32 v3, v4, v44
	v_accvgpr_write_b32 a0, v20
	v_accvgpr_write_b32 a1, v8
	;; [unrolled: 1-line block ×4, first 2 shown]
	v_cvt_f32_f16_e32 v20, v43
	v_cvt_f32_f16_sdwa v21, v43 dst_sel:DWORD dst_unused:UNUSED_PAD src0_sel:WORD_1
	v_mfma_f32_16x16x16_f16 a[0:3], v[10:11], v[2:3], a[0:3]
	v_cvt_f32_f16_e32 v43, v39
	v_cvt_f32_f16_sdwa v39, v39 dst_sel:DWORD dst_unused:UNUSED_PAD src0_sel:WORD_1
	v_cvt_f32_f16_e32 v44, v41
	v_cvt_f32_f16_sdwa v41, v41 dst_sel:DWORD dst_unused:UNUSED_PAD src0_sel:WORD_1
	s_nop 3
	v_accvgpr_read_b32 v1, a2
	v_accvgpr_read_b32 v4, a3
	v_cvt_f16_f32_e32 v1, v1
	v_cvt_f16_f32_e32 v4, v4
	v_accvgpr_read_b32 v12, a0
	v_accvgpr_read_b32 v13, a1
	v_accvgpr_write_b32 a0, v20
	v_perm_b32 v1, v4, v1, s89
	ds_read_u16 v4, v205 offset:560
	ds_read_u16 v8, v205 offset:1088
	v_accvgpr_write_b32 a1, v21
	v_accvgpr_write_b32 a2, v43
	;; [unrolled: 1-line block ×3, first 2 shown]
	s_waitcnt lgkmcnt(1)
	v_perm_b32 v10, v4, v19, s89
	s_waitcnt lgkmcnt(0)
	v_perm_b32 v11, v18, v8, s89
	ds_read_u16 v18, v205 offset:16928
	ds_read_u16 v19, v205 offset:17456
	;; [unrolled: 1-line block ×4, first 2 shown]
	v_mfma_f32_16x16x16_f16 a[0:3], v[10:11], v[6:7], a[0:3]
	v_cvt_f16_f32_e32 v16, v12
	v_cvt_f16_f32_e32 v17, v13
	v_perm_b32 v16, v17, v16, s89
	s_nop 4
	v_accvgpr_read_b32 v4, a0
	v_accvgpr_read_b32 v8, a1
	;; [unrolled: 1-line block ×4, first 2 shown]
	v_cvt_f16_f32_e32 v4, v4
	v_cvt_f16_f32_e32 v8, v8
	;; [unrolled: 1-line block ×4, first 2 shown]
	v_cvt_f32_f16_e32 v4, v4
	v_cvt_f32_f16_e32 v8, v8
	;; [unrolled: 1-line block ×4, first 2 shown]
	s_waitcnt lgkmcnt(0)
	v_perm_b32 v11, v21, v20, s89
	v_perm_b32 v10, v19, v18, s89
	v_accvgpr_write_b32 a0, v4
	v_accvgpr_write_b32 a1, v8
	;; [unrolled: 1-line block ×4, first 2 shown]
	v_cvt_f32_f16_e32 v43, v42
	v_cvt_f32_f16_sdwa v42, v42 dst_sel:DWORD dst_unused:UNUSED_PAD src0_sel:WORD_1
	v_mfma_f32_16x16x16_f16 a[0:3], v[10:11], v[2:3], a[0:3]
	s_nop 7
	v_accvgpr_read_b32 v4, a2
	v_accvgpr_read_b32 v8, a3
	v_cvt_f16_f32_e32 v4, v4
	v_cvt_f16_f32_e32 v8, v8
	v_accvgpr_read_b32 v19, a0
	v_accvgpr_read_b32 v20, a1
	v_accvgpr_write_b32 a0, v43
	v_perm_b32 v8, v8, v4, s89
	ds_read_u16 v4, v205 offset:64
	ds_read_u16 v10, v205 offset:592
	;; [unrolled: 1-line block ×4, first 2 shown]
	v_accvgpr_write_b32 a1, v42
	v_accvgpr_write_b32 a2, v44
	s_waitcnt lgkmcnt(2)
	v_perm_b32 v10, v10, v4, s89
	v_accvgpr_write_b32 a3, v41
	s_waitcnt lgkmcnt(0)
	v_perm_b32 v11, v18, v11, s89
	ds_read_u16 v41, v205 offset:16960
	ds_read_u16 v42, v205 offset:17488
	;; [unrolled: 1-line block ×4, first 2 shown]
	v_mfma_f32_16x16x16_f16 a[0:3], v[10:11], v[6:7], a[0:3]
	v_cvt_f16_f32_e32 v21, v19
	v_cvt_f16_f32_e32 v39, v20
	v_perm_b32 v21, v39, v21, s89
	s_nop 4
	v_accvgpr_read_b32 v4, a0
	v_accvgpr_read_b32 v10, a1
	;; [unrolled: 1-line block ×4, first 2 shown]
	v_cvt_f16_f32_e32 v4, v4
	v_cvt_f16_f32_e32 v10, v10
	;; [unrolled: 1-line block ×4, first 2 shown]
	v_cvt_f32_f16_e32 v4, v4
	v_cvt_f32_f16_e32 v47, v10
	;; [unrolled: 1-line block ×4, first 2 shown]
	s_waitcnt lgkmcnt(0)
	v_perm_b32 v11, v44, v43, s89
	v_perm_b32 v10, v42, v41, s89
	v_accvgpr_write_b32 a0, v4
	v_accvgpr_write_b32 a1, v47
	;; [unrolled: 1-line block ×4, first 2 shown]
	v_cvt_f32_f16_e32 v49, v100
	s_nop 0
	v_mfma_f32_16x16x16_f16 a[0:3], v[10:11], v[2:3], a[0:3]
	s_nop 7
	v_accvgpr_read_b32 v4, a2
	v_accvgpr_read_b32 v10, a3
	v_cvt_f16_f32_e32 v4, v4
	v_cvt_f16_f32_e32 v10, v10
	v_accvgpr_read_b32 v41, a0
	v_accvgpr_read_b32 v42, a1
	v_accvgpr_write_b32 a0, v49
	v_perm_b32 v10, v10, v4, s89
	ds_read_u16 v4, v205 offset:96
	ds_read_u16 v11, v205 offset:624
	;; [unrolled: 1-line block ×4, first 2 shown]
	v_accvgpr_write_b32 a1, v50
	v_accvgpr_write_b32 a2, v53
	s_waitcnt lgkmcnt(2)
	v_perm_b32 v100, v11, v4, s89
	v_accvgpr_write_b32 a3, v95
	s_waitcnt lgkmcnt(0)
	v_perm_b32 v101, v47, v18, s89
	ds_read_u16 v49, v205 offset:16992
	ds_read_u16 v50, v205 offset:17520
	;; [unrolled: 1-line block ×4, first 2 shown]
	v_mfma_f32_16x16x16_f16 a[0:3], v[100:101], v[6:7], a[0:3]
	s_waitcnt lgkmcnt(0)
	v_perm_b32 v101, v95, v53, s89
	v_perm_b32 v100, v50, v49, s89
	v_cvt_f32_f16_e32 v53, v93
	v_cvt_f32_f16_sdwa v95, v93 dst_sel:DWORD dst_unused:UNUSED_PAD src0_sel:WORD_1
	v_cvt_f16_f32_e32 v43, v41
	s_nop 1
	v_accvgpr_read_b32 v4, a0
	v_accvgpr_read_b32 v11, a1
	;; [unrolled: 1-line block ×4, first 2 shown]
	v_cvt_f16_f32_e32 v4, v4
	v_cvt_f16_f32_e32 v11, v11
	;; [unrolled: 1-line block ×4, first 2 shown]
	v_cvt_f32_f16_e32 v4, v4
	v_cvt_f32_f16_e32 v11, v11
	;; [unrolled: 1-line block ×4, first 2 shown]
	v_accvgpr_write_b32 a0, v4
	v_accvgpr_write_b32 a1, v11
	;; [unrolled: 1-line block ×4, first 2 shown]
	v_cvt_f16_f32_e32 v44, v42
	v_perm_b32 v43, v44, v43, s89
	v_mfma_f32_16x16x16_f16 a[0:3], v[100:101], v[2:3], a[0:3]
	s_nop 7
	v_accvgpr_read_b32 v4, a2
	v_accvgpr_read_b32 v11, a3
	v_cvt_f16_f32_e32 v4, v4
	v_cvt_f16_f32_e32 v11, v11
	v_accvgpr_read_b32 v50, a0
	v_accvgpr_read_b32 v100, a1
	v_accvgpr_write_b32 a0, v53
	v_perm_b32 v11, v11, v4, s89
	ds_read_u16 v4, v205 offset:128
	ds_read_u16 v18, v205 offset:656
	;; [unrolled: 1-line block ×4, first 2 shown]
	v_accvgpr_write_b32 a1, v95
	v_accvgpr_write_b32 a2, v103
	s_waitcnt lgkmcnt(2)
	v_perm_b32 v92, v18, v4, s89
	v_accvgpr_write_b32 a3, v104
	s_waitcnt lgkmcnt(0)
	v_perm_b32 v93, v49, v47, s89
	v_cvt_f16_f32_e32 v101, v50
	v_cvt_f16_f32_e32 v102, v100
	v_mfma_f32_16x16x16_f16 a[0:3], v[92:93], v[6:7], a[0:3]
	ds_read_u16 v53, v205 offset:17024
	ds_read_u16 v92, v205 offset:17552
	;; [unrolled: 1-line block ×4, first 2 shown]
	v_perm_b32 v101, v102, v101, s89
	s_waitcnt lgkmcnt(2)
	v_perm_b32 v92, v92, v53, s89
	s_nop 0
	v_accvgpr_read_b32 v4, a0
	v_accvgpr_read_b32 v18, a1
	;; [unrolled: 1-line block ×4, first 2 shown]
	v_cvt_f16_f32_e32 v4, v4
	v_cvt_f16_f32_e32 v18, v18
	;; [unrolled: 1-line block ×4, first 2 shown]
	v_cvt_f32_f16_e32 v4, v4
	v_cvt_f32_f16_e32 v18, v18
	;; [unrolled: 1-line block ×4, first 2 shown]
	s_waitcnt lgkmcnt(0)
	v_perm_b32 v93, v95, v93, s89
	v_accvgpr_write_b32 a0, v4
	v_accvgpr_write_b32 a1, v18
	;; [unrolled: 1-line block ×4, first 2 shown]
	v_cvt_f32_f16_e32 v95, v90
	v_cvt_f32_f16_sdwa v90, v90 dst_sel:DWORD dst_unused:UNUSED_PAD src0_sel:WORD_1
	v_mfma_f32_16x16x16_f16 a[0:3], v[92:93], v[2:3], a[0:3]
	s_nop 7
	v_accvgpr_read_b32 v4, a2
	v_accvgpr_read_b32 v18, a3
	v_cvt_f16_f32_e32 v4, v4
	v_cvt_f16_f32_e32 v18, v18
	v_accvgpr_read_b32 v103, a0
	v_accvgpr_read_b32 v104, a1
	v_accvgpr_write_b32 a0, v95
	v_perm_b32 v18, v18, v4, s89
	ds_read_u16 v4, v205 offset:160
	ds_read_u16 v47, v205 offset:688
	ds_read_u16 v49, v205 offset:1216
	ds_read_u16 v53, v206 offset:160
	v_accvgpr_write_b32 a1, v90
	v_accvgpr_write_b32 a2, v107
	s_waitcnt lgkmcnt(2)
	v_perm_b32 v92, v47, v4, s89
	v_accvgpr_write_b32 a3, v40
	s_waitcnt lgkmcnt(0)
	v_perm_b32 v93, v53, v49, s89
	v_cvt_f32_f16_e32 v95, v0
	v_cvt_f32_f16_sdwa v0, v0 dst_sel:DWORD dst_unused:UNUSED_PAD src0_sel:WORD_1
	v_mfma_f32_16x16x16_f16 a[0:3], v[92:93], v[6:7], a[0:3]
	ds_read_u16 v53, v205 offset:17056
	ds_read_u16 v90, v205 offset:17584
	ds_read_u16 v92, v205 offset:18112
	ds_read_u16 v93, v206 offset:17056
	v_cvt_f16_f32_e32 v105, v103
	v_cvt_f16_f32_e32 v106, v104
	s_nop 1
	v_accvgpr_read_b32 v4, a0
	v_accvgpr_read_b32 v40, a1
	;; [unrolled: 1-line block ×4, first 2 shown]
	v_cvt_f16_f32_e32 v4, v4
	v_cvt_f16_f32_e32 v40, v40
	;; [unrolled: 1-line block ×4, first 2 shown]
	v_cvt_f32_f16_e32 v4, v4
	v_cvt_f32_f16_e32 v40, v40
	;; [unrolled: 1-line block ×4, first 2 shown]
	s_waitcnt lgkmcnt(0)
	v_perm_b32 v93, v93, v92, s89
	v_perm_b32 v92, v90, v53, s89
	v_accvgpr_write_b32 a0, v4
	v_accvgpr_write_b32 a1, v40
	;; [unrolled: 1-line block ×4, first 2 shown]
	v_cvt_f32_f16_e32 v90, v45
	v_cvt_f32_f16_sdwa v45, v45 dst_sel:DWORD dst_unused:UNUSED_PAD src0_sel:WORD_1
	v_mfma_f32_16x16x16_f16 a[0:3], v[92:93], v[2:3], a[0:3]
	v_perm_b32 v105, v106, v105, s89
	s_nop 6
	v_accvgpr_read_b32 v4, a2
	v_accvgpr_read_b32 v40, a3
	v_cvt_f16_f32_e32 v4, v4
	v_cvt_f16_f32_e32 v40, v40
	v_accvgpr_read_b32 v107, a0
	v_accvgpr_read_b32 v108, a1
	v_accvgpr_write_b32 a0, v90
	v_perm_b32 v40, v40, v4, s89
	ds_read_u16 v4, v205 offset:192
	ds_read_u16 v47, v205 offset:720
	;; [unrolled: 1-line block ×4, first 2 shown]
	v_accvgpr_write_b32 a1, v45
	v_accvgpr_write_b32 a2, v95
	s_waitcnt lgkmcnt(2)
	v_perm_b32 v92, v47, v4, s89
	v_accvgpr_write_b32 a3, v0
	s_waitcnt lgkmcnt(0)
	v_perm_b32 v93, v53, v49, s89
	v_cvt_f16_f32_e32 v109, v107
	v_cvt_f16_f32_e32 v110, v108
	v_mfma_f32_16x16x16_f16 a[0:3], v[92:93], v[6:7], a[0:3]
	ds_read_u16 v49, v205 offset:17088
	ds_read_u16 v53, v205 offset:17616
	ds_read_u16 v90, v205 offset:18144
	ds_read_u16 v92, v206 offset:17088
	v_perm_b32 v109, v110, v109, s89
	s_waitcnt lgkmcnt(0)
	v_perm_b32 v93, v92, v90, s89
	s_nop 0
	v_accvgpr_read_b32 v0, a0
	v_accvgpr_read_b32 v4, a1
	;; [unrolled: 1-line block ×4, first 2 shown]
	v_cvt_f16_f32_e32 v0, v0
	v_cvt_f16_f32_e32 v4, v4
	;; [unrolled: 1-line block ×4, first 2 shown]
	v_cvt_f32_f16_e32 v0, v0
	v_cvt_f32_f16_e32 v4, v4
	;; [unrolled: 1-line block ×4, first 2 shown]
	v_perm_b32 v92, v53, v49, s89
	v_accvgpr_write_b32 a0, v0
	v_accvgpr_write_b32 a1, v4
	;; [unrolled: 1-line block ×4, first 2 shown]
	v_cvt_f32_f16_e32 v53, v91
	v_cvt_f32_f16_sdwa v91, v91 dst_sel:DWORD dst_unused:UNUSED_PAD src0_sel:WORD_1
	v_mfma_f32_16x16x16_f16 a[0:3], v[92:93], v[2:3], a[0:3]
	v_cvt_f32_f16_e32 v92, v5
	v_cvt_f32_f16_sdwa v93, v5 dst_sel:DWORD dst_unused:UNUSED_PAD src0_sel:WORD_1
	s_nop 5
	v_accvgpr_read_b32 v0, a2
	v_accvgpr_read_b32 v4, a3
	v_cvt_f16_f32_e32 v0, v0
	v_cvt_f16_f32_e32 v4, v4
	v_accvgpr_read_b32 v90, a0
	v_accvgpr_read_b32 v111, a1
	v_accvgpr_write_b32 a0, v53
	v_perm_b32 v45, v4, v0, s89
	ds_read_u16 v0, v205 offset:224
	ds_read_u16 v4, v205 offset:752
	;; [unrolled: 1-line block ×4, first 2 shown]
	v_accvgpr_write_b32 a1, v91
	v_accvgpr_write_b32 a2, v92
	s_waitcnt lgkmcnt(2)
	v_perm_b32 v4, v4, v0, s89
	v_accvgpr_write_b32 a3, v93
	s_waitcnt lgkmcnt(0)
	v_perm_b32 v5, v49, v47, s89
	ds_read_u16 v91, v205 offset:17120
	ds_read_u16 v92, v205 offset:17648
	;; [unrolled: 1-line block ×4, first 2 shown]
	v_mfma_f32_16x16x16_f16 a[0:3], v[4:5], v[6:7], a[0:3]
	v_cvt_f16_f32_e32 v112, v90
	v_cvt_f16_f32_e32 v113, v111
	s_nop 5
	v_accvgpr_read_b32 v0, a0
	v_accvgpr_read_b32 v4, a1
	;; [unrolled: 1-line block ×4, first 2 shown]
	v_cvt_f16_f32_e32 v0, v0
	v_cvt_f16_f32_e32 v4, v4
	;; [unrolled: 1-line block ×4, first 2 shown]
	v_cvt_f32_f16_e32 v53, v0
	v_cvt_f32_f16_e32 v0, v4
	;; [unrolled: 1-line block ×4, first 2 shown]
	s_waitcnt lgkmcnt(0)
	v_perm_b32 v5, v95, v93, s89
	v_perm_b32 v4, v92, v91, s89
	v_accvgpr_write_b32 a0, v53
	v_accvgpr_write_b32 a1, v0
	;; [unrolled: 1-line block ×4, first 2 shown]
	v_cvt_f32_f16_e32 v95, v38
	v_cvt_f32_f16_sdwa v38, v38 dst_sel:DWORD dst_unused:UNUSED_PAD src0_sel:WORD_1
	v_mfma_f32_16x16x16_f16 a[0:3], v[4:5], v[2:3], a[0:3]
	s_nop 7
	v_accvgpr_read_b32 v0, a2
	v_accvgpr_read_b32 v47, a3
	v_cvt_f16_f32_e32 v0, v0
	v_cvt_f16_f32_e32 v47, v47
	v_accvgpr_read_b32 v4, a0
	v_accvgpr_read_b32 v5, a1
	v_accvgpr_write_b32 a0, v95
	v_perm_b32 v0, v47, v0, s89
	ds_read_u16 v47, v205 offset:256
	ds_read_u16 v49, v205 offset:784
	;; [unrolled: 1-line block ×4, first 2 shown]
	v_accvgpr_write_b32 a1, v38
	v_accvgpr_write_b32 a2, v116
	s_waitcnt lgkmcnt(2)
	v_perm_b32 v114, v49, v47, s89
	v_accvgpr_write_b32 a3, v37
	s_waitcnt lgkmcnt(0)
	v_perm_b32 v115, v93, v53, s89
	v_cvt_f16_f32_e32 v91, v4
	v_cvt_f16_f32_e32 v92, v5
	v_mfma_f32_16x16x16_f16 a[0:3], v[114:115], v[6:7], a[0:3]
	ds_read_u16 v53, v205 offset:17152
	ds_read_u16 v93, v205 offset:17680
	;; [unrolled: 1-line block ×4, first 2 shown]
	v_perm_b32 v91, v92, v91, s89
	v_perm_b32 v92, v113, v112, s89
	s_nop 1
	v_accvgpr_read_b32 v37, a0
	v_accvgpr_read_b32 v38, a1
	;; [unrolled: 1-line block ×4, first 2 shown]
	v_cvt_f16_f32_e32 v37, v37
	v_cvt_f16_f32_e32 v38, v38
	;; [unrolled: 1-line block ×4, first 2 shown]
	v_cvt_f32_f16_e32 v37, v37
	v_cvt_f32_f16_e32 v38, v38
	;; [unrolled: 1-line block ×4, first 2 shown]
	s_waitcnt lgkmcnt(0)
	v_perm_b32 v115, v114, v95, s89
	v_perm_b32 v114, v93, v53, s89
	v_accvgpr_write_b32 a0, v37
	v_accvgpr_write_b32 a1, v38
	;; [unrolled: 1-line block ×4, first 2 shown]
	s_nop 1
	v_mfma_f32_16x16x16_f16 a[0:3], v[114:115], v[2:3], a[0:3]
	s_nop 7
	v_accvgpr_read_b32 v37, a2
	v_accvgpr_read_b32 v47, a3
	v_cvt_f16_f32_e32 v37, v37
	v_cvt_f16_f32_e32 v47, v47
	v_accvgpr_read_b32 v38, a0
	v_accvgpr_read_b32 v93, a1
	v_accvgpr_write_b32 a0, v118
	v_perm_b32 v37, v47, v37, s89
	ds_read_u16 v47, v205 offset:288
	ds_read_u16 v49, v205 offset:816
	;; [unrolled: 1-line block ×4, first 2 shown]
	v_accvgpr_write_b32 a1, v36
	v_accvgpr_write_b32 a2, v119
	s_waitcnt lgkmcnt(2)
	v_perm_b32 v116, v49, v47, s89
	v_accvgpr_write_b32 a3, v35
	s_waitcnt lgkmcnt(0)
	v_perm_b32 v117, v115, v53, s89
	v_cvt_f16_f32_e32 v95, v38
	v_cvt_f16_f32_e32 v114, v93
	v_mfma_f32_16x16x16_f16 a[0:3], v[116:117], v[6:7], a[0:3]
	ds_read_u16 v53, v205 offset:17184
	ds_read_u16 v115, v205 offset:17712
	;; [unrolled: 1-line block ×4, first 2 shown]
	v_perm_b32 v95, v114, v95, s89
	s_waitcnt lgkmcnt(0)
	v_perm_b32 v117, v117, v116, s89
	s_nop 0
	v_accvgpr_read_b32 v35, a0
	v_accvgpr_read_b32 v36, a1
	;; [unrolled: 1-line block ×4, first 2 shown]
	v_cvt_f16_f32_e32 v35, v35
	v_cvt_f16_f32_e32 v36, v36
	;; [unrolled: 1-line block ×4, first 2 shown]
	v_cvt_f32_f16_e32 v35, v35
	v_cvt_f32_f16_e32 v36, v36
	;; [unrolled: 1-line block ×4, first 2 shown]
	v_perm_b32 v116, v115, v53, s89
	v_accvgpr_write_b32 a0, v35
	v_accvgpr_write_b32 a1, v36
	;; [unrolled: 1-line block ×4, first 2 shown]
	s_nop 1
	v_mfma_f32_16x16x16_f16 a[0:3], v[116:117], v[2:3], a[0:3]
	s_nop 7
	v_accvgpr_read_b32 v35, a2
	v_accvgpr_read_b32 v47, a3
	v_cvt_f16_f32_e32 v35, v35
	v_cvt_f16_f32_e32 v47, v47
	v_accvgpr_read_b32 v36, a0
	v_accvgpr_read_b32 v115, a1
	v_accvgpr_write_b32 a0, v120
	v_perm_b32 v35, v47, v35, s89
	ds_read_u16 v47, v205 offset:320
	ds_read_u16 v49, v205 offset:848
	;; [unrolled: 1-line block ×4, first 2 shown]
	v_accvgpr_write_b32 a1, v34
	v_accvgpr_write_b32 a2, v121
	;; [unrolled: 1-line block ×3, first 2 shown]
	v_cvt_f16_f32_e32 v116, v36
	s_waitcnt lgkmcnt(0)
	v_perm_b32 v119, v118, v53, s89
	v_perm_b32 v118, v49, v47, s89
	v_cvt_f16_f32_e32 v117, v115
	s_nop 0
	v_mfma_f32_16x16x16_f16 a[0:3], v[118:119], v[6:7], a[0:3]
	ds_read_u16 v53, v205 offset:17216
	ds_read_u16 v118, v205 offset:17744
	;; [unrolled: 1-line block ×4, first 2 shown]
	s_waitcnt lgkmcnt(2)
	v_perm_b32 v118, v118, v53, s89
	s_nop 1
	v_accvgpr_read_b32 v33, a0
	v_accvgpr_read_b32 v34, a1
	v_accvgpr_read_b32 v47, a2
	v_accvgpr_read_b32 v49, a3
	v_cvt_f16_f32_e32 v33, v33
	v_cvt_f16_f32_e32 v34, v34
	;; [unrolled: 1-line block ×4, first 2 shown]
	v_cvt_f32_f16_e32 v33, v33
	v_cvt_f32_f16_e32 v34, v34
	v_cvt_f32_f16_e32 v47, v47
	v_cvt_f32_f16_e32 v49, v49
	s_waitcnt lgkmcnt(0)
	v_perm_b32 v119, v120, v119, s89
	v_accvgpr_write_b32 a0, v33
	v_accvgpr_write_b32 a1, v34
	;; [unrolled: 1-line block ×4, first 2 shown]
	s_nop 1
	v_mfma_f32_16x16x16_f16 a[0:3], v[118:119], v[2:3], a[0:3]
	s_nop 7
	v_accvgpr_read_b32 v33, a2
	v_accvgpr_read_b32 v47, a3
	v_cvt_f16_f32_e32 v33, v33
	v_cvt_f16_f32_e32 v47, v47
	v_accvgpr_read_b32 v34, a0
	v_accvgpr_read_b32 v118, a1
	v_accvgpr_write_b32 a0, v131
	v_perm_b32 v33, v47, v33, s89
	ds_read_u16 v47, v205 offset:352
	ds_read_u16 v49, v205 offset:880
	;; [unrolled: 1-line block ×4, first 2 shown]
	v_accvgpr_write_b32 a1, v32
	v_accvgpr_write_b32 a2, v146
	s_waitcnt lgkmcnt(2)
	v_perm_b32 v122, v49, v47, s89
	v_accvgpr_write_b32 a3, v31
	s_waitcnt lgkmcnt(0)
	v_perm_b32 v123, v121, v53, s89
	v_cvt_f16_f32_e32 v119, v34
	v_cvt_f16_f32_e32 v120, v118
	v_mfma_f32_16x16x16_f16 a[0:3], v[122:123], v[6:7], a[0:3]
	ds_read_u16 v53, v205 offset:17248
	ds_read_u16 v121, v205 offset:17776
	;; [unrolled: 1-line block ×4, first 2 shown]
	s_waitcnt lgkmcnt(0)
	v_perm_b32 v123, v123, v122, s89
	s_nop 1
	v_accvgpr_read_b32 v31, a0
	v_accvgpr_read_b32 v32, a1
	v_accvgpr_read_b32 v47, a2
	v_accvgpr_read_b32 v49, a3
	v_cvt_f16_f32_e32 v31, v31
	v_cvt_f16_f32_e32 v32, v32
	;; [unrolled: 1-line block ×4, first 2 shown]
	v_cvt_f32_f16_e32 v31, v31
	v_cvt_f32_f16_e32 v32, v32
	v_cvt_f32_f16_e32 v47, v47
	v_cvt_f32_f16_e32 v49, v49
	v_perm_b32 v122, v121, v53, s89
	v_accvgpr_write_b32 a0, v31
	v_accvgpr_write_b32 a1, v32
	;; [unrolled: 1-line block ×4, first 2 shown]
	s_nop 1
	v_mfma_f32_16x16x16_f16 a[0:3], v[122:123], v[2:3], a[0:3]
	s_nop 7
	v_accvgpr_read_b32 v31, a2
	v_accvgpr_read_b32 v47, a3
	v_cvt_f16_f32_e32 v31, v31
	v_cvt_f16_f32_e32 v47, v47
	v_accvgpr_read_b32 v32, a0
	v_accvgpr_read_b32 v121, a1
	v_accvgpr_write_b32 a0, v148
	v_perm_b32 v31, v47, v31, s89
	ds_read_u16 v47, v205 offset:384
	ds_read_u16 v49, v205 offset:912
	;; [unrolled: 1-line block ×4, first 2 shown]
	v_accvgpr_write_b32 a1, v30
	v_accvgpr_write_b32 a2, v149
	s_waitcnt lgkmcnt(2)
	v_perm_b32 v146, v49, v47, s89
	v_accvgpr_write_b32 a3, v29
	s_waitcnt lgkmcnt(0)
	v_perm_b32 v147, v131, v53, s89
	v_cvt_f32_f16_e32 v149, v28
	v_cvt_f32_f16_sdwa v28, v28 dst_sel:DWORD dst_unused:UNUSED_PAD src0_sel:WORD_1
	v_mfma_f32_16x16x16_f16 a[0:3], v[146:147], v[6:7], a[0:3]
	ds_read_u16 v53, v205 offset:17280
	ds_read_u16 v131, v205 offset:17808
	;; [unrolled: 1-line block ×4, first 2 shown]
	v_cvt_f16_f32_e32 v122, v32
	v_cvt_f16_f32_e32 v123, v121
	s_nop 1
	v_accvgpr_read_b32 v29, a0
	v_accvgpr_read_b32 v30, a1
	;; [unrolled: 1-line block ×4, first 2 shown]
	v_cvt_f16_f32_e32 v29, v29
	v_cvt_f16_f32_e32 v30, v30
	;; [unrolled: 1-line block ×4, first 2 shown]
	v_cvt_f32_f16_e32 v29, v29
	v_cvt_f32_f16_e32 v30, v30
	;; [unrolled: 1-line block ×4, first 2 shown]
	s_waitcnt lgkmcnt(0)
	v_perm_b32 v147, v147, v146, s89
	v_perm_b32 v146, v131, v53, s89
	v_accvgpr_write_b32 a0, v29
	v_accvgpr_write_b32 a1, v30
	;; [unrolled: 1-line block ×4, first 2 shown]
	s_nop 1
	v_mfma_f32_16x16x16_f16 a[0:3], v[146:147], v[2:3], a[0:3]
	s_nop 7
	v_accvgpr_read_b32 v29, a2
	v_accvgpr_read_b32 v53, a3
	v_cvt_f16_f32_e32 v29, v29
	v_cvt_f16_f32_e32 v53, v53
	v_accvgpr_read_b32 v30, a0
	v_accvgpr_read_b32 v131, a1
	v_accvgpr_write_b32 a0, v149
	v_perm_b32 v29, v53, v29, s89
	ds_read_u16 v53, v205 offset:416
	ds_read_u16 v146, v205 offset:944
	;; [unrolled: 1-line block ×4, first 2 shown]
	v_accvgpr_write_b32 a1, v28
	v_accvgpr_write_b32 a2, v150
	s_waitcnt lgkmcnt(2)
	v_perm_b32 v146, v146, v53, s89
	v_accvgpr_write_b32 a3, v27
	s_waitcnt lgkmcnt(0)
	v_perm_b32 v147, v148, v147, s89
	v_cvt_f16_f32_e32 v47, v30
	v_cvt_f16_f32_e32 v49, v131
	v_mfma_f32_16x16x16_f16 a[0:3], v[146:147], v[6:7], a[0:3]
	ds_read_u16 v148, v205 offset:17312
	ds_read_u16 v149, v205 offset:17840
	ds_read_u16 v147, v205 offset:18368
	ds_read_u16 v150, v206 offset:17312
	s_waitcnt lgkmcnt(0)
	v_perm_b32 v147, v150, v147, s89
	s_nop 1
	v_accvgpr_read_b32 v27, a0
	v_accvgpr_read_b32 v28, a1
	;; [unrolled: 1-line block ×4, first 2 shown]
	v_cvt_f16_f32_e32 v27, v27
	v_cvt_f16_f32_e32 v28, v28
	;; [unrolled: 1-line block ×4, first 2 shown]
	v_cvt_f32_f16_e32 v27, v27
	v_cvt_f32_f16_e32 v28, v28
	;; [unrolled: 1-line block ×4, first 2 shown]
	v_perm_b32 v146, v149, v148, s89
	v_accvgpr_write_b32 a0, v27
	v_accvgpr_write_b32 a1, v28
	;; [unrolled: 1-line block ×4, first 2 shown]
	s_nop 1
	v_mfma_f32_16x16x16_f16 a[0:3], v[146:147], v[2:3], a[0:3]
	s_nop 7
	v_accvgpr_read_b32 v27, a2
	v_accvgpr_read_b32 v53, a3
	v_cvt_f16_f32_e32 v27, v27
	v_cvt_f16_f32_e32 v53, v53
	v_accvgpr_read_b32 v28, a0
	v_accvgpr_read_b32 v146, a1
	v_accvgpr_write_b32 a0, v152
	v_perm_b32 v27, v53, v27, s89
	ds_read_u16 v53, v205 offset:448
	ds_read_u16 v149, v205 offset:976
	;; [unrolled: 1-line block ×4, first 2 shown]
	v_accvgpr_write_b32 a1, v26
	v_accvgpr_write_b32 a2, v153
	;; [unrolled: 1-line block ×3, first 2 shown]
	v_cvt_f16_f32_e32 v147, v28
	s_waitcnt lgkmcnt(0)
	v_perm_b32 v151, v151, v150, s89
	v_perm_b32 v150, v149, v53, s89
	v_cvt_f16_f32_e32 v148, v146
	s_nop 0
	v_mfma_f32_16x16x16_f16 a[0:3], v[150:151], v[6:7], a[0:3]
	ds_read_u16 v150, v205 offset:17344
	ds_read_u16 v152, v205 offset:17872
	;; [unrolled: 1-line block ×4, first 2 shown]
	s_waitcnt lgkmcnt(2)
	v_perm_b32 v150, v152, v150, s89
	s_nop 1
	v_accvgpr_read_b32 v25, a0
	v_accvgpr_read_b32 v26, a1
	v_accvgpr_read_b32 v53, a2
	v_accvgpr_read_b32 v149, a3
	v_cvt_f16_f32_e32 v25, v25
	v_cvt_f16_f32_e32 v26, v26
	;; [unrolled: 1-line block ×4, first 2 shown]
	v_cvt_f32_f16_e32 v25, v25
	v_cvt_f32_f16_e32 v26, v26
	;; [unrolled: 1-line block ×4, first 2 shown]
	s_waitcnt lgkmcnt(0)
	v_perm_b32 v151, v153, v151, s89
	v_accvgpr_write_b32 a0, v25
	v_accvgpr_write_b32 a1, v26
	;; [unrolled: 1-line block ×4, first 2 shown]
	s_nop 1
	v_mfma_f32_16x16x16_f16 a[0:3], v[150:151], v[2:3], a[0:3]
	s_nop 7
	v_accvgpr_read_b32 v25, a2
	v_accvgpr_read_b32 v53, a3
	v_cvt_f16_f32_e32 v25, v25
	v_cvt_f16_f32_e32 v53, v53
	v_accvgpr_read_b32 v26, a0
	v_accvgpr_read_b32 v149, a1
	v_accvgpr_write_b32 a0, v155
	v_perm_b32 v25, v53, v25, s89
	ds_read_u16 v53, v205 offset:480
	ds_read_u16 v152, v205 offset:1008
	;; [unrolled: 1-line block ×4, first 2 shown]
	v_accvgpr_write_b32 a1, v24
	v_accvgpr_write_b32 a2, v156
	s_waitcnt lgkmcnt(2)
	v_perm_b32 v152, v152, v53, s89
	v_accvgpr_write_b32 a3, v23
	s_waitcnt lgkmcnt(0)
	v_perm_b32 v153, v154, v153, s89
	v_cvt_f16_f32_e32 v150, v26
	v_cvt_f16_f32_e32 v151, v149
	v_mfma_f32_16x16x16_f16 a[0:3], v[152:153], v[6:7], a[0:3]
	v_perm_b32 v22, v151, v150, s89
	s_nop 6
	v_accvgpr_read_b32 v24, a3
	v_accvgpr_read_b32 v6, a0
	;; [unrolled: 1-line block ×4, first 2 shown]
	v_cvt_f16_f32_e32 v152, v24
	ds_read_u16 v24, v205 offset:17376
	ds_read_u16 v153, v205 offset:17904
	;; [unrolled: 1-line block ×4, first 2 shown]
	v_cvt_f16_f32_e32 v6, v6
	v_cvt_f16_f32_e32 v7, v7
	;; [unrolled: 1-line block ×3, first 2 shown]
	v_cvt_f32_f16_e32 v152, v152
	v_cvt_f32_f16_e32 v53, v6
	;; [unrolled: 1-line block ×4, first 2 shown]
	s_waitcnt lgkmcnt(0)
	v_perm_b32 v7, v155, v154, s89
	v_perm_b32 v6, v153, v24, s89
	v_accvgpr_write_b32 a0, v53
	v_accvgpr_write_b32 a1, v156
	;; [unrolled: 1-line block ×4, first 2 shown]
	v_perm_b32 v53, v117, v116, s89
	s_nop 0
	v_mfma_f32_16x16x16_f16 a[0:3], v[6:7], v[2:3], a[0:3]
	s_barrier
	s_nop 6
	v_accvgpr_read_b32 v2, a0
	v_accvgpr_read_b32 v3, a1
	v_accvgpr_read_b32 v6, a2
	v_accvgpr_read_b32 v24, a3
	v_cvt_f16_f32_e32 v7, v2
	v_cvt_f16_f32_e32 v23, v3
	;; [unrolled: 1-line block ×4, first 2 shown]
	v_perm_b32 v7, v23, v7, s89
	v_perm_b32 v23, v148, v147, s89
	;; [unrolled: 1-line block ×6, first 2 shown]
	s_and_saveexec_b64 s[44:45], s[46:47]
	s_cbranch_execz .LBB29_85
; %bb.84:                               ;   in Loop: Header=BB29_16 Depth=1
	global_load_dword v16, v[126:127], off
	v_cvt_pk_f16_f32 v3, v2, v3
	v_max_f32_e32 v21, v14, v14
	v_cvt_pk_f16_f32 v23, v36, v115
	v_cvt_pk_f16_f32 v24, v34, v118
	;; [unrolled: 1-line block ×15, first 2 shown]
	s_waitcnt vmcnt(0)
	v_max_f32_e32 v2, v16, v16
	v_max_f32_e32 v2, v21, v2
	v_sub_f32_e32 v14, v14, v2
	v_mul_f32_e32 v21, 0x3fb8aa3b, v14
	v_fma_f32 v34, v14, s40, -v21
	v_rndne_f32_e32 v36, v21
	v_fmac_f32_e32 v34, 0x32a5705f, v14
	v_sub_f32_e32 v21, v21, v36
	v_add_f32_e32 v21, v21, v34
	v_exp_f32_e32 v21, v21
	v_cvt_i32_f32_e32 v34, v36
	v_cmp_ngt_f32_e32 vcc, s97, v14
	v_ldexp_f32 v21, v21, v34
	s_nop 0
	v_cndmask_b32_e32 v21, 0, v21, vcc
	v_cmp_nlt_f32_e32 vcc, s87, v14
	v_sub_f32_e32 v34, v16, v2
	s_nop 0
	v_cndmask_b32_e32 v21, v94, v21, vcc
	v_cmp_le_f32_e32 vcc, s88, v14
	s_nop 1
	v_cndmask_b32_e32 v14, 0, v21, vcc
	v_cvt_f16_f32_e32 v16, v14
	v_cmp_ngt_f32_e32 vcc, s97, v34
	v_mul_u32_u24_e32 v36, 0x10001, v16
	v_pk_mul_f16 v16, v7, v36
	v_pk_mul_f16 v7, v3, v36
	v_mul_f32_e32 v3, 0x3fb8aa3b, v34
	v_pk_mul_f16 v91, v4, v36
	v_pk_mul_f16 v95, v5, v36
	v_fma_f32 v4, v34, s40, -v3
	v_rndne_f32_e32 v5, v3
	v_fmac_f32_e32 v4, 0x32a5705f, v34
	v_sub_f32_e32 v3, v3, v5
	v_add_f32_e32 v3, v3, v4
	v_exp_f32_e32 v3, v3
	v_cvt_i32_f32_e32 v4, v5
	v_pk_mul_f16 v1, v1, v36
	v_pk_mul_f16 v21, v12, v36
	v_pk_mul_f16 v8, v8, v36
	v_ldexp_f32 v3, v3, v4
	v_cndmask_b32_e32 v3, 0, v3, vcc
	v_cmp_nlt_f32_e32 vcc, s87, v34
	v_pk_mul_f16 v43, v13, v36
	v_pk_mul_f16 v10, v10, v36
	v_cndmask_b32_e32 v3, v94, v3, vcc
	v_fmac_f32_e32 v3, v15, v14
	v_pk_mul_f16 v101, v17, v36
	v_pk_mul_f16 v11, v11, v36
	;; [unrolled: 1-line block ×23, first 2 shown]
	v_mov_b64_e32 v[14:15], v[2:3]
.LBB29_85:                              ;   in Loop: Header=BB29_16 Depth=1
	s_or_b64 exec, exec, s[44:45]
	v_readlane_b32 s4, v255, 6
	v_readlane_b32 s5, v255, 7
	s_and_saveexec_b64 s[44:45], s[4:5]
	s_mov_b32 s56, s2
	s_mov_b64 s[54:55], 0x80
	s_mov_b32 s53, s3
	s_mov_b64 s[84:85], s[6:7]
; %bb.86:                               ;   in Loop: Header=BB29_16 Depth=1
	v_accvgpr_read_b32 v2, a43
	v_add_u32_e32 v2, 0, v2
	ds_write2_b32 v2, v14, v15 offset0:128 offset1:129
; %bb.87:                               ;   in Loop: Header=BB29_16 Depth=1
	s_or_b64 exec, exec, s[44:45]
	v_readlane_b32 s2, v254, 58
	v_readlane_b32 s3, v254, 59
	s_waitcnt lgkmcnt(0)
	s_barrier
	s_and_saveexec_b64 s[44:45], s[2:3]
	v_readlane_b32 s62, v255, 12
	s_xor_b64 s[44:45], exec, s[44:45]
	v_readlane_b32 s63, v255, 13
	s_cbranch_execz .LBB29_89
; %bb.88:                               ;   in Loop: Header=BB29_16 Depth=1
	s_barrier
                                        ; implicit-def: $vgpr9
.LBB29_89:                              ;   in Loop: Header=BB29_16 Depth=1
	s_andn2_saveexec_b64 s[44:45], s[44:45]
	s_cbranch_execz .LBB29_95
; %bb.90:                               ;   in Loop: Header=BB29_16 Depth=1
	v_accvgpr_read_b32 v2, a44
	v_add_u32_e32 v3, 0, v2
	ds_read_b64 v[12:13], v3 offset:512
	v_readlane_b32 s2, v255, 8
	v_readlane_b32 s3, v255, 9
	s_waitcnt lgkmcnt(0)
	s_barrier
	ds_bpermute_b32 v2, v9, v12
	v_max_f32_e32 v4, v12, v12
	s_waitcnt lgkmcnt(0)
	v_max_f32_e32 v2, v2, v2
	v_max_f32_e32 v2, v4, v2
	v_sub_f32_e32 v4, v12, v2
	v_mul_f32_e32 v5, 0x3fb8aa3b, v4
	v_fma_f32 v12, v4, s40, -v5
	v_rndne_f32_e32 v14, v5
	v_fmac_f32_e32 v12, 0x32a5705f, v4
	v_sub_f32_e32 v5, v5, v14
	v_add_f32_e32 v5, v5, v12
	v_cvt_i32_f32_e32 v14, v14
	v_exp_f32_e32 v5, v5
	v_cmp_ngt_f32_e32 vcc, s97, v4
	v_ldexp_f32 v5, v5, v14
	s_nop 0
	v_cndmask_b32_e32 v5, 0, v5, vcc
	v_cmp_nlt_f32_e32 vcc, s87, v4
	s_nop 1
	v_cndmask_b32_e32 v4, v94, v5, vcc
	v_mul_f32_e32 v5, v13, v4
	ds_bpermute_b32 v5, v9, v5
	s_waitcnt lgkmcnt(0)
	v_fmac_f32_e32 v5, v13, v4
	s_and_saveexec_b64 s[46:47], s[2:3]
; %bb.91:                               ;   in Loop: Header=BB29_16 Depth=1
	ds_write_b64 v3, v[4:5] offset:512
; %bb.92:                               ;   in Loop: Header=BB29_16 Depth=1
	s_or_b64 exec, exec, s[46:47]
	v_readlane_b32 s2, v255, 6
	v_readlane_b32 s3, v255, 7
	s_and_saveexec_b64 s[46:47], s[2:3]
	s_cbranch_execz .LBB29_94
; %bb.93:                               ;   in Loop: Header=BB29_16 Depth=1
	v_mov_b32_e32 v3, v5
	v_accvgpr_read_b32 v4, a78
	v_accvgpr_read_b32 v5, a79
	global_store_dwordx2 v[4:5], v[2:3], off
.LBB29_94:                              ;   in Loop: Header=BB29_16 Depth=1
	s_or_b64 exec, exec, s[46:47]
.LBB29_95:                              ;   in Loop: Header=BB29_16 Depth=1
	s_or_b64 exec, exec, s[44:45]
	ds_write2_b32 v207, v16, v1 offset1:1
	ds_write2_b32 v207, v21, v8 offset0:8 offset1:9
	ds_write2_b32 v207, v43, v10 offset0:16 offset1:17
	;; [unrolled: 1-line block ×15, first 2 shown]
	s_waitcnt lgkmcnt(0)
	s_barrier
	s_and_saveexec_b64 s[44:45], s[0:1]
	s_cbranch_execz .LBB29_173
; %bb.96:                               ;   in Loop: Header=BB29_16 Depth=1
	v_accvgpr_read_b32 v0, a22
	v_add_u32_e32 v0, v0, v97
	v_cmp_gt_i32_e32 vcc, s96, v0
	v_mov_b32_e32 v1, 0x47
	s_and_saveexec_b64 s[46:47], vcc
	s_cbranch_execz .LBB29_98
; %bb.97:                               ;   in Loop: Header=BB29_16 Depth=1
	v_accvgpr_read_b32 v1, a45
	ds_read2st64_b32 v[2:3], v1 offset0:2 offset1:35
	v_accvgpr_read_b32 v1, a61
	ds_read2st64_b32 v[4:5], v1 offset1:1
	ds_read2st64_b32 v[6:7], v1 offset0:33 offset1:34
	v_readlane_b32 s0, v255, 0
	s_waitcnt lgkmcnt(1)
	v_cvt_f32_f16_sdwa v9, v4 dst_sel:DWORD dst_unused:UNUSED_PAD src0_sel:WORD_1
	v_cvt_f32_f16_e32 v8, v4
	s_waitcnt lgkmcnt(0)
	v_cvt_f32_f16_sdwa v11, v6 dst_sel:DWORD dst_unused:UNUSED_PAD src0_sel:WORD_1
	v_cvt_f32_f16_e32 v10, v6
	v_mad_u64_u32 v[0:1], s[48:49], s0, v0, v[48:49]
	v_ashrrev_i32_e32 v1, 31, v0
	v_pk_fma_f32 v[8:9], v[2:3], v[8:9], 0 op_sel_hi:[0,1,0]
	v_mov_b32_e32 v4, v3
	v_lshl_add_u64 v[0:1], v[0:1], 3, v[124:125]
	v_pk_fma_f32 v[8:9], v[4:5], v[10:11], v[8:9] op_sel_hi:[0,1,1]
	global_store_dwordx2 v[0:1], v[8:9], off
	v_cvt_f32_f16_sdwa v9, v5 dst_sel:DWORD dst_unused:UNUSED_PAD src0_sel:WORD_1
	v_cvt_f32_f16_e32 v8, v5
	v_pk_fma_f32 v[2:3], v[2:3], v[8:9], 0 op_sel_hi:[0,1,0]
	v_cvt_f32_f16_sdwa v9, v7 dst_sel:DWORD dst_unused:UNUSED_PAD src0_sel:WORD_1
	v_cvt_f32_f16_e32 v8, v7
	v_pk_fma_f32 v[2:3], v[4:5], v[8:9], v[2:3] op_sel_hi:[0,1,1]
	global_store_dwordx2 v[0:1], v[2:3], off offset:512
	v_mov_b32_e32 v1, 0
.LBB29_98:                              ;   in Loop: Header=BB29_16 Depth=1
	s_or_b64 exec, exec, s[46:47]
	s_movk_i32 s0, 0x47
	v_cmp_gt_i32_e32 vcc, s0, v1
	s_mov_b64 s[46:47], -1
	s_and_saveexec_b64 s[48:49], vcc
; %bb.99:                               ;   in Loop: Header=BB29_16 Depth=1
	v_cmp_eq_u32_e32 vcc, 0, v1
	s_orn2_b64 s[46:47], vcc, exec
; %bb.100:                              ;   in Loop: Header=BB29_16 Depth=1
	s_or_b64 exec, exec, s[48:49]
	s_and_b64 exec, exec, s[46:47]
	s_cbranch_execz .LBB29_173
; %bb.101:                              ;   in Loop: Header=BB29_16 Depth=1
	v_accvgpr_read_b32 v0, a23
	v_add_u32_e32 v0, v0, v97
	v_cmp_gt_i32_e32 vcc, s96, v0
	v_mov_b32_e32 v1, 0x47
	s_and_saveexec_b64 s[46:47], vcc
	s_cbranch_execz .LBB29_103
; %bb.102:                              ;   in Loop: Header=BB29_16 Depth=1
	v_accvgpr_read_b32 v1, a46
	ds_read2st64_b32 v[2:3], v1 offset0:2 offset1:35
	v_accvgpr_read_b32 v1, a62
	ds_read2st64_b32 v[4:5], v1 offset1:1
	ds_read2st64_b32 v[6:7], v1 offset0:33 offset1:34
	v_readlane_b32 s0, v255, 0
	s_waitcnt lgkmcnt(1)
	v_cvt_f32_f16_sdwa v9, v4 dst_sel:DWORD dst_unused:UNUSED_PAD src0_sel:WORD_1
	v_cvt_f32_f16_e32 v8, v4
	s_waitcnt lgkmcnt(0)
	v_cvt_f32_f16_sdwa v11, v6 dst_sel:DWORD dst_unused:UNUSED_PAD src0_sel:WORD_1
	v_cvt_f32_f16_e32 v10, v6
	v_mad_u64_u32 v[0:1], s[48:49], s0, v0, v[48:49]
	v_ashrrev_i32_e32 v1, 31, v0
	v_pk_fma_f32 v[8:9], v[2:3], v[8:9], 0 op_sel_hi:[0,1,0]
	v_mov_b32_e32 v4, v3
	v_lshl_add_u64 v[0:1], v[0:1], 3, v[124:125]
	v_pk_fma_f32 v[8:9], v[4:5], v[10:11], v[8:9] op_sel_hi:[0,1,1]
	global_store_dwordx2 v[0:1], v[8:9], off
	v_cvt_f32_f16_sdwa v9, v5 dst_sel:DWORD dst_unused:UNUSED_PAD src0_sel:WORD_1
	v_cvt_f32_f16_e32 v8, v5
	v_pk_fma_f32 v[2:3], v[2:3], v[8:9], 0 op_sel_hi:[0,1,0]
	v_cvt_f32_f16_sdwa v9, v7 dst_sel:DWORD dst_unused:UNUSED_PAD src0_sel:WORD_1
	v_cvt_f32_f16_e32 v8, v7
	v_pk_fma_f32 v[2:3], v[4:5], v[8:9], v[2:3] op_sel_hi:[0,1,1]
	global_store_dwordx2 v[0:1], v[2:3], off offset:512
	v_mov_b32_e32 v1, 0
.LBB29_103:                             ;   in Loop: Header=BB29_16 Depth=1
	s_or_b64 exec, exec, s[46:47]
	s_movk_i32 s0, 0x47
	v_cmp_gt_i32_e32 vcc, s0, v1
	s_mov_b64 s[46:47], -1
	s_and_saveexec_b64 s[48:49], vcc
; %bb.104:                              ;   in Loop: Header=BB29_16 Depth=1
	v_cmp_eq_u32_e32 vcc, 0, v1
	s_orn2_b64 s[46:47], vcc, exec
; %bb.105:                              ;   in Loop: Header=BB29_16 Depth=1
	s_or_b64 exec, exec, s[48:49]
	s_and_b64 exec, exec, s[46:47]
	s_cbranch_execz .LBB29_173
; %bb.106:                              ;   in Loop: Header=BB29_16 Depth=1
	v_accvgpr_read_b32 v0, a24
	v_add_u32_e32 v0, v0, v97
	v_cmp_gt_i32_e32 vcc, s96, v0
	v_mov_b32_e32 v1, 0x47
	s_and_saveexec_b64 s[46:47], vcc
	s_cbranch_execz .LBB29_108
; %bb.107:                              ;   in Loop: Header=BB29_16 Depth=1
	v_accvgpr_read_b32 v1, a47
	ds_read2st64_b32 v[2:3], v1 offset0:2 offset1:35
	v_accvgpr_read_b32 v1, a63
	ds_read2st64_b32 v[4:5], v1 offset1:1
	ds_read2st64_b32 v[6:7], v1 offset0:33 offset1:34
	v_readlane_b32 s0, v255, 0
	s_waitcnt lgkmcnt(1)
	v_cvt_f32_f16_sdwa v9, v4 dst_sel:DWORD dst_unused:UNUSED_PAD src0_sel:WORD_1
	v_cvt_f32_f16_e32 v8, v4
	s_waitcnt lgkmcnt(0)
	v_cvt_f32_f16_sdwa v11, v6 dst_sel:DWORD dst_unused:UNUSED_PAD src0_sel:WORD_1
	v_cvt_f32_f16_e32 v10, v6
	v_mad_u64_u32 v[0:1], s[48:49], s0, v0, v[48:49]
	v_ashrrev_i32_e32 v1, 31, v0
	v_pk_fma_f32 v[8:9], v[2:3], v[8:9], 0 op_sel_hi:[0,1,0]
	v_mov_b32_e32 v4, v3
	v_lshl_add_u64 v[0:1], v[0:1], 3, v[124:125]
	v_pk_fma_f32 v[8:9], v[4:5], v[10:11], v[8:9] op_sel_hi:[0,1,1]
	global_store_dwordx2 v[0:1], v[8:9], off
	v_cvt_f32_f16_sdwa v9, v5 dst_sel:DWORD dst_unused:UNUSED_PAD src0_sel:WORD_1
	v_cvt_f32_f16_e32 v8, v5
	v_pk_fma_f32 v[2:3], v[2:3], v[8:9], 0 op_sel_hi:[0,1,0]
	v_cvt_f32_f16_sdwa v9, v7 dst_sel:DWORD dst_unused:UNUSED_PAD src0_sel:WORD_1
	v_cvt_f32_f16_e32 v8, v7
	v_pk_fma_f32 v[2:3], v[4:5], v[8:9], v[2:3] op_sel_hi:[0,1,1]
	global_store_dwordx2 v[0:1], v[2:3], off offset:512
	v_mov_b32_e32 v1, 0
.LBB29_108:                             ;   in Loop: Header=BB29_16 Depth=1
	s_or_b64 exec, exec, s[46:47]
	s_movk_i32 s0, 0x47
	v_cmp_gt_i32_e32 vcc, s0, v1
	s_mov_b64 s[46:47], -1
	s_and_saveexec_b64 s[48:49], vcc
; %bb.109:                              ;   in Loop: Header=BB29_16 Depth=1
	;; [unrolled: 48-line block ×14, first 2 shown]
	v_cmp_eq_u32_e32 vcc, 0, v1
	s_orn2_b64 s[46:47], vcc, exec
; %bb.170:                              ;   in Loop: Header=BB29_16 Depth=1
	s_or_b64 exec, exec, s[48:49]
	s_and_b64 exec, exec, s[46:47]
	s_cbranch_execz .LBB29_173
; %bb.171:                              ;   in Loop: Header=BB29_16 Depth=1
	v_accvgpr_read_b32 v0, a37
	v_add_u32_e32 v0, v0, v97
	v_cmp_gt_i32_e32 vcc, s96, v0
	s_and_b64 exec, exec, vcc
	s_cbranch_execz .LBB29_173
; %bb.172:                              ;   in Loop: Header=BB29_16 Depth=1
	v_accvgpr_read_b32 v1, a60
	ds_read2st64_b32 v[2:3], v1 offset0:2 offset1:35
	v_accvgpr_read_b32 v1, a76
	ds_read2st64_b32 v[4:5], v1 offset1:1
	ds_read2st64_b32 v[6:7], v1 offset0:33 offset1:34
	v_readlane_b32 s0, v255, 0
	s_waitcnt lgkmcnt(1)
	v_cvt_f32_f16_sdwa v9, v4 dst_sel:DWORD dst_unused:UNUSED_PAD src0_sel:WORD_1
	v_cvt_f32_f16_e32 v8, v4
	s_waitcnt lgkmcnt(0)
	v_cvt_f32_f16_sdwa v11, v6 dst_sel:DWORD dst_unused:UNUSED_PAD src0_sel:WORD_1
	v_cvt_f32_f16_e32 v10, v6
	v_mad_u64_u32 v[0:1], s[46:47], s0, v0, v[48:49]
	v_ashrrev_i32_e32 v1, 31, v0
	v_pk_fma_f32 v[8:9], v[2:3], v[8:9], 0 op_sel_hi:[0,1,0]
	v_mov_b32_e32 v4, v3
	v_lshl_add_u64 v[0:1], v[0:1], 3, v[124:125]
	v_pk_fma_f32 v[8:9], v[4:5], v[10:11], v[8:9] op_sel_hi:[0,1,1]
	global_store_dwordx2 v[0:1], v[8:9], off
	v_cvt_f32_f16_sdwa v9, v5 dst_sel:DWORD dst_unused:UNUSED_PAD src0_sel:WORD_1
	v_cvt_f32_f16_e32 v8, v5
	v_pk_fma_f32 v[2:3], v[2:3], v[8:9], 0 op_sel_hi:[0,1,0]
	v_cvt_f32_f16_sdwa v9, v7 dst_sel:DWORD dst_unused:UNUSED_PAD src0_sel:WORD_1
	v_cvt_f32_f16_e32 v8, v7
	v_pk_fma_f32 v[2:3], v[4:5], v[8:9], v[2:3] op_sel_hi:[0,1,1]
	global_store_dwordx2 v[0:1], v[2:3], off offset:512
.LBB29_173:                             ;   in Loop: Header=BB29_16 Depth=1
	s_or_b64 exec, exec, s[44:45]
	s_barrier
	s_branch .LBB29_15
.LBB29_174:                             ;   in Loop: Header=BB29_16 Depth=1
	v_cmp_le_i32_e32 vcc, s96, v98
	s_and_saveexec_b64 s[44:45], vcc
	s_xor_b64 s[44:45], exec, s[44:45]
; %bb.175:                              ;   in Loop: Header=BB29_16 Depth=1
	v_add_u32_e32 v0, v251, v216
	ds_write2st64_b32 v0, v51, v51 offset1:1
; %bb.176:                              ;   in Loop: Header=BB29_16 Depth=1
	s_andn2_saveexec_b64 s[44:45], s[44:45]
	s_cbranch_execz .LBB29_178
; %bb.177:                              ;   in Loop: Header=BB29_16 Depth=1
	v_mad_u64_u32 v[0:1], s[46:47], v98, s53, v[48:49]
	v_ashrrev_i32_e32 v1, 31, v0
	v_lshl_add_u64 v[0:1], v[0:1], 3, v[144:145]
	global_load_dwordx2 v[2:3], v[0:1], off
	s_nop 0
	global_load_dwordx2 v[0:1], v[0:1], off offset:512
	s_waitcnt vmcnt(1)
	v_cvt_pk_f16_f32 v2, v2, v3
	s_waitcnt vmcnt(0)
	v_cvt_pk_f16_f32 v0, v0, v1
	v_pk_mul_f16 v1, v2, v220
	v_pk_mul_f16 v0, v0, v220
	v_accvgpr_read_b32 v2, a77
	ds_write2st64_b32 v2, v1, v0 offset1:1
.LBB29_178:                             ;   in Loop: Header=BB29_16 Depth=1
	s_or_b64 exec, exec, s[44:45]
	v_add_u32_e32 v101, v198, v97
	v_cmp_le_i32_e32 vcc, s96, v101
	s_and_saveexec_b64 s[44:45], vcc
	s_xor_b64 s[44:45], exec, s[44:45]
; %bb.179:                              ;   in Loop: Header=BB29_16 Depth=1
	v_add_u32_e32 v0, v251, v216
	v_add_u32_e32 v0, 64, v0
	ds_write2st64_b32 v0, v51, v51 offset0:8 offset1:9
; %bb.180:                              ;   in Loop: Header=BB29_16 Depth=1
	s_andn2_saveexec_b64 s[44:45], s[44:45]
	s_cbranch_execz .LBB29_182
; %bb.181:                              ;   in Loop: Header=BB29_16 Depth=1
	v_mad_u64_u32 v[0:1], s[46:47], v101, s53, v[48:49]
	v_ashrrev_i32_e32 v1, 31, v0
	v_lshl_add_u64 v[0:1], v[0:1], 3, v[144:145]
	global_load_dwordx2 v[2:3], v[0:1], off
	s_nop 0
	global_load_dwordx2 v[0:1], v[0:1], off offset:512
	s_waitcnt vmcnt(1)
	v_cvt_pk_f16_f32 v2, v2, v3
	s_waitcnt vmcnt(0)
	v_cvt_pk_f16_f32 v0, v0, v1
	v_pk_mul_f16 v1, v2, v220
	v_pk_mul_f16 v0, v0, v220
	v_accvgpr_read_b32 v2, a92
	ds_write2st64_b32 v2, v1, v0 offset1:1
.LBB29_182:                             ;   in Loop: Header=BB29_16 Depth=1
	s_or_b64 exec, exec, s[44:45]
	v_add_u32_e32 v102, v159, v97
	v_cmp_le_i32_e32 vcc, s96, v102
	s_and_saveexec_b64 s[44:45], vcc
	s_xor_b64 s[44:45], exec, s[44:45]
; %bb.183:                              ;   in Loop: Header=BB29_16 Depth=1
	v_add_u32_e32 v0, v251, v216
	v_add_u32_e32 v0, 0x80, v0
	ds_write2st64_b32 v0, v51, v51 offset0:16 offset1:17
	;; [unrolled: 28-line block ×3, first 2 shown]
; %bb.188:                              ;   in Loop: Header=BB29_16 Depth=1
	s_andn2_saveexec_b64 s[44:45], s[44:45]
	s_cbranch_execz .LBB29_190
; %bb.189:                              ;   in Loop: Header=BB29_16 Depth=1
	v_mad_u64_u32 v[0:1], s[46:47], v105, s53, v[48:49]
	v_ashrrev_i32_e32 v1, 31, v0
	v_lshl_add_u64 v[0:1], v[0:1], 3, v[144:145]
	global_load_dwordx2 v[2:3], v[0:1], off
	s_nop 0
	global_load_dwordx2 v[0:1], v[0:1], off offset:512
	s_waitcnt vmcnt(1)
	v_cvt_pk_f16_f32 v2, v2, v3
	s_waitcnt vmcnt(0)
	v_cvt_pk_f16_f32 v0, v0, v1
	v_pk_mul_f16 v1, v2, v220
	v_pk_mul_f16 v0, v0, v220
	v_accvgpr_read_b32 v2, a94
	ds_write2st64_b32 v2, v1, v0 offset1:1
.LBB29_190:                             ;   in Loop: Header=BB29_16 Depth=1
	s_or_b64 exec, exec, s[44:45]
	v_add_u32_e32 v100, v157, v97
	v_cmp_le_i32_e32 vcc, s96, v100
	s_and_saveexec_b64 s[44:45], vcc
	s_xor_b64 s[44:45], exec, s[44:45]
; %bb.191:                              ;   in Loop: Header=BB29_16 Depth=1
	v_add_u32_e32 v0, v251, v216
	ds_write2st64_b32 v0, v51, v51 offset0:33 offset1:34
; %bb.192:                              ;   in Loop: Header=BB29_16 Depth=1
	s_andn2_saveexec_b64 s[44:45], s[44:45]
	s_cbranch_execz .LBB29_194
; %bb.193:                              ;   in Loop: Header=BB29_16 Depth=1
	v_mad_u64_u32 v[0:1], s[46:47], v100, s53, v[48:49]
	v_ashrrev_i32_e32 v1, 31, v0
	v_lshl_add_u64 v[0:1], v[0:1], 3, v[144:145]
	global_load_dwordx2 v[2:3], v[0:1], off
	s_nop 0
	global_load_dwordx2 v[0:1], v[0:1], off offset:512
	s_waitcnt vmcnt(1)
	v_cvt_pk_f16_f32 v2, v2, v3
	s_waitcnt vmcnt(0)
	v_cvt_pk_f16_f32 v0, v0, v1
	v_pk_mul_f16 v1, v2, v220
	v_pk_mul_f16 v0, v0, v220
	v_accvgpr_read_b32 v2, a95
	ds_write2st64_b32 v2, v1, v0 offset1:1
.LBB29_194:                             ;   in Loop: Header=BB29_16 Depth=1
	s_or_b64 exec, exec, s[44:45]
	v_add_u32_e32 v103, v226, v97
	v_cmp_le_i32_e32 vcc, s96, v103
	s_and_saveexec_b64 s[44:45], vcc
	s_xor_b64 s[44:45], exec, s[44:45]
; %bb.195:                              ;   in Loop: Header=BB29_16 Depth=1
	v_add_u32_e32 v0, v251, v216
	v_add_u32_e32 v0, 64, v0
	ds_write2st64_b32 v0, v51, v51 offset0:41 offset1:42
; %bb.196:                              ;   in Loop: Header=BB29_16 Depth=1
	s_andn2_saveexec_b64 s[44:45], s[44:45]
	s_cbranch_execz .LBB29_198
; %bb.197:                              ;   in Loop: Header=BB29_16 Depth=1
	v_mad_u64_u32 v[0:1], s[46:47], v103, s53, v[48:49]
	v_ashrrev_i32_e32 v1, 31, v0
	v_lshl_add_u64 v[0:1], v[0:1], 3, v[144:145]
	global_load_dwordx2 v[2:3], v[0:1], off
	s_nop 0
	global_load_dwordx2 v[0:1], v[0:1], off offset:512
	s_waitcnt vmcnt(1)
	v_cvt_pk_f16_f32 v2, v2, v3
	s_waitcnt vmcnt(0)
	v_cvt_pk_f16_f32 v0, v0, v1
	v_pk_mul_f16 v1, v2, v220
	v_pk_mul_f16 v0, v0, v220
	v_accvgpr_read_b32 v2, a96
	ds_write2st64_b32 v2, v1, v0 offset1:1
.LBB29_198:                             ;   in Loop: Header=BB29_16 Depth=1
	s_or_b64 exec, exec, s[44:45]
	v_add_u32_e32 v104, v225, v97
	v_cmp_le_i32_e32 vcc, s96, v104
	s_and_saveexec_b64 s[44:45], vcc
	s_xor_b64 s[44:45], exec, s[44:45]
; %bb.199:                              ;   in Loop: Header=BB29_16 Depth=1
	v_add_u32_e32 v0, v251, v216
	;; [unrolled: 28-line block ×3, first 2 shown]
	v_add_u32_e32 v0, 0xc0, v0
	ds_write2st64_b32 v0, v51, v51 offset0:57 offset1:58
                                        ; implicit-def: $vgpr144_vgpr145
; %bb.204:                              ;   in Loop: Header=BB29_16 Depth=1
	s_andn2_saveexec_b64 s[44:45], s[44:45]
	s_cbranch_execz .LBB29_206
; %bb.205:                              ;   in Loop: Header=BB29_16 Depth=1
	v_mad_u64_u32 v[0:1], s[46:47], v106, s53, v[48:49]
	v_ashrrev_i32_e32 v1, 31, v0
	v_lshl_add_u64 v[0:1], v[0:1], 3, v[144:145]
	global_load_dwordx2 v[2:3], v[0:1], off
	s_nop 0
	global_load_dwordx2 v[0:1], v[0:1], off offset:512
	s_waitcnt vmcnt(1)
	v_cvt_pk_f16_f32 v2, v2, v3
	s_waitcnt vmcnt(0)
	v_cvt_pk_f16_f32 v0, v0, v1
	v_pk_mul_f16 v1, v2, v220
	v_pk_mul_f16 v0, v0, v220
	v_accvgpr_read_b32 v2, a98
	ds_write2st64_b32 v2, v1, v0 offset1:1
.LBB29_206:                             ;   in Loop: Header=BB29_16 Depth=1
	s_or_b64 exec, exec, s[44:45]
	s_waitcnt lgkmcnt(0)
	s_barrier
	ds_read2_b64 v[30:33], v200 offset1:4
	ds_read2_b64 v[26:29], v200 offset0:8 offset1:12
	ds_read2_b64 v[22:25], v200 offset0:16 offset1:20
	;; [unrolled: 1-line block ×7, first 2 shown]
	v_cmp_gt_i32_e32 vcc, 2, v99
	v_accvgpr_write_b32 a17, v226
	v_accvgpr_write_b32 a16, v225
	;; [unrolled: 1-line block ×3, first 2 shown]
	v_cmp_ne_u64_e64 s[44:45], 0, v[132:133]
	s_waitcnt lgkmcnt(0)
	s_barrier
	s_cbranch_vccnz .LBB29_217
; %bb.207:                              ;   in Loop: Header=BB29_16 Depth=1
	v_readlane_b32 s0, v254, 10
	v_readlane_b32 s1, v254, 11
	v_and_b32_e32 v40, 64, v219
	v_mul_hi_u32 v34, s0, v102
	v_mul_hi_u32 v35, s0, v105
	;; [unrolled: 1-line block ×4, first 2 shown]
	v_add_u32_e32 v34, v102, v34
	v_add_u32_e32 v35, v105, v35
	;; [unrolled: 1-line block ×4, first 2 shown]
	v_lshrrev_b32_e32 v34, s1, v34
	v_lshrrev_b32_e32 v35, s1, v35
	v_mul_hi_u32 v36, s0, v100
	v_mul_hi_u32 v37, s0, v103
	;; [unrolled: 1-line block ×4, first 2 shown]
	v_lshrrev_b32_e32 v0, s1, v0
	v_lshrrev_b32_e32 v1, s1, v1
	v_mul_lo_u32 v34, v34, s96
	v_mul_lo_u32 v35, v35, s96
	v_add_u32_e32 v36, v100, v36
	v_add_u32_e32 v37, v103, v37
	;; [unrolled: 1-line block ×4, first 2 shown]
	v_mul_lo_u32 v0, v0, s96
	v_mul_lo_u32 v1, v1, s96
	v_sub_u32_e32 v34, v102, v34
	v_sub_u32_e32 v35, v105, v35
	v_lshrrev_b32_e32 v36, s1, v36
	v_lshrrev_b32_e32 v37, s1, v37
	;; [unrolled: 1-line block ×4, first 2 shown]
	v_readlane_b32 s0, v255, 10
	v_sub_u32_e32 v0, v98, v0
	v_sub_u32_e32 v1, v101, v1
	v_mad_i64_i32 v[150:151], s[46:47], s0, v34, v[132:133]
	v_mad_i64_i32 v[152:153], s[46:47], s0, v35, v[132:133]
	v_accvgpr_read_b32 v34, a100
	v_mad_i64_i32 v[146:147], s[46:47], s0, v0, v[132:133]
	v_mad_i64_i32 v[148:149], s[46:47], s0, v1, v[132:133]
	v_lshl_add_u64 v[0:1], v[136:137], 0, v[138:139]
	v_accvgpr_read_b32 v35, a101
	v_lshl_add_u64 v[136:137], v[34:35], 0, v[0:1]
	v_accvgpr_read_b32 v34, a102
	v_accvgpr_read_b32 v35, a103
	v_lshl_add_u64 v[138:139], v[34:35], 0, v[0:1]
	v_accvgpr_read_b32 v34, a104
	;; [unrolled: 3-line block ×8, first 2 shown]
	v_lshl_add_u64 v[0:1], v[140:141], 0, v[142:143]
	v_accvgpr_read_b32 v35, a117
	v_lshl_add_u64 v[140:141], v[34:35], 0, v[0:1]
	v_accvgpr_read_b32 v34, a118
	v_accvgpr_read_b32 v35, a119
	v_lshl_add_u64 v[142:143], v[34:35], 0, v[0:1]
	v_accvgpr_read_b32 v34, a120
	;; [unrolled: 3-line block ×4, first 2 shown]
	v_accvgpr_read_b32 v35, a125
	v_add_u32_e32 v40, 64, v40
	v_xor_b32_e32 v41, 32, v219
	v_lshl_add_u64 v[178:179], v[34:35], 0, v[0:1]
	v_accvgpr_read_b32 v34, a126
	v_cmp_lt_i32_e32 vcc, v41, v40
	v_accvgpr_read_b32 v35, a127
	v_lshl_add_u64 v[180:181], v[34:35], 0, v[0:1]
	v_cndmask_b32_e32 v41, v219, v41, vcc
	v_accvgpr_read_b32 v34, a128
	v_lshlrev_b32_e32 v107, 2, v41
	v_xor_b32_e32 v41, 16, v219
	v_accvgpr_read_b32 v35, a129
	v_mul_lo_u32 v36, v36, s96
	v_mul_lo_u32 v37, v37, s96
	;; [unrolled: 1-line block ×4, first 2 shown]
	v_cmp_lt_i32_e32 vcc, v41, v40
	v_lshl_add_u64 v[182:183], v[34:35], 0, v[0:1]
	v_accvgpr_read_b32 v34, a130
	v_add_u32_e32 v50, -1, v99
	v_sub_u32_e32 v36, v100, v36
	v_sub_u32_e32 v37, v103, v37
	;; [unrolled: 1-line block ×4, first 2 shown]
	v_cndmask_b32_e32 v40, v219, v41, vcc
	v_accvgpr_read_b32 v35, a131
	v_lshlrev_b32_e32 v108, 2, v40
	v_mov_b32_e32 v144, v130
	v_mov_b32_e32 v145, v130
	v_mad_i64_i32 v[154:155], s[46:47], s0, v36, v[132:133]
	v_mad_i64_i32 v[156:157], s[46:47], s0, v37, v[132:133]
	;; [unrolled: 1-line block ×4, first 2 shown]
	v_lshl_add_u64 v[184:185], v[34:35], 0, v[0:1]
	v_mov_b32_e32 v225, 0
	v_mov_b32_e32 v186, 0xfeffffff
	;; [unrolled: 1-line block ×35, first 2 shown]
	v_readlane_b32 s1, v255, 11
	v_cndmask_b32_e64 v1, 0, 1, s[44:45]
	v_cmp_ne_u32_e64 s[46:47], 1, v1
	s_andn2_b64 vcc, exec, s[44:45]
	s_cbranch_vccnz .LBB29_213
.LBB29_208:                             ;   in Loop: Header=BB29_16 Depth=1
	s_and_saveexec_b64 s[48:49], s[84:85]
	s_xor_b64 s[48:49], exec, s[48:49]
	s_cbranch_execz .LBB29_210
; %bb.209:                              ;   in Loop: Header=BB29_16 Depth=1
	ds_write_b16 v227, v51 offset:33792
	ds_write_b16 v217, v51 offset:33792
	;; [unrolled: 1-line block ×4, first 2 shown]
.LBB29_210:                             ;   in Loop: Header=BB29_16 Depth=1
	s_or_saveexec_b64 s[48:49], s[48:49]
	v_mov_b32_e32 v1, 0
	v_mov_b32_e32 v34, 0
	v_mov_b32_e32 v35, 0
	v_mov_b32_e32 v36, 0
	s_xor_b64 exec, exec, s[48:49]
	s_cbranch_execz .LBB29_212
; %bb.211:                              ;   in Loop: Header=BB29_16 Depth=1
	v_lshl_add_u64 v[34:35], v[146:147], 0, v[54:55]
	global_load_ushort v38, v[34:35], off
	v_lshl_add_u64 v[34:35], v[148:149], 0, v[54:55]
	global_load_ushort v39, v[34:35], off
	;; [unrolled: 2-line block ×5, first 2 shown]
	v_lshl_add_u64 v[34:35], v[156:157], 0, v[54:55]
	v_lshl_add_u64 v[36:37], v[158:159], 0, v[54:55]
	global_load_ushort v34, v[34:35], off
	s_nop 0
	global_load_ushort v35, v[36:37], off
	v_lshl_add_u64 v[36:37], v[160:161], 0, v[54:55]
	global_load_ushort v36, v[36:37], off
	s_waitcnt vmcnt(7)
	ds_write_b16 v227, v38 offset:33792
	s_waitcnt vmcnt(6)
	ds_write_b16 v217, v39 offset:33792
	;; [unrolled: 2-line block ×4, first 2 shown]
.LBB29_212:                             ;   in Loop: Header=BB29_16 Depth=1
	s_or_b64 exec, exec, s[48:49]
	s_waitcnt vmcnt(3)
	ds_write_b16 v214, v1 offset:33792
	s_waitcnt vmcnt(2)
	ds_write_b16 v213, v34 offset:33792
	;; [unrolled: 2-line block ×4, first 2 shown]
.LBB29_213:                             ;   Parent Loop BB29_16 Depth=1
                                        ; =>  This Inner Loop Header: Depth=2
	v_lshl_add_u64 v[34:35], v[140:141], 0, v[88:89]
	v_mov_b32_e32 v1, s41
	v_cndmask_b32_e64 v35, v1, v35, s[92:93]
	v_cndmask_b32_e64 v34, v96, v34, s[92:93]
	scratch_store_dwordx4 off, a[8:11], off
	flat_load_dwordx4 v[34:37], v[34:35]
	v_lshl_add_u64 v[38:39], v[142:143], 0, v[88:89]
	v_cndmask_b32_e64 v39, v1, v39, s[94:95]
	v_cndmask_b32_e64 v38, v96, v38, s[94:95]
	s_and_b64 vcc, exec, s[46:47]
	s_waitcnt vmcnt(0) lgkmcnt(0)
	ds_write_b128 v202, v[34:37]
	flat_load_dwordx4 v[34:37], v[38:39]
	v_lshl_add_u64 v[38:39], v[174:175], 0, v[88:89]
	v_cndmask_b32_e64 v39, v1, v39, s[78:79]
	v_cndmask_b32_e64 v38, v96, v38, s[78:79]
	s_waitcnt vmcnt(0) lgkmcnt(0)
	ds_write_b128 v247, v[34:37]
	flat_load_dwordx4 v[34:37], v[38:39]
	v_lshl_add_u64 v[38:39], v[176:177], 0, v[88:89]
	v_cndmask_b32_e64 v39, v1, v39, s[98:99]
	v_cndmask_b32_e64 v38, v96, v38, s[98:99]
	;; [unrolled: 6-line block ×6, first 2 shown]
	v_add_u32_e32 v1, 0x4000, v203
	s_waitcnt vmcnt(0) lgkmcnt(0)
	ds_write_b128 v211, v[34:37]
	flat_load_dwordx4 v[34:37], v[38:39]
	s_waitcnt vmcnt(0) lgkmcnt(0)
	ds_write_b128 v222, v[34:37]
	s_waitcnt lgkmcnt(0)
	s_barrier
	ds_read2_b64 v[34:37], v203 offset1:4
	ds_read2_b64 v[38:41], v1 offset0:64 offset1:68
	s_waitcnt lgkmcnt(1)
	v_mfma_f32_16x16x16_f16 a[0:3], v[34:35], v[30:31], 0
	s_waitcnt lgkmcnt(0)
	v_mfma_f32_16x16x16_f16 a[4:7], v[38:39], v[30:31], 0
	v_mfma_f32_16x16x16_f16 a[0:3], v[36:37], v[32:33], a[0:3]
	ds_read2_b64 v[34:37], v203 offset0:8 offset1:12
	v_mfma_f32_16x16x16_f16 a[4:7], v[40:41], v[32:33], a[4:7]
	ds_read2_b64 v[38:41], v1 offset0:72 offset1:76
	s_waitcnt lgkmcnt(1)
	v_mfma_f32_16x16x16_f16 a[0:3], v[34:35], v[26:27], a[0:3]
	s_waitcnt lgkmcnt(0)
	v_mfma_f32_16x16x16_f16 a[4:7], v[38:39], v[26:27], a[4:7]
	v_mfma_f32_16x16x16_f16 a[0:3], v[36:37], v[28:29], a[0:3]
	ds_read2_b64 v[34:37], v203 offset0:16 offset1:20
	v_mfma_f32_16x16x16_f16 a[4:7], v[40:41], v[28:29], a[4:7]
	;; [unrolled: 8-line block ×7, first 2 shown]
	ds_read2_b64 v[38:41], v1 offset0:120 offset1:124
	s_waitcnt lgkmcnt(0)
	s_barrier
	v_mfma_f32_16x16x16_f16 a[0:3], v[34:35], v[2:3], a[0:3]
	v_mfma_f32_16x16x16_f16 a[4:7], v[38:39], v[2:3], a[4:7]
	;; [unrolled: 1-line block ×4, first 2 shown]
	s_cbranch_vccnz .LBB29_215
; %bb.214:                              ;   in Loop: Header=BB29_213 Depth=2
	v_add_u32_e32 v1, 0x8400, v228
	ds_read2_b32 v[188:189], v1 offset1:1
	ds_read_b32 v1, v230 offset:33792
	s_nop 2
	v_accvgpr_read_b32 v41, a3
	v_accvgpr_read_b32 v39, a1
	;; [unrolled: 1-line block ×3, first 2 shown]
	s_waitcnt lgkmcnt(1)
	v_cvt_f32_f16_e32 v190, v188
	v_cvt_f32_f16_sdwa v191, v188 dst_sel:DWORD dst_unused:UNUSED_PAD src0_sel:WORD_1
	v_cvt_f32_f16_e32 v188, v189
	v_cvt_f32_f16_sdwa v189, v189 dst_sel:DWORD dst_unused:UNUSED_PAD src0_sel:WORD_1
	v_accvgpr_read_b32 v40, a2
	v_mov_b32_e32 v131, v130
	v_pk_fma_f32 v[38:39], v[144:145], v[190:191], v[38:39]
	v_pk_fma_f32 v[40:41], v[130:131], v[188:189], v[40:41]
	v_accvgpr_read_b32 v37, a7
	v_accvgpr_write_b32 a0, v38
	v_accvgpr_write_b32 a1, v39
	;; [unrolled: 1-line block ×4, first 2 shown]
	s_waitcnt lgkmcnt(0)
	v_cvt_f32_f16_sdwa v39, v1 dst_sel:DWORD dst_unused:UNUSED_PAD src0_sel:WORD_1
	v_cvt_f32_f16_e32 v38, v1
	ds_read_b32 v1, v232 offset:33792
	v_accvgpr_read_b32 v35, a5
	v_accvgpr_read_b32 v34, a4
	;; [unrolled: 1-line block ×3, first 2 shown]
	v_pk_fma_f32 v[34:35], v[144:145], v[38:39], v[34:35]
	s_waitcnt lgkmcnt(0)
	v_cvt_f32_f16_sdwa v41, v1 dst_sel:DWORD dst_unused:UNUSED_PAD src0_sel:WORD_1
	v_cvt_f32_f16_e32 v40, v1
	v_pk_fma_f32 v[36:37], v[130:131], v[40:41], v[36:37]
	s_nop 0
	v_accvgpr_write_b32 a4, v34
	v_accvgpr_write_b32 a5, v35
	;; [unrolled: 1-line block ×4, first 2 shown]
.LBB29_215:                             ;   in Loop: Header=BB29_213 Depth=2
	s_nop 5
	v_accvgpr_read_b32 v37, a3
	v_accvgpr_read_b32 v34, a0
	v_add_f32_e32 v1, 0x40051340, v34
	v_max_f32_e32 v38, v186, v186
	v_max_f32_e32 v1, v38, v1
	v_accvgpr_read_b32 v35, a1
	v_cndmask_b32_e64 v1, v186, v1, s[22:23]
	v_add_f32_e32 v38, 0x40051340, v35
	v_max_f32_e32 v39, v1, v1
	v_max_f32_e32 v38, v39, v38
	v_accvgpr_read_b32 v36, a2
	v_cndmask_b32_e64 v1, v1, v38, s[24:25]
	v_add_f32_e32 v38, 0x40051340, v36
	v_max_f32_e32 v39, v1, v1
	v_max_f32_e32 v38, v39, v38
	v_cndmask_b32_e64 v1, v1, v38, s[26:27]
	v_add_f32_e32 v38, 0x40051340, v37
	v_max_f32_e32 v39, v1, v1
	v_accvgpr_read_b32 v191, a7
	v_max_f32_e32 v38, v39, v38
	v_accvgpr_read_b32 v188, a4
	v_cndmask_b32_e64 v1, v1, v38, s[28:29]
	v_add_f32_e32 v38, 0x40051340, v188
	v_max_f32_e32 v39, v1, v1
	v_max_f32_e32 v38, v39, v38
	v_accvgpr_read_b32 v189, a5
	v_cndmask_b32_e64 v1, v1, v38, s[30:31]
	v_add_f32_e32 v38, 0x40051340, v189
	v_max_f32_e32 v39, v1, v1
	;; [unrolled: 5-line block ×3, first 2 shown]
	v_max_f32_e32 v38, v39, v38
	v_cndmask_b32_e64 v1, v1, v38, s[36:37]
	v_add_f32_e32 v38, 0x40051340, v191
	v_max_f32_e32 v39, v1, v1
	v_max_f32_e32 v38, v39, v38
	v_cndmask_b32_e64 v1, v1, v38, s[38:39]
	ds_bpermute_b32 v38, v107, v1
	v_max_f32_e32 v1, v1, v1
	scratch_store_dwordx4 off, a[8:11], off
	v_add_u32_e32 v109, -1, v109
	v_lshl_add_u64 v[146:147], v[146:147], 0, s[54:55]
	s_waitcnt lgkmcnt(0)
	v_max_f32_e32 v38, v38, v38
	v_max_f32_e32 v1, v1, v38
	ds_bpermute_b32 v38, v108, v1
	v_lshl_add_u64 v[148:149], v[148:149], 0, s[54:55]
	v_lshl_add_u64 v[150:151], v[150:151], 0, s[54:55]
	;; [unrolled: 1-line block ×4, first 2 shown]
	s_waitcnt lgkmcnt(0)
	v_max_f32_e32 v38, v38, v38
	v_max_f32_e32 v41, v1, v38
	v_sub_f32_e32 v1, v34, v41
	v_mul_f32_e32 v34, 0x3fb8aa3b, v1
	v_fma_f32 v38, v1, s40, -v34
	v_rndne_f32_e32 v39, v34
	v_fmac_f32_e32 v38, 0x32a5705f, v1
	v_sub_f32_e32 v34, v34, v39
	v_add_f32_e32 v34, v34, v38
	v_exp_f32_e32 v34, v34
	v_cvt_i32_f32_e32 v38, v39
	v_cmp_ngt_f32_e32 vcc, s97, v1
	v_lshl_add_u64 v[156:157], v[156:157], 0, s[54:55]
	v_lshl_add_u64 v[158:159], v[158:159], 0, s[54:55]
	v_ldexp_f32 v34, v34, v38
	v_cndmask_b32_e32 v34, 0, v34, vcc
	v_cmp_nlt_f32_e32 vcc, s87, v1
	v_lshl_add_u64 v[160:161], v[160:161], 0, s[54:55]
	v_lshl_add_u64 v[140:141], v[140:141], 0, s[80:81]
	v_cndmask_b32_e32 v1, v94, v34, vcc
	v_cndmask_b32_e64 v38, 0, v1, s[22:23]
	v_sub_f32_e32 v1, v35, v41
	v_mul_f32_e32 v34, 0x3fb8aa3b, v1
	v_fma_f32 v35, v1, s40, -v34
	v_rndne_f32_e32 v39, v34
	v_fmac_f32_e32 v35, 0x32a5705f, v1
	v_sub_f32_e32 v34, v34, v39
	v_add_f32_e32 v34, v34, v35
	v_exp_f32_e32 v34, v34
	v_cvt_i32_f32_e32 v35, v39
	v_cmp_ngt_f32_e32 vcc, s97, v1
	v_lshl_add_u64 v[142:143], v[142:143], 0, s[80:81]
	v_lshl_add_u64 v[174:175], v[174:175], 0, s[80:81]
	v_ldexp_f32 v34, v34, v35
	v_cndmask_b32_e32 v34, 0, v34, vcc
	v_cmp_nlt_f32_e32 vcc, s87, v1
	v_mov_b32_e32 v1, s69
	v_lshl_add_u64 v[176:177], v[176:177], 0, s[80:81]
	v_cndmask_b32_e32 v34, v94, v34, vcc
	v_add_f32_e32 v39, v34, v38
	v_cndmask_b32_e64 v35, v1, v34, s[24:25]
	v_sub_f32_e32 v34, v36, v41
	v_mul_f32_e32 v36, 0x3fb8aa3b, v34
	v_cndmask_b32_e64 v1, v38, v39, s[24:25]
	v_fma_f32 v39, v34, s40, -v36
	v_rndne_f32_e32 v40, v36
	v_fmac_f32_e32 v39, 0x32a5705f, v34
	v_sub_f32_e32 v36, v36, v40
	v_add_f32_e32 v36, v36, v39
	v_exp_f32_e32 v36, v36
	v_cvt_i32_f32_e32 v39, v40
	v_cmp_ngt_f32_e32 vcc, s97, v34
	v_cvt_pk_f16_f32 v38, v38, v35
	v_lshl_add_u64 v[178:179], v[178:179], 0, s[80:81]
	v_ldexp_f32 v36, v36, v39
	v_cndmask_b32_e32 v36, 0, v36, vcc
	v_cmp_nlt_f32_e32 vcc, s87, v34
	v_mov_b32_e32 v34, s69
	v_lshl_add_u64 v[180:181], v[180:181], 0, s[80:81]
	v_cndmask_b32_e32 v36, v94, v36, vcc
	v_cndmask_b32_e64 v40, v34, v36, s[26:27]
	v_sub_f32_e32 v34, v37, v41
	v_add_f32_e32 v39, v1, v36
	v_mul_f32_e32 v36, 0x3fb8aa3b, v34
	v_cndmask_b32_e64 v1, v1, v39, s[26:27]
	v_fma_f32 v37, v34, s40, -v36
	v_rndne_f32_e32 v39, v36
	v_fmac_f32_e32 v37, 0x32a5705f, v34
	v_sub_f32_e32 v36, v36, v39
	v_add_f32_e32 v36, v36, v37
	v_exp_f32_e32 v36, v36
	v_cvt_i32_f32_e32 v37, v39
	v_cmp_ngt_f32_e32 vcc, s97, v34
	v_lshl_add_u64 v[182:183], v[182:183], 0, s[80:81]
	v_lshl_add_u64 v[184:185], v[184:185], 0, s[80:81]
	v_ldexp_f32 v36, v36, v37
	v_cndmask_b32_e32 v36, 0, v36, vcc
	v_cmp_nlt_f32_e32 vcc, s87, v34
	v_mov_b32_e32 v37, s69
	s_nop 0
	v_cndmask_b32_e32 v34, v94, v36, vcc
	v_add_f32_e32 v36, v1, v34
	v_cndmask_b32_e64 v39, v37, v34, s[28:29]
	v_sub_f32_e32 v34, v188, v41
	v_cndmask_b32_e64 v1, v1, v36, s[28:29]
	v_mul_f32_e32 v36, 0x3fb8aa3b, v34
	v_fma_f32 v37, v34, s40, -v36
	v_rndne_f32_e32 v99, v36
	v_fmac_f32_e32 v37, 0x32a5705f, v34
	v_sub_f32_e32 v36, v36, v99
	v_add_f32_e32 v36, v36, v37
	v_exp_f32_e32 v36, v36
	v_cvt_i32_f32_e32 v37, v99
	v_cmp_ngt_f32_e32 vcc, s97, v34
	v_cvt_pk_f16_f32 v39, v40, v39
	v_ldexp_f32 v36, v36, v37
	v_cndmask_b32_e32 v36, 0, v36, vcc
	v_cmp_nlt_f32_e32 vcc, s87, v34
	v_mov_b32_e32 v34, s69
	s_nop 0
	v_cndmask_b32_e32 v36, v94, v36, vcc
	v_add_f32_e32 v37, v36, v1
	v_cndmask_b32_e64 v34, v34, v36, s[30:31]
	v_cndmask_b32_e64 v36, v1, v37, s[30:31]
	v_sub_f32_e32 v1, v189, v41
	v_mul_f32_e32 v37, 0x3fb8aa3b, v1
	v_fma_f32 v99, v1, s40, -v37
	v_rndne_f32_e32 v131, v37
	v_fmac_f32_e32 v99, 0x32a5705f, v1
	v_sub_f32_e32 v37, v37, v131
	v_add_f32_e32 v37, v37, v99
	v_exp_f32_e32 v37, v37
	v_cvt_i32_f32_e32 v99, v131
	v_cmp_ngt_f32_e32 vcc, s97, v1
	v_ldexp_f32 v37, v37, v99
	s_nop 0
	v_cndmask_b32_e32 v37, 0, v37, vcc
	v_cmp_nlt_f32_e32 vcc, s87, v1
	v_mov_b32_e32 v1, s69
	s_nop 0
	v_cndmask_b32_e32 v37, v94, v37, vcc
	v_add_f32_e32 v99, v37, v36
	v_cndmask_b32_e64 v1, v1, v37, s[34:35]
	v_cndmask_b32_e64 v37, v36, v99, s[34:35]
	v_sub_f32_e32 v36, v190, v41
	v_mul_f32_e32 v99, 0x3fb8aa3b, v36
	v_fma_f32 v131, v36, s40, -v99
	v_rndne_f32_e32 v187, v99
	v_fmac_f32_e32 v131, 0x32a5705f, v36
	v_sub_f32_e32 v99, v99, v187
	v_add_f32_e32 v99, v99, v131
	v_exp_f32_e32 v99, v99
	v_cvt_i32_f32_e32 v131, v187
	v_cmp_ngt_f32_e32 vcc, s97, v36
	v_cvt_pk_f16_f32 v34, v34, v1
	v_ldexp_f32 v99, v99, v131
	v_cndmask_b32_e32 v99, 0, v99, vcc
	v_cmp_nlt_f32_e32 vcc, s87, v36
	v_mov_b32_e32 v36, s69
	s_nop 0
	v_cndmask_b32_e32 v99, v94, v99, vcc
	v_add_f32_e32 v131, v99, v37
	v_cndmask_b32_e64 v36, v36, v99, s[36:37]
	v_cndmask_b32_e64 v99, v37, v131, s[36:37]
	v_sub_f32_e32 v37, v191, v41
	v_mul_f32_e32 v131, 0x3fb8aa3b, v37
	v_fma_f32 v187, v37, s40, -v131
	v_rndne_f32_e32 v188, v131
	v_fmac_f32_e32 v187, 0x32a5705f, v37
	v_sub_f32_e32 v131, v131, v188
	v_add_f32_e32 v131, v131, v187
	v_exp_f32_e32 v131, v131
	v_cvt_i32_f32_e32 v187, v188
	v_cmp_ngt_f32_e32 vcc, s97, v37
	v_ldexp_f32 v131, v131, v187
	s_nop 0
	v_cndmask_b32_e32 v131, 0, v131, vcc
	v_cmp_nlt_f32_e32 vcc, s87, v37
	v_mov_b32_e32 v37, s69
	s_nop 0
	v_cndmask_b32_e32 v131, v94, v131, vcc
	v_cndmask_b32_e64 v209, v37, v131, s[38:39]
	v_sub_f32_e32 v37, v186, v41
	v_add_f32_e32 v187, v131, v99
	v_mul_f32_e32 v131, 0x3fb8aa3b, v37
	v_cndmask_b32_e64 v99, v99, v187, s[38:39]
	v_fma_f32 v186, v37, s40, -v131
	v_rndne_f32_e32 v187, v131
	v_fmac_f32_e32 v186, 0x32a5705f, v37
	v_sub_f32_e32 v131, v131, v187
	v_add_f32_e32 v131, v131, v186
	v_exp_f32_e32 v131, v131
	v_cvt_i32_f32_e32 v186, v187
	v_cmp_ngt_f32_e32 vcc, s97, v37
	v_ldexp_f32 v131, v131, v186
	s_nop 0
	v_cndmask_b32_e32 v131, 0, v131, vcc
	v_cmp_nlt_f32_e32 vcc, s87, v37
	s_nop 1
	v_cndmask_b32_e32 v131, v94, v131, vcc
	v_cmp_le_f32_e32 vcc, s88, v37
	s_nop 1
	v_cndmask_b32_e32 v37, 0, v131, vcc
	v_fmac_f32_e32 v99, v53, v37
	v_cvt_f16_f32_e32 v37, v37
	v_cmp_ne_u32_e32 vcc, 0, v109
	s_and_b64 vcc, exec, vcc
	v_mul_u32_u24_e32 v37, 0x10001, v37
	v_pk_mul_f16 v218, v45, v37
	v_pk_mul_f16 v199, v44, v37
	;; [unrolled: 1-line block ×7, first 2 shown]
	v_mov_b32_e32 v47, s41
	v_lshl_add_u64 v[44:45], v[138:139], 0, v[88:89]
	v_pk_mul_f16 v244, v224, v37
	v_pk_mul_f16 v131, v225, v37
	v_cndmask_b32_e64 v225, v47, v45, s[94:95]
	v_cndmask_b32_e64 v224, v96, v44, s[94:95]
	v_lshl_add_u64 v[44:45], v[162:163], 0, v[88:89]
	v_cndmask_b32_e64 v235, v47, v45, s[78:79]
	v_cndmask_b32_e64 v234, v96, v44, s[78:79]
	v_lshl_add_u64 v[44:45], v[164:165], 0, v[88:89]
	;; [unrolled: 3-line block ×4, first 2 shown]
	v_pk_mul_f16 v210, v42, v37
	v_pk_mul_f16 v194, v43, v37
	v_lshl_add_u64 v[42:43], v[136:137], 0, v[88:89]
	v_cndmask_b32_e64 v191, v47, v45, s[16:17]
	v_cndmask_b32_e64 v190, v96, v44, s[16:17]
	v_lshl_add_u64 v[44:45], v[170:171], 0, v[88:89]
	v_cndmask_b32_e64 v43, v47, v43, s[92:93]
	v_cndmask_b32_e64 v42, v96, v42, s[92:93]
	;; [unrolled: 1-line block ×4, first 2 shown]
	v_lshl_add_u64 v[44:45], v[172:173], 0, v[88:89]
	v_cndmask_b32_e64 v189, v47, v45, s[20:21]
	v_cndmask_b32_e64 v188, v96, v44, s[20:21]
	flat_load_dwordx4 v[42:45], v[42:43]
	v_pk_mul_f16 v236, v119, v37
	v_pk_mul_f16 v119, v117, v37
	;; [unrolled: 1-line block ×4, first 2 shown]
	v_cvt_f32_f16_sdwa v47, v218 dst_sel:DWORD dst_unused:UNUSED_PAD src0_sel:WORD_1
	v_cvt_f32_f16_e32 v49, v210
	v_cvt_f32_f16_sdwa v53, v210 dst_sel:DWORD dst_unused:UNUSED_PAD src0_sel:WORD_1
	v_pk_mul_f16 v193, v122, v37
	v_accvgpr_write_b32 a1, v47
	v_accvgpr_write_b32 a2, v49
	;; [unrolled: 1-line block ×3, first 2 shown]
	v_pk_mul_f16 v122, v121, v37
	v_pk_mul_f16 v121, v123, v37
	v_pk_mul_f16 v120, v120, v37
	v_pk_mul_f16 v123, v95, v37
	v_cvt_f32_f16_sdwa v195, v120 dst_sel:DWORD dst_unused:UNUSED_PAD src0_sel:WORD_1
	v_pk_mul_f16 v90, v90, v37
	v_pk_mul_f16 v93, v93, v37
	v_pk_mul_f16 v92, v92, v37
	v_pk_mul_f16 v95, v226, v37
	v_pk_mul_f16 v0, v0, v37
	v_pk_mul_f16 v221, v221, v37
	v_pk_mul_f16 v212, v212, v37
	v_pk_mul_f16 v113, v113, v37
	v_pk_mul_f16 v112, v112, v37
	v_pk_mul_f16 v111, v111, v37
	v_pk_mul_f16 v110, v110, v37
	v_pk_mul_f16 v37, v208, v37
	v_cvt_f32_f16_e32 v208, v221
	v_cvt_f32_f16_sdwa v210, v221 dst_sel:DWORD dst_unused:UNUSED_PAD src0_sel:WORD_1
	v_lshl_add_u64 v[136:137], v[136:137], 0, s[42:43]
	v_lshl_add_u64 v[138:139], v[138:139], 0, s[42:43]
	;; [unrolled: 1-line block ×8, first 2 shown]
	s_waitcnt vmcnt(0) lgkmcnt(0)
	ds_write_b128 v202, v[42:45]
	flat_load_dwordx4 v[42:45], v[224:225]
	v_cvt_f32_f16_sdwa v225, v110 dst_sel:DWORD dst_unused:UNUSED_PAD src0_sel:WORD_1
	s_waitcnt vmcnt(0) lgkmcnt(0)
	ds_write_b128 v247, v[42:45]
	flat_load_dwordx4 v[42:45], v[234:235]
	s_waitcnt vmcnt(0) lgkmcnt(0)
	ds_write_b128 v245, v[42:45]
	flat_load_dwordx4 v[42:45], v[252:253]
	;; [unrolled: 3-line block ×3, first 2 shown]
	v_cvt_f32_f16_e32 v196, v123
	v_cvt_f32_f16_sdwa v123, v123 dst_sel:DWORD dst_unused:UNUSED_PAD src0_sel:WORD_1
	v_cvt_f32_f16_e32 v197, v90
	v_cvt_f32_f16_sdwa v90, v90 dst_sel:DWORD dst_unused:UNUSED_PAD src0_sel:WORD_1
	s_waitcnt vmcnt(0) lgkmcnt(0)
	ds_write_b128 v242, v[42:45]
	flat_load_dwordx4 v[42:45], v[190:191]
	v_cvt_f32_f16_e32 v190, v193
	v_cvt_f32_f16_sdwa v191, v193 dst_sel:DWORD dst_unused:UNUSED_PAD src0_sel:WORD_1
	v_cvt_f32_f16_e32 v193, v122
	v_cvt_f32_f16_sdwa v122, v122 dst_sel:DWORD dst_unused:UNUSED_PAD src0_sel:WORD_1
	s_waitcnt vmcnt(0) lgkmcnt(0)
	ds_write_b128 v241, v[42:45]
	flat_load_dwordx4 v[42:45], v[186:187]
	s_waitcnt vmcnt(0) lgkmcnt(0)
	ds_write_b128 v211, v[42:45]
	flat_load_dwordx4 v[42:45], v[188:189]
	s_waitcnt vmcnt(0) lgkmcnt(0)
	ds_write_b128 v222, v[42:45]
	s_waitcnt lgkmcnt(0)
	s_barrier
	ds_read_u16 v42, v205 offset:528
	ds_read_u16 v44, v205 offset:1056
	ds_read_u16 v186, v206
	ds_read_u16 v43, v206 offset:32
	v_cvt_f32_f16_e32 v45, v218
	v_cvt_f32_f16_e32 v218, v91
	v_cvt_f32_f16_sdwa v91, v91 dst_sel:DWORD dst_unused:UNUSED_PAD src0_sel:WORD_1
	s_waitcnt lgkmcnt(1)
	v_perm_b32 v187, v186, v44, s89
	ds_read_u16 v186, v205
	ds_read_u16 v44, v205 offset:32
	v_accvgpr_write_b32 a0, v45
	s_waitcnt lgkmcnt(1)
	v_perm_b32 v186, v42, v186, s89
	s_nop 1
	v_mfma_f32_16x16x16_f16 a[0:3], v[186:187], v[38:39], a[0:3]
	ds_read_u16 v47, v205 offset:16896
	ds_read_u16 v49, v205 offset:17424
	;; [unrolled: 1-line block ×4, first 2 shown]
	s_nop 3
	v_accvgpr_read_b32 v45, a3
	v_cvt_f16_f32_e32 v45, v45
	v_accvgpr_read_b32 v35, a0
	v_accvgpr_read_b32 v40, a1
	;; [unrolled: 1-line block ×3, first 2 shown]
	v_cvt_f16_f32_e32 v35, v35
	v_cvt_f16_f32_e32 v40, v40
	;; [unrolled: 1-line block ×3, first 2 shown]
	v_cvt_f32_f16_e32 v45, v45
	v_cvt_f32_f16_e32 v188, v35
	;; [unrolled: 1-line block ×4, first 2 shown]
	s_waitcnt lgkmcnt(0)
	v_perm_b32 v187, v186, v53, s89
	v_perm_b32 v186, v49, v47, s89
	v_accvgpr_write_b32 a3, v45
	ds_read_u16 v47, v205 offset:560
	ds_read_u16 v45, v205 offset:1088
	v_cvt_pk_f16_f32 v35, v36, v209
	v_accvgpr_write_b32 a0, v188
	v_accvgpr_write_b32 a1, v40
	;; [unrolled: 1-line block ×3, first 2 shown]
	v_cvt_f32_f16_e32 v49, v199
	v_cvt_f32_f16_sdwa v53, v199 dst_sel:DWORD dst_unused:UNUSED_PAD src0_sel:WORD_1
	v_mfma_f32_16x16x16_f16 a[0:3], v[186:187], v[34:35], a[0:3]
	v_cvt_f32_f16_e32 v186, v194
	v_cvt_f32_f16_sdwa v187, v194 dst_sel:DWORD dst_unused:UNUSED_PAD src0_sel:WORD_1
	s_waitcnt lgkmcnt(0)
	v_perm_b32 v45, v43, v45, s89
	v_perm_b32 v44, v47, v44, s89
	v_cvt_f32_f16_e32 v194, v120
	v_cvt_f32_f16_sdwa v199, v92 dst_sel:DWORD dst_unused:UNUSED_PAD src0_sel:WORD_1
	s_nop 0
	v_accvgpr_read_b32 v1, a0
	v_accvgpr_read_b32 v36, a1
	;; [unrolled: 1-line block ×4, first 2 shown]
	v_accvgpr_write_b32 a0, v49
	v_accvgpr_write_b32 a1, v53
	v_accvgpr_write_b32 a2, v186
	v_accvgpr_write_b32 a3, v187
	ds_read_u16 v49, v205 offset:16928
	ds_read_u16 v53, v205 offset:17456
	;; [unrolled: 1-line block ×4, first 2 shown]
	v_mfma_f32_16x16x16_f16 a[0:3], v[44:45], v[38:39], a[0:3]
	v_cvt_pk_f16_f32 v42, v40, v42
	s_nop 6
	v_accvgpr_read_b32 v47, a3
	v_cvt_f16_f32_e32 v47, v47
	v_accvgpr_read_b32 v43, a0
	v_accvgpr_read_b32 v44, a1
	;; [unrolled: 1-line block ×3, first 2 shown]
	v_cvt_f16_f32_e32 v43, v43
	v_cvt_f16_f32_e32 v44, v44
	;; [unrolled: 1-line block ×3, first 2 shown]
	v_cvt_f32_f16_e32 v47, v47
	v_cvt_f32_f16_e32 v43, v43
	;; [unrolled: 1-line block ×4, first 2 shown]
	s_waitcnt lgkmcnt(0)
	v_perm_b32 v45, v187, v186, s89
	v_perm_b32 v44, v53, v49, s89
	v_accvgpr_write_b32 a3, v47
	ds_read_u16 v47, v205 offset:64
	ds_read_u16 v49, v205 offset:592
	;; [unrolled: 1-line block ×4, first 2 shown]
	v_accvgpr_write_b32 a0, v43
	v_accvgpr_write_b32 a1, v188
	;; [unrolled: 1-line block ×3, first 2 shown]
	s_waitcnt lgkmcnt(2)
	v_perm_b32 v188, v49, v47, s89
	s_waitcnt lgkmcnt(0)
	v_perm_b32 v189, v187, v53, s89
	v_mfma_f32_16x16x16_f16 a[0:3], v[44:45], v[34:35], a[0:3]
	s_nop 7
	v_accvgpr_read_b32 v43, a0
	v_accvgpr_read_b32 v44, a1
	;; [unrolled: 1-line block ×4, first 2 shown]
	v_accvgpr_write_b32 a0, v190
	v_accvgpr_write_b32 a1, v191
	v_accvgpr_write_b32 a2, v193
	v_accvgpr_write_b32 a3, v122
	v_cvt_f32_f16_e32 v191, v121
	v_cvt_f32_f16_sdwa v193, v121 dst_sel:DWORD dst_unused:UNUSED_PAD src0_sel:WORD_1
	v_mfma_f32_16x16x16_f16 a[0:3], v[188:189], v[38:39], a[0:3]
	ds_read_u16 v187, v205 offset:16960
	ds_read_u16 v188, v205 offset:17488
	;; [unrolled: 1-line block ×4, first 2 shown]
	v_cvt_pk_f16_f32 v44, v43, v44
	v_cvt_pk_f16_f32 v43, v45, v186
	s_waitcnt lgkmcnt(2)
	v_perm_b32 v188, v188, v187, s89
	v_cvt_pk_f16_f32 v45, v1, v36
	v_accvgpr_read_b32 v47, a0
	v_accvgpr_read_b32 v49, a1
	;; [unrolled: 1-line block ×4, first 2 shown]
	v_cvt_f16_f32_e32 v47, v47
	v_cvt_f16_f32_e32 v49, v49
	;; [unrolled: 1-line block ×4, first 2 shown]
	v_cvt_f32_f16_e32 v47, v47
	v_cvt_f32_f16_e32 v49, v49
	;; [unrolled: 1-line block ×4, first 2 shown]
	s_waitcnt lgkmcnt(0)
	v_perm_b32 v189, v190, v189, s89
	v_accvgpr_write_b32 a0, v47
	v_accvgpr_write_b32 a1, v49
	;; [unrolled: 1-line block ×4, first 2 shown]
	ds_read_u16 v47, v205 offset:96
	ds_read_u16 v49, v205 offset:624
	;; [unrolled: 1-line block ×4, first 2 shown]
	v_mfma_f32_16x16x16_f16 a[0:3], v[188:189], v[34:35], a[0:3]
	s_waitcnt lgkmcnt(2)
	v_perm_b32 v120, v49, v47, s89
	s_waitcnt lgkmcnt(0)
	v_perm_b32 v121, v122, v53, s89
	s_nop 3
	v_accvgpr_read_b32 v187, a0
	v_accvgpr_read_b32 v188, a1
	;; [unrolled: 1-line block ×4, first 2 shown]
	v_accvgpr_write_b32 a0, v191
	v_accvgpr_write_b32 a1, v193
	;; [unrolled: 1-line block ×4, first 2 shown]
	s_nop 1
	v_mfma_f32_16x16x16_f16 a[0:3], v[120:121], v[38:39], a[0:3]
	ds_read_u16 v122, v205 offset:16992
	ds_read_u16 v191, v205 offset:17520
	;; [unrolled: 1-line block ×4, first 2 shown]
	s_waitcnt lgkmcnt(0)
	v_perm_b32 v121, v193, v121, s89
	s_nop 1
	v_accvgpr_read_b32 v47, a0
	v_accvgpr_read_b32 v49, a1
	;; [unrolled: 1-line block ×3, first 2 shown]
	v_cvt_f16_f32_e32 v47, v47
	v_cvt_f16_f32_e32 v49, v49
	;; [unrolled: 1-line block ×3, first 2 shown]
	v_accvgpr_read_b32 v120, a3
	v_cvt_f16_f32_e32 v120, v120
	v_cvt_f32_f16_e32 v47, v47
	v_cvt_f32_f16_e32 v49, v49
	;; [unrolled: 1-line block ×4, first 2 shown]
	v_perm_b32 v120, v191, v122, s89
	v_accvgpr_write_b32 a0, v47
	v_accvgpr_write_b32 a1, v49
	;; [unrolled: 1-line block ×3, first 2 shown]
	ds_read_u16 v47, v205 offset:128
	ds_read_u16 v49, v205 offset:656
	;; [unrolled: 1-line block ×4, first 2 shown]
	v_accvgpr_write_b32 a3, v194
	s_waitcnt lgkmcnt(2)
	v_perm_b32 v194, v49, v47, s89
	v_mfma_f32_16x16x16_f16 a[0:3], v[120:121], v[34:35], a[0:3]
	s_waitcnt lgkmcnt(0)
	v_perm_b32 v195, v193, v53, s89
	s_nop 5
	v_accvgpr_read_b32 v191, a0
	v_accvgpr_read_b32 v120, a1
	;; [unrolled: 1-line block ×4, first 2 shown]
	v_accvgpr_write_b32 a0, v196
	v_accvgpr_write_b32 a1, v123
	;; [unrolled: 1-line block ×4, first 2 shown]
	v_cvt_f32_f16_sdwa v196, v93 dst_sel:DWORD dst_unused:UNUSED_PAD src0_sel:WORD_1
	v_cvt_f32_f16_e32 v197, v92
	v_mfma_f32_16x16x16_f16 a[0:3], v[194:195], v[38:39], a[0:3]
	ds_read_u16 v123, v205 offset:17024
	ds_read_u16 v193, v205 offset:17552
	;; [unrolled: 1-line block ×4, first 2 shown]
	s_waitcnt lgkmcnt(0)
	v_perm_b32 v195, v195, v194, s89
	s_nop 1
	v_accvgpr_read_b32 v47, a0
	v_accvgpr_read_b32 v49, a1
	;; [unrolled: 1-line block ×3, first 2 shown]
	v_cvt_f16_f32_e32 v47, v47
	v_cvt_f16_f32_e32 v49, v49
	;; [unrolled: 1-line block ×3, first 2 shown]
	v_accvgpr_read_b32 v90, a3
	v_cvt_f16_f32_e32 v90, v90
	v_cvt_f32_f16_e32 v47, v47
	v_cvt_f32_f16_e32 v49, v49
	;; [unrolled: 1-line block ×4, first 2 shown]
	v_perm_b32 v194, v193, v123, s89
	v_accvgpr_write_b32 a0, v47
	v_accvgpr_write_b32 a1, v49
	;; [unrolled: 1-line block ×3, first 2 shown]
	ds_read_u16 v47, v205 offset:160
	ds_read_u16 v49, v205 offset:688
	;; [unrolled: 1-line block ×4, first 2 shown]
	v_accvgpr_write_b32 a3, v90
	s_waitcnt lgkmcnt(2)
	v_perm_b32 v92, v49, v47, s89
	v_mfma_f32_16x16x16_f16 a[0:3], v[194:195], v[34:35], a[0:3]
	v_cvt_f32_f16_e32 v195, v93
	s_waitcnt lgkmcnt(0)
	v_perm_b32 v93, v193, v53, s89
	s_nop 4
	v_accvgpr_read_b32 v123, a0
	v_accvgpr_read_b32 v194, a1
	;; [unrolled: 1-line block ×4, first 2 shown]
	v_accvgpr_write_b32 a0, v195
	v_accvgpr_write_b32 a1, v196
	;; [unrolled: 1-line block ×4, first 2 shown]
	v_cvt_f32_f16_e32 v199, v0
	v_cvt_f32_f16_sdwa v0, v0 dst_sel:DWORD dst_unused:UNUSED_PAD src0_sel:WORD_1
	v_mfma_f32_16x16x16_f16 a[0:3], v[92:93], v[38:39], a[0:3]
	ds_read_u16 v193, v205 offset:17056
	ds_read_u16 v195, v205 offset:17584
	ds_read_u16 v93, v205 offset:18112
	ds_read_u16 v196, v206 offset:17056
	v_cvt_pk_f16_f32 v90, v209, v90
	s_waitcnt lgkmcnt(0)
	v_perm_b32 v93, v196, v93, s89
	s_nop 0
	v_accvgpr_read_b32 v47, a0
	v_accvgpr_read_b32 v49, a1
	;; [unrolled: 1-line block ×3, first 2 shown]
	v_cvt_f16_f32_e32 v47, v47
	v_cvt_f16_f32_e32 v49, v49
	;; [unrolled: 1-line block ×3, first 2 shown]
	v_accvgpr_read_b32 v92, a3
	v_cvt_f16_f32_e32 v92, v92
	v_cvt_f32_f16_e32 v47, v47
	v_cvt_f32_f16_e32 v49, v49
	;; [unrolled: 1-line block ×4, first 2 shown]
	v_perm_b32 v92, v195, v193, s89
	v_accvgpr_write_b32 a0, v47
	v_accvgpr_write_b32 a1, v49
	;; [unrolled: 1-line block ×3, first 2 shown]
	ds_read_u16 v47, v205 offset:192
	ds_read_u16 v49, v205 offset:720
	;; [unrolled: 1-line block ×4, first 2 shown]
	v_accvgpr_write_b32 a3, v197
	v_cvt_f32_f16_e32 v195, v95
	v_cvt_f32_f16_sdwa v95, v95 dst_sel:DWORD dst_unused:UNUSED_PAD src0_sel:WORD_1
	v_mfma_f32_16x16x16_f16 a[0:3], v[92:93], v[34:35], a[0:3]
	s_waitcnt lgkmcnt(0)
	v_perm_b32 v197, v193, v53, s89
	v_perm_b32 v196, v49, v47, s89
	s_nop 4
	v_accvgpr_read_b32 v92, a0
	v_accvgpr_read_b32 v93, a1
	;; [unrolled: 1-line block ×4, first 2 shown]
	v_accvgpr_write_b32 a0, v195
	v_accvgpr_write_b32 a1, v95
	v_accvgpr_write_b32 a2, v199
	v_accvgpr_write_b32 a3, v0
	v_cvt_f32_f16_sdwa v199, v238 dst_sel:DWORD dst_unused:UNUSED_PAD src0_sel:WORD_1
	v_cvt_pk_f16_f32 v93, v92, v93
	v_mfma_f32_16x16x16_f16 a[0:3], v[196:197], v[38:39], a[0:3]
	ds_read_u16 v95, v205 offset:17088
	ds_read_u16 v193, v205 offset:17616
	;; [unrolled: 1-line block ×4, first 2 shown]
	v_cvt_pk_f16_f32 v92, v253, v235
	s_waitcnt lgkmcnt(0)
	v_perm_b32 v197, v196, v195, s89
	s_nop 0
	v_accvgpr_read_b32 v47, a1
	v_accvgpr_read_b32 v49, a2
	;; [unrolled: 1-line block ×3, first 2 shown]
	v_cvt_f16_f32_e32 v47, v47
	v_cvt_f16_f32_e32 v49, v49
	;; [unrolled: 1-line block ×3, first 2 shown]
	v_accvgpr_read_b32 v0, a0
	v_cvt_f16_f32_e32 v0, v0
	v_cvt_f32_f16_e32 v47, v47
	v_cvt_f32_f16_e32 v49, v49
	;; [unrolled: 1-line block ×4, first 2 shown]
	v_perm_b32 v196, v193, v95, s89
	v_accvgpr_write_b32 a1, v47
	v_accvgpr_write_b32 a2, v49
	;; [unrolled: 1-line block ×3, first 2 shown]
	ds_read_u16 v47, v205 offset:224
	ds_read_u16 v49, v205 offset:752
	;; [unrolled: 1-line block ×4, first 2 shown]
	v_accvgpr_write_b32 a0, v0
	v_cvt_f32_f16_e32 v195, v238
	s_nop 0
	v_mfma_f32_16x16x16_f16 a[0:3], v[196:197], v[34:35], a[0:3]
	s_waitcnt lgkmcnt(0)
	v_perm_b32 v197, v193, v53, s89
	v_perm_b32 v196, v49, v47, s89
	s_nop 4
	v_accvgpr_read_b32 v0, a0
	v_accvgpr_read_b32 v95, a1
	;; [unrolled: 1-line block ×4, first 2 shown]
	v_accvgpr_write_b32 a0, v195
	v_accvgpr_write_b32 a1, v199
	;; [unrolled: 1-line block ×4, first 2 shown]
	v_cvt_f32_f16_e32 v208, v244
	v_cvt_f32_f16_sdwa v210, v244 dst_sel:DWORD dst_unused:UNUSED_PAD src0_sel:WORD_1
	v_mfma_f32_16x16x16_f16 a[0:3], v[196:197], v[38:39], a[0:3]
	ds_read_u16 v195, v205 offset:17120
	ds_read_u16 v196, v205 offset:17648
	;; [unrolled: 1-line block ×4, first 2 shown]
	s_waitcnt lgkmcnt(2)
	v_perm_b32 v196, v196, v195, s89
	v_cvt_f32_f16_e32 v195, v212
	s_nop 0
	v_accvgpr_read_b32 v47, a0
	v_accvgpr_read_b32 v49, a1
	;; [unrolled: 1-line block ×4, first 2 shown]
	v_cvt_f16_f32_e32 v47, v47
	v_cvt_f16_f32_e32 v49, v49
	;; [unrolled: 1-line block ×4, first 2 shown]
	v_cvt_f32_f16_e32 v47, v47
	v_cvt_f32_f16_e32 v49, v49
	;; [unrolled: 1-line block ×4, first 2 shown]
	s_waitcnt lgkmcnt(0)
	v_perm_b32 v197, v199, v197, s89
	v_accvgpr_write_b32 a0, v47
	v_accvgpr_write_b32 a1, v49
	;; [unrolled: 1-line block ×4, first 2 shown]
	ds_read_u16 v47, v205 offset:256
	ds_read_u16 v49, v205 offset:784
	ds_read_u16 v53, v205 offset:1312
	ds_read_u16 v193, v206 offset:256
	v_mfma_f32_16x16x16_f16 a[0:3], v[196:197], v[34:35], a[0:3]
	v_cvt_f32_f16_sdwa v199, v212 dst_sel:DWORD dst_unused:UNUSED_PAD src0_sel:WORD_1
	s_waitcnt lgkmcnt(2)
	v_perm_b32 v196, v49, v47, s89
	s_waitcnt lgkmcnt(0)
	v_perm_b32 v197, v193, v53, s89
	s_nop 2
	v_accvgpr_read_b32 v221, a0
	v_accvgpr_read_b32 v240, a1
	;; [unrolled: 1-line block ×4, first 2 shown]
	v_accvgpr_write_b32 a0, v195
	v_accvgpr_write_b32 a1, v199
	;; [unrolled: 1-line block ×4, first 2 shown]
	v_cvt_f32_f16_sdwa v208, v236 dst_sel:DWORD dst_unused:UNUSED_PAD src0_sel:WORD_1
	s_nop 0
	v_mfma_f32_16x16x16_f16 a[0:3], v[196:197], v[38:39], a[0:3]
	ds_read_u16 v195, v205 offset:17152
	ds_read_u16 v196, v205 offset:17680
	;; [unrolled: 1-line block ×4, first 2 shown]
	s_waitcnt lgkmcnt(2)
	v_perm_b32 v196, v196, v195, s89
	s_waitcnt lgkmcnt(0)
	v_perm_b32 v197, v199, v197, s89
	v_accvgpr_read_b32 v47, a0
	v_accvgpr_read_b32 v49, a1
	;; [unrolled: 1-line block ×3, first 2 shown]
	v_cvt_f16_f32_e32 v47, v47
	v_cvt_f16_f32_e32 v49, v49
	;; [unrolled: 1-line block ×3, first 2 shown]
	v_accvgpr_read_b32 v193, a3
	v_cvt_f16_f32_e32 v193, v193
	v_cvt_f32_f16_e32 v47, v47
	v_cvt_f32_f16_e32 v49, v49
	;; [unrolled: 1-line block ×4, first 2 shown]
	v_accvgpr_write_b32 a0, v47
	v_accvgpr_write_b32 a1, v49
	;; [unrolled: 1-line block ×3, first 2 shown]
	ds_read_u16 v47, v205 offset:288
	ds_read_u16 v49, v205 offset:816
	ds_read_u16 v53, v205 offset:1344
	ds_read_u16 v195, v206 offset:288
	v_accvgpr_write_b32 a3, v193
	v_cvt_f32_f16_e32 v199, v236
	s_nop 0
	v_mfma_f32_16x16x16_f16 a[0:3], v[196:197], v[34:35], a[0:3]
	s_waitcnt lgkmcnt(0)
	v_perm_b32 v197, v195, v53, s89
	v_perm_b32 v196, v49, v47, s89
	s_nop 4
	v_accvgpr_read_b32 v212, a0
	v_accvgpr_read_b32 v244, a1
	;; [unrolled: 1-line block ×4, first 2 shown]
	v_accvgpr_write_b32 a0, v199
	v_accvgpr_write_b32 a1, v208
	;; [unrolled: 1-line block ×4, first 2 shown]
	v_cvt_f32_f16_e32 v208, v118
	v_cvt_f32_f16_sdwa v218, v118 dst_sel:DWORD dst_unused:UNUSED_PAD src0_sel:WORD_1
	v_mfma_f32_16x16x16_f16 a[0:3], v[196:197], v[38:39], a[0:3]
	ds_read_u16 v195, v205 offset:17184
	ds_read_u16 v196, v205 offset:17712
	;; [unrolled: 1-line block ×4, first 2 shown]
	v_cvt_pk_f16_f32 v212, v212, v244
	s_waitcnt lgkmcnt(2)
	v_perm_b32 v196, v196, v195, s89
	s_waitcnt lgkmcnt(0)
	v_perm_b32 v197, v199, v197, s89
	v_accvgpr_read_b32 v47, a0
	v_accvgpr_read_b32 v49, a1
	;; [unrolled: 1-line block ×3, first 2 shown]
	v_cvt_f16_f32_e32 v47, v47
	v_cvt_f16_f32_e32 v49, v49
	;; [unrolled: 1-line block ×3, first 2 shown]
	v_accvgpr_read_b32 v91, a3
	v_cvt_f16_f32_e32 v91, v91
	v_cvt_f32_f16_e32 v47, v47
	v_cvt_f32_f16_e32 v49, v49
	v_cvt_f32_f16_e32 v53, v53
	v_cvt_f32_f16_e32 v91, v91
	v_accvgpr_write_b32 a0, v47
	v_accvgpr_write_b32 a1, v49
	v_accvgpr_write_b32 a2, v53
	ds_read_u16 v47, v205 offset:320
	ds_read_u16 v49, v205 offset:848
	;; [unrolled: 1-line block ×4, first 2 shown]
	v_accvgpr_write_b32 a3, v91
	s_waitcnt lgkmcnt(2)
	v_perm_b32 v118, v49, v47, s89
	v_mfma_f32_16x16x16_f16 a[0:3], v[196:197], v[34:35], a[0:3]
	v_cvt_f32_f16_e32 v196, v119
	v_cvt_f32_f16_sdwa v197, v119 dst_sel:DWORD dst_unused:UNUSED_PAD src0_sel:WORD_1
	s_waitcnt lgkmcnt(0)
	v_perm_b32 v119, v195, v53, s89
	s_nop 3
	v_accvgpr_read_b32 v91, a0
	v_accvgpr_read_b32 v236, a1
	v_accvgpr_read_b32 v199, a2
	v_accvgpr_read_b32 v237, a3
	v_accvgpr_write_b32 a0, v196
	v_accvgpr_write_b32 a1, v197
	v_accvgpr_write_b32 a2, v208
	v_accvgpr_write_b32 a3, v218
	v_cvt_f32_f16_sdwa v218, v116 dst_sel:DWORD dst_unused:UNUSED_PAD src0_sel:WORD_1
	s_nop 0
	v_mfma_f32_16x16x16_f16 a[0:3], v[118:119], v[38:39], a[0:3]
	ds_read_u16 v195, v205 offset:17216
	ds_read_u16 v196, v205 offset:17744
	ds_read_u16 v119, v205 offset:18272
	ds_read_u16 v197, v206 offset:17216
	s_waitcnt lgkmcnt(0)
	v_perm_b32 v119, v197, v119, s89
	s_nop 1
	v_accvgpr_read_b32 v47, a0
	v_accvgpr_read_b32 v49, a1
	v_accvgpr_read_b32 v53, a2
	v_cvt_f16_f32_e32 v47, v47
	v_cvt_f16_f32_e32 v49, v49
	v_cvt_f16_f32_e32 v53, v53
	v_accvgpr_read_b32 v118, a3
	v_cvt_f16_f32_e32 v118, v118
	v_cvt_f32_f16_e32 v47, v47
	v_cvt_f32_f16_e32 v49, v49
	v_cvt_f32_f16_e32 v53, v53
	v_cvt_f32_f16_e32 v208, v118
	v_perm_b32 v118, v196, v195, s89
	v_accvgpr_write_b32 a0, v47
	v_accvgpr_write_b32 a1, v49
	v_accvgpr_write_b32 a2, v53
	ds_read_u16 v47, v205 offset:352
	ds_read_u16 v49, v205 offset:880
	ds_read_u16 v53, v205 offset:1408
	ds_read_u16 v195, v206 offset:352
	v_accvgpr_write_b32 a3, v208
	v_cvt_f32_f16_e32 v196, v117
	v_cvt_f32_f16_sdwa v197, v117 dst_sel:DWORD dst_unused:UNUSED_PAD src0_sel:WORD_1
	v_mfma_f32_16x16x16_f16 a[0:3], v[118:119], v[34:35], a[0:3]
	v_cvt_f32_f16_e32 v208, v116
	s_waitcnt lgkmcnt(0)
	v_perm_b32 v117, v195, v53, s89
	v_perm_b32 v116, v49, v47, s89
	s_nop 3
	v_accvgpr_read_b32 v118, a0
	v_accvgpr_read_b32 v119, a1
	v_accvgpr_read_b32 v229, a2
	v_accvgpr_read_b32 v231, a3
	v_accvgpr_write_b32 a0, v196
	v_accvgpr_write_b32 a1, v197
	v_accvgpr_write_b32 a2, v208
	v_accvgpr_write_b32 a3, v218
	v_cvt_f32_f16_sdwa v218, v114 dst_sel:DWORD dst_unused:UNUSED_PAD src0_sel:WORD_1
	s_nop 0
	v_mfma_f32_16x16x16_f16 a[0:3], v[116:117], v[38:39], a[0:3]
	ds_read_u16 v195, v205 offset:17248
	ds_read_u16 v196, v205 offset:17776
	ds_read_u16 v117, v205 offset:18304
	ds_read_u16 v197, v206 offset:17248
	s_waitcnt lgkmcnt(0)
	v_perm_b32 v117, v197, v117, s89
	s_nop 1
	v_accvgpr_read_b32 v47, a0
	v_accvgpr_read_b32 v49, a1
	v_accvgpr_read_b32 v53, a2
	v_cvt_f16_f32_e32 v47, v47
	v_cvt_f16_f32_e32 v49, v49
	v_cvt_f16_f32_e32 v53, v53
	v_accvgpr_read_b32 v116, a3
	v_cvt_f16_f32_e32 v116, v116
	v_cvt_f32_f16_e32 v47, v47
	v_cvt_f32_f16_e32 v49, v49
	v_cvt_f32_f16_e32 v53, v53
	v_cvt_f32_f16_e32 v208, v116
	v_perm_b32 v116, v196, v195, s89
	v_accvgpr_write_b32 a0, v47
	v_accvgpr_write_b32 a1, v49
	v_accvgpr_write_b32 a2, v53
	ds_read_u16 v47, v205 offset:384
	ds_read_u16 v49, v205 offset:912
	ds_read_u16 v53, v205 offset:1440
	ds_read_u16 v195, v206 offset:384
	v_accvgpr_write_b32 a3, v208
	v_cvt_f32_f16_e32 v196, v115
	v_cvt_f32_f16_sdwa v197, v115 dst_sel:DWORD dst_unused:UNUSED_PAD src0_sel:WORD_1
	v_mfma_f32_16x16x16_f16 a[0:3], v[116:117], v[34:35], a[0:3]
	v_cvt_f32_f16_e32 v208, v114
	s_waitcnt lgkmcnt(0)
	v_perm_b32 v115, v195, v53, s89
	;; [unrolled: 47-line block ×3, first 2 shown]
	v_perm_b32 v112, v49, v47, s89
	s_nop 3
	v_accvgpr_read_b32 v114, a0
	v_accvgpr_read_b32 v115, a1
	;; [unrolled: 1-line block ×4, first 2 shown]
	v_accvgpr_write_b32 a0, v196
	v_accvgpr_write_b32 a1, v197
	;; [unrolled: 1-line block ×4, first 2 shown]
	s_nop 1
	v_mfma_f32_16x16x16_f16 a[0:3], v[112:113], v[38:39], a[0:3]
	ds_read_u16 v195, v205 offset:17312
	ds_read_u16 v196, v205 offset:17840
	;; [unrolled: 1-line block ×4, first 2 shown]
	s_waitcnt lgkmcnt(0)
	v_perm_b32 v113, v197, v113, s89
	s_nop 1
	v_accvgpr_read_b32 v47, a0
	v_accvgpr_read_b32 v49, a1
	;; [unrolled: 1-line block ×3, first 2 shown]
	v_cvt_f16_f32_e32 v47, v47
	v_cvt_f16_f32_e32 v49, v49
	;; [unrolled: 1-line block ×3, first 2 shown]
	v_accvgpr_read_b32 v112, a3
	v_cvt_f16_f32_e32 v112, v112
	v_cvt_f32_f16_e32 v47, v47
	v_cvt_f32_f16_e32 v49, v49
	;; [unrolled: 1-line block ×4, first 2 shown]
	v_perm_b32 v112, v196, v195, s89
	v_accvgpr_write_b32 a0, v47
	v_accvgpr_write_b32 a1, v49
	v_accvgpr_write_b32 a2, v53
	ds_read_u16 v47, v205 offset:448
	ds_read_u16 v49, v205 offset:976
	;; [unrolled: 1-line block ×4, first 2 shown]
	v_accvgpr_write_b32 a3, v208
	v_cvt_f32_f16_e32 v196, v111
	v_cvt_f32_f16_sdwa v197, v111 dst_sel:DWORD dst_unused:UNUSED_PAD src0_sel:WORD_1
	v_mfma_f32_16x16x16_f16 a[0:3], v[112:113], v[34:35], a[0:3]
	v_cvt_f32_f16_e32 v208, v110
	s_waitcnt lgkmcnt(0)
	v_perm_b32 v111, v195, v53, s89
	v_perm_b32 v110, v49, v47, s89
	s_nop 3
	v_accvgpr_read_b32 v112, a0
	v_accvgpr_read_b32 v113, a1
	;; [unrolled: 1-line block ×4, first 2 shown]
	v_accvgpr_write_b32 a0, v196
	v_accvgpr_write_b32 a1, v197
	;; [unrolled: 1-line block ×4, first 2 shown]
	v_cvt_f32_f16_e32 v225, v37
	v_cvt_f32_f16_sdwa v37, v37 dst_sel:DWORD dst_unused:UNUSED_PAD src0_sel:WORD_1
	v_mfma_f32_16x16x16_f16 a[0:3], v[110:111], v[38:39], a[0:3]
	ds_read_u16 v195, v205 offset:17344
	ds_read_u16 v196, v205 offset:17872
	;; [unrolled: 1-line block ×4, first 2 shown]
	v_cvt_pk_f16_f32 v113, v112, v113
	v_cvt_pk_f16_f32 v112, v218, v224
	v_cvt_pk_f16_f32 v224, v210, v193
	s_waitcnt lgkmcnt(0)
	v_perm_b32 v111, v197, v111, s89
	v_accvgpr_read_b32 v53, a2
	v_cvt_f16_f32_e32 v53, v53
	v_accvgpr_read_b32 v47, a0
	v_accvgpr_read_b32 v49, a1
	v_accvgpr_read_b32 v110, a3
	v_cvt_f16_f32_e32 v47, v47
	v_cvt_f16_f32_e32 v49, v49
	v_cvt_f16_f32_e32 v110, v110
	v_cvt_f32_f16_e32 v53, v53
	v_cvt_f32_f16_e32 v47, v47
	;; [unrolled: 1-line block ×4, first 2 shown]
	v_perm_b32 v110, v196, v195, s89
	v_accvgpr_write_b32 a2, v53
	ds_read_u16 v53, v205 offset:480
	ds_read_u16 v195, v205 offset:1008
	;; [unrolled: 1-line block ×4, first 2 shown]
	v_accvgpr_write_b32 a0, v47
	v_accvgpr_write_b32 a1, v49
	;; [unrolled: 1-line block ×3, first 2 shown]
	v_cvt_f32_f16_e32 v208, v131
	v_cvt_f32_f16_sdwa v131, v131 dst_sel:DWORD dst_unused:UNUSED_PAD src0_sel:WORD_1
	v_mfma_f32_16x16x16_f16 a[0:3], v[110:111], v[34:35], a[0:3]
	s_waitcnt lgkmcnt(0)
	v_perm_b32 v197, v197, v196, s89
	v_perm_b32 v196, v195, v53, s89
	s_nop 4
	v_accvgpr_read_b32 v110, a0
	v_accvgpr_read_b32 v111, a1
	;; [unrolled: 1-line block ×4, first 2 shown]
	v_accvgpr_write_b32 a0, v208
	v_accvgpr_write_b32 a1, v131
	;; [unrolled: 1-line block ×4, first 2 shown]
	v_cvt_pk_f16_f32 v111, v110, v111
	v_cvt_pk_f16_f32 v110, v47, v49
	v_mfma_f32_16x16x16_f16 a[0:3], v[196:197], v[38:39], a[0:3]
	v_cvt_pk_f16_f32 v49, v114, v115
	v_cvt_pk_f16_f32 v47, v252, v226
	;; [unrolled: 1-line block ×8, first 2 shown]
	v_accvgpr_read_b32 v53, a3
	v_accvgpr_read_b32 v37, a0
	;; [unrolled: 1-line block ×4, first 2 shown]
	v_cvt_f16_f32_e32 v208, v53
	ds_read_u16 v131, v205 offset:17376
	ds_read_u16 v225, v205 offset:17904
	;; [unrolled: 1-line block ×4, first 2 shown]
	v_cvt_f16_f32_e32 v37, v37
	v_cvt_f16_f32_e32 v38, v38
	v_cvt_f16_f32_e32 v39, v39
	v_cvt_f32_f16_e32 v208, v208
	v_cvt_f32_f16_e32 v37, v37
	;; [unrolled: 1-line block ×4, first 2 shown]
	s_waitcnt lgkmcnt(0)
	v_perm_b32 v39, v195, v53, s89
	v_perm_b32 v38, v225, v131, s89
	v_accvgpr_write_b32 a0, v37
	v_accvgpr_write_b32 a1, v196
	;; [unrolled: 1-line block ×4, first 2 shown]
	v_cvt_pk_f16_f32 v91, v221, v240
	v_cvt_pk_f16_f32 v221, v239, v238
	v_mfma_f32_16x16x16_f16 a[0:3], v[38:39], v[34:35], a[0:3]
	v_cvt_pk_f16_f32 v226, v0, v95
	v_cvt_pk_f16_f32 v0, v248, v246
	;; [unrolled: 1-line block ×7, first 2 shown]
	s_nop 0
	v_accvgpr_read_b32 v34, a0
	v_accvgpr_read_b32 v35, a1
	;; [unrolled: 1-line block ×4, first 2 shown]
	v_cvt_pk_f16_f32 v225, v34, v35
	v_cvt_pk_f16_f32 v208, v37, v38
	s_barrier
	s_cbranch_vccz .LBB29_218
; %bb.216:                              ;   in Loop: Header=BB29_213 Depth=2
	v_mov_b32_e32 v53, v99
	v_mov_b32_e32 v186, v41
	v_cndmask_b32_e64 v1, 0, 1, s[44:45]
	v_cmp_ne_u32_e64 s[46:47], 1, v1
	s_andn2_b64 vcc, exec, s[44:45]
	s_cbranch_vccz .LBB29_208
	s_branch .LBB29_213
.LBB29_217:                             ;   in Loop: Header=BB29_16 Depth=1
	v_mov_b32_e32 v41, 0xfeffffff
	v_mov_b32_e32 v99, 0
	;; [unrolled: 1-line block ×35, first 2 shown]
	s_branch .LBB29_219
.LBB29_218:                             ;   in Loop: Header=BB29_16 Depth=1
	v_lshlrev_b32_e32 v34, 6, v50
	v_accvgpr_read_b32 v157, a18
	v_accvgpr_read_b32 v158, a19
	;; [unrolled: 1-line block ×9, first 2 shown]
.LBB29_219:                             ;   in Loop: Header=BB29_16 Depth=1
	v_readlane_b32 s0, v254, 4
	v_cmp_eq_u64_e32 vcc, 0, v[132:133]
	v_cmp_ne_u64_e64 s[60:61], 0, v[132:133]
	v_sub_u32_e32 v1, s0, v34
	v_readlane_b32 s1, v254, 5
	s_cbranch_vccnz .LBB29_229
; %bb.220:                              ;   in Loop: Header=BB29_16 Depth=1
	v_mov_b32_e32 v35, v51
	v_cmp_ge_i32_e32 vcc, v48, v1
	s_and_saveexec_b64 s[44:45], vcc
	s_xor_b64 s[44:45], exec, s[44:45]
	s_cbranch_execz .LBB29_222
; %bb.221:                              ;   in Loop: Header=BB29_16 Depth=1
	ds_write_b16 v227, v51 offset:33792
	ds_write_b16 v217, v51 offset:33792
                                        ; implicit-def: $vgpr98
                                        ; implicit-def: $vgpr101
                                        ; implicit-def: $vgpr102
                                        ; implicit-def: $vgpr105
.LBB29_222:                             ;   in Loop: Header=BB29_16 Depth=1
	s_or_saveexec_b64 s[44:45], s[44:45]
	v_lshlrev_b64 v[36:37], 1, v[34:35]
	v_lshl_add_u64 v[36:37], v[132:133], 0, v[36:37]
	v_lshlrev_b32_e32 v50, 1, v48
	v_lshl_add_u64 v[36:37], v[36:37], 0, v[50:51]
	v_mov_b32_e32 v35, 0
	v_mov_b32_e32 v38, 0
	s_xor_b64 exec, exec, s[44:45]
	s_cbranch_execz .LBB29_224
; %bb.223:                              ;   in Loop: Header=BB29_16 Depth=1
	v_readlane_b32 s0, v254, 10
	v_readlane_b32 s1, v254, 11
	s_nop 0
	v_mul_hi_u32 v35, s0, v98
	v_add_u32_e32 v35, v98, v35
	v_lshrrev_b32_e32 v35, s1, v35
	v_mul_lo_u32 v35, v35, s96
	v_sub_u32_e32 v35, v98, v35
	v_mad_i64_i32 v[38:39], s[46:47], v35, s12, 0
	v_lshl_add_u64 v[38:39], v[38:39], 1, v[36:37]
	global_load_ushort v35, v[38:39], off
	v_mul_hi_u32 v38, s0, v101
	v_add_u32_e32 v38, v101, v38
	v_lshrrev_b32_e32 v38, s1, v38
	v_mul_lo_u32 v38, v38, s96
	v_sub_u32_e32 v38, v101, v38
	v_mad_i64_i32 v[38:39], s[46:47], v38, s12, 0
	v_lshl_add_u64 v[38:39], v[38:39], 1, v[36:37]
	global_load_ushort v38, v[38:39], off
	s_waitcnt vmcnt(1)
	ds_write_b16 v227, v35 offset:33792
	s_waitcnt vmcnt(0)
	ds_write_b16 v217, v38 offset:33792
	v_mul_hi_u32 v35, s0, v102
	v_add_u32_e32 v35, v102, v35
	v_lshrrev_b32_e32 v35, s1, v35
	v_mul_lo_u32 v35, v35, s96
	v_sub_u32_e32 v35, v102, v35
	v_mad_i64_i32 v[38:39], s[46:47], v35, s12, 0
	v_lshl_add_u64 v[38:39], v[38:39], 1, v[36:37]
	global_load_ushort v35, v[38:39], off
	v_mul_hi_u32 v38, s0, v105
	v_add_u32_e32 v38, v105, v38
	v_lshrrev_b32_e32 v38, s1, v38
	v_mul_lo_u32 v38, v38, s96
	v_sub_u32_e32 v38, v105, v38
	v_mad_i64_i32 v[38:39], s[46:47], v38, s12, 0
	v_lshl_add_u64 v[38:39], v[38:39], 1, v[36:37]
	global_load_ushort v38, v[38:39], off
.LBB29_224:                             ;   in Loop: Header=BB29_16 Depth=1
	s_or_b64 exec, exec, s[44:45]
	s_waitcnt vmcnt(1)
	ds_write_b16 v223, v35 offset:33792
	s_waitcnt vmcnt(0)
	ds_write_b16 v215, v38 offset:33792
	s_and_saveexec_b64 s[44:45], vcc
	s_xor_b64 s[44:45], exec, s[44:45]
	s_cbranch_execz .LBB29_226
; %bb.225:                              ;   in Loop: Header=BB29_16 Depth=1
	ds_write_b16 v214, v51 offset:33792
	ds_write_b16 v213, v51 offset:33792
                                        ; implicit-def: $vgpr100
                                        ; implicit-def: $vgpr36_vgpr37
                                        ; implicit-def: $vgpr103
                                        ; implicit-def: $vgpr104
                                        ; implicit-def: $vgpr106
.LBB29_226:                             ;   in Loop: Header=BB29_16 Depth=1
	s_or_saveexec_b64 s[44:45], s[44:45]
	v_mov_b32_e32 v35, 0
	v_mov_b32_e32 v38, 0
	s_xor_b64 exec, exec, s[44:45]
	s_cbranch_execz .LBB29_228
; %bb.227:                              ;   in Loop: Header=BB29_16 Depth=1
	v_readlane_b32 s0, v254, 10
	v_readlane_b32 s1, v254, 11
	s_nop 0
	v_mul_hi_u32 v35, s0, v100
	v_add_u32_e32 v35, v100, v35
	v_lshrrev_b32_e32 v35, s1, v35
	v_mul_lo_u32 v35, v35, s96
	v_sub_u32_e32 v35, v100, v35
	v_mad_i64_i32 v[38:39], s[46:47], v35, s12, 0
	v_lshl_add_u64 v[38:39], v[38:39], 1, v[36:37]
	global_load_ushort v35, v[38:39], off
	v_mul_hi_u32 v38, s0, v103
	v_add_u32_e32 v38, v103, v38
	v_lshrrev_b32_e32 v38, s1, v38
	v_mul_lo_u32 v38, v38, s96
	v_sub_u32_e32 v38, v103, v38
	v_mad_i64_i32 v[38:39], s[46:47], v38, s12, 0
	v_lshl_add_u64 v[38:39], v[38:39], 1, v[36:37]
	global_load_ushort v38, v[38:39], off
	s_waitcnt vmcnt(1)
	ds_write_b16 v214, v35 offset:33792
	s_waitcnt vmcnt(0)
	ds_write_b16 v213, v38 offset:33792
	v_mul_hi_u32 v35, s0, v104
	v_add_u32_e32 v35, v104, v35
	v_lshrrev_b32_e32 v35, s1, v35
	v_mul_lo_u32 v35, v35, s96
	v_sub_u32_e32 v35, v104, v35
	v_mad_i64_i32 v[38:39], s[46:47], v35, s12, 0
	v_lshl_add_u64 v[38:39], v[38:39], 1, v[36:37]
	global_load_ushort v35, v[38:39], off
	v_mul_hi_u32 v38, s0, v106
	v_add_u32_e32 v38, v106, v38
	v_lshrrev_b32_e32 v38, s1, v38
	v_mul_lo_u32 v38, v38, s96
	v_sub_u32_e32 v38, v106, v38
	v_mad_i64_i32 v[38:39], s[46:47], v38, s12, 0
	v_lshl_add_u64 v[36:37], v[38:39], 1, v[36:37]
	global_load_ushort v38, v[36:37], off
.LBB29_228:                             ;   in Loop: Header=BB29_16 Depth=1
	s_or_b64 exec, exec, s[44:45]
	s_waitcnt vmcnt(1)
	ds_write_b16 v250, v35 offset:33792
	s_waitcnt vmcnt(0)
	ds_write_b16 v249, v38 offset:33792
.LBB29_229:                             ;   in Loop: Header=BB29_16 Depth=1
	v_mul_lo_u32 v35, v34, s63
	v_mul_hi_u32 v36, v34, s62
	v_add_u32_e32 v37, v36, v35
	v_mul_lo_u32 v36, v34, s62
	v_lshlrev_b64 v[36:37], 2, v[36:37]
	v_lshl_add_u64 v[100:101], v[134:135], 0, v[36:37]
	v_lshl_add_u64 v[36:37], v[56:57], 2, v[100:101]
	v_lshlrev_b32_e32 v50, 2, v52
	v_lshl_add_u64 v[36:37], v[36:37], 0, v[50:51]
	v_mov_b32_e32 v35, s41
	v_cmp_lt_i32_e64 s[44:45], v201, v1
	scratch_store_dwordx4 off, a[8:11], off
	v_lshl_add_u64 v[102:103], v[58:59], 2, v[100:101]
	v_cndmask_b32_e64 v37, v35, v37, s[44:45]
	v_cndmask_b32_e64 v36, v96, v36, s[44:45]
	flat_load_dwordx4 v[36:39], v[36:37]
	v_lshl_add_u64 v[102:103], v[102:103], 0, v[50:51]
	v_cmp_lt_i32_e64 s[46:47], v162, v1
	v_cmp_lt_i32_e64 s[48:49], v163, v1
	;; [unrolled: 1-line block ×3, first 2 shown]
	v_cndmask_b32_e64 v103, v35, v103, s[46:47]
	v_cndmask_b32_e64 v102, v96, v102, s[46:47]
	s_mov_b32 s1, s53
	v_cmp_lt_i32_e64 s[52:53], v165, v1
	v_accvgpr_read_b32 v40, a84
	v_cmp_lt_i32_e64 s[54:55], v40, v1
	v_accvgpr_read_b32 v40, a85
	s_mov_b32 s0, s56
	v_cmp_lt_i32_e64 s[56:57], v40, v1
	v_accvgpr_read_b32 v40, a86
	v_cmp_lt_i32_e64 s[58:59], v40, v1
	s_andn2_b64 vcc, exec, s[60:61]
	s_waitcnt vmcnt(0) lgkmcnt(0)
	ds_write_b128 v202, v[36:39]
	flat_load_dwordx4 v[36:39], v[102:103]
	v_lshl_add_u64 v[102:103], v[60:61], 2, v[100:101]
	v_lshl_add_u64 v[102:103], v[102:103], 0, v[50:51]
	v_cndmask_b32_e64 v103, v35, v103, s[48:49]
	v_cndmask_b32_e64 v102, v96, v102, s[48:49]
	s_waitcnt vmcnt(0) lgkmcnt(0)
	ds_write_b128 v247, v[36:39]
	flat_load_dwordx4 v[36:39], v[102:103]
	v_lshl_add_u64 v[102:103], v[62:63], 2, v[100:101]
	v_lshl_add_u64 v[102:103], v[102:103], 0, v[50:51]
	v_cndmask_b32_e64 v103, v35, v103, s[50:51]
	v_cndmask_b32_e64 v102, v96, v102, s[50:51]
	;; [unrolled: 7-line block ×5, first 2 shown]
	v_lshl_add_u64 v[100:101], v[70:71], 2, v[100:101]
	v_lshl_add_u64 v[100:101], v[100:101], 0, v[50:51]
	v_cndmask_b32_e64 v101, v35, v101, s[58:59]
	v_cndmask_b32_e64 v100, v96, v100, s[58:59]
	v_add_u32_e32 v35, 0x4000, v203
	s_waitcnt vmcnt(0) lgkmcnt(0)
	ds_write_b128 v241, v[36:39]
	flat_load_dwordx4 v[36:39], v[102:103]
	s_waitcnt vmcnt(0) lgkmcnt(0)
	ds_write_b128 v211, v[36:39]
	flat_load_dwordx4 v[36:39], v[100:101]
	s_waitcnt vmcnt(0) lgkmcnt(0)
	ds_write_b128 v222, v[36:39]
	s_waitcnt lgkmcnt(0)
	s_barrier
	ds_read2_b64 v[36:39], v203 offset1:4
	ds_read2_b64 v[100:103], v35 offset0:64 offset1:68
	s_waitcnt lgkmcnt(1)
	v_mfma_f32_16x16x16_f16 a[0:3], v[36:37], v[30:31], 0
	s_waitcnt lgkmcnt(0)
	v_mfma_f32_16x16x16_f16 a[4:7], v[100:101], v[30:31], 0
	v_mfma_f32_16x16x16_f16 a[0:3], v[38:39], v[32:33], a[0:3]
	ds_read2_b64 v[36:39], v35 offset0:72 offset1:76
	v_mfma_f32_16x16x16_f16 a[4:7], v[102:103], v[32:33], a[4:7]
	ds_read2_b64 v[30:33], v203 offset0:8 offset1:12
	s_waitcnt lgkmcnt(0)
	v_mfma_f32_16x16x16_f16 a[0:3], v[30:31], v[26:27], a[0:3]
	v_mfma_f32_16x16x16_f16 a[4:7], v[36:37], v[26:27], a[4:7]
	v_mfma_f32_16x16x16_f16 a[0:3], v[32:33], v[28:29], a[0:3]
	ds_read2_b64 v[30:33], v35 offset0:80 offset1:84
	v_mfma_f32_16x16x16_f16 a[4:7], v[38:39], v[28:29], a[4:7]
	ds_read2_b64 v[26:29], v203 offset0:16 offset1:20
	s_waitcnt lgkmcnt(0)
	v_mfma_f32_16x16x16_f16 a[0:3], v[26:27], v[22:23], a[0:3]
	;; [unrolled: 7-line block ×6, first 2 shown]
	v_mfma_f32_16x16x16_f16 a[4:7], v[14:15], v[6:7], a[4:7]
	v_mfma_f32_16x16x16_f16 a[0:3], v[12:13], v[8:9], a[0:3]
	ds_read2_b64 v[10:13], v35 offset0:120 offset1:124
	v_mfma_f32_16x16x16_f16 a[4:7], v[16:17], v[8:9], a[4:7]
	ds_read2_b64 v[6:9], v203 offset0:56 offset1:60
	s_waitcnt lgkmcnt(0)
	s_barrier
	v_mfma_f32_16x16x16_f16 a[0:3], v[6:7], v[2:3], a[0:3]
	v_mfma_f32_16x16x16_f16 a[4:7], v[10:11], v[2:3], a[4:7]
	;; [unrolled: 1-line block ×4, first 2 shown]
	s_cbranch_vccnz .LBB29_231
; %bb.230:                              ;   in Loop: Header=BB29_16 Depth=1
	v_add_u32_e32 v10, 0x8400, v228
	ds_read2_b32 v[10:11], v10 offset1:1
	s_nop 3
	v_accvgpr_read_b32 v9, a3
	v_accvgpr_read_b32 v7, a1
	;; [unrolled: 1-line block ×4, first 2 shown]
	s_waitcnt lgkmcnt(0)
	v_cvt_f32_f16_e32 v12, v10
	v_cvt_f32_f16_sdwa v13, v10 dst_sel:DWORD dst_unused:UNUSED_PAD src0_sel:WORD_1
	v_cvt_f32_f16_e32 v10, v11
	v_cvt_f32_f16_sdwa v11, v11 dst_sel:DWORD dst_unused:UNUSED_PAD src0_sel:WORD_1
	v_accvgpr_read_b32 v2, a4
	v_pk_fma_f32 v[6:7], v[130:131], v[12:13], v[6:7] op_sel_hi:[0,1,1]
	v_accvgpr_read_b32 v4, a6
	v_pk_fma_f32 v[8:9], v[130:131], v[10:11], v[8:9] op_sel_hi:[0,1,1]
	v_accvgpr_write_b32 a0, v6
	v_accvgpr_write_b32 a1, v7
	v_accvgpr_write_b32 a2, v8
	v_accvgpr_write_b32 a3, v9
	ds_read_b32 v6, v230 offset:33792
	ds_read_b32 v8, v232 offset:33792
	v_accvgpr_read_b32 v5, a7
	v_accvgpr_read_b32 v3, a5
	s_waitcnt lgkmcnt(1)
	v_cvt_f32_f16_sdwa v7, v6 dst_sel:DWORD dst_unused:UNUSED_PAD src0_sel:WORD_1
	s_waitcnt lgkmcnt(0)
	v_cvt_f32_f16_sdwa v9, v8 dst_sel:DWORD dst_unused:UNUSED_PAD src0_sel:WORD_1
	v_cvt_f32_f16_e32 v8, v8
	v_cvt_f32_f16_e32 v6, v6
	v_pk_fma_f32 v[4:5], v[130:131], v[8:9], v[4:5] op_sel_hi:[0,1,1]
	v_pk_fma_f32 v[2:3], v[130:131], v[6:7], v[2:3] op_sel_hi:[0,1,1]
	v_accvgpr_write_b32 a7, v5
	v_accvgpr_write_b32 a6, v4
	;; [unrolled: 1-line block ×4, first 2 shown]
.LBB29_231:                             ;   in Loop: Header=BB29_16 Depth=1
	s_nop 5
	v_accvgpr_read_b32 v5, a3
	v_accvgpr_read_b32 v2, a0
	v_add_f32_e32 v6, 0x40051340, v2
	v_max_f32_e32 v7, v41, v41
	v_cmp_lt_u32_e64 s[70:71], v204, v1
	v_max_f32_e32 v6, v7, v6
	v_accvgpr_read_b32 v3, a1
	v_cndmask_b32_e64 v6, v41, v6, s[70:71]
	v_accvgpr_read_b32 v7, a87
	v_cmp_lt_u32_e64 s[72:73], v7, v1
	v_add_f32_e32 v7, 0x40051340, v3
	v_max_f32_e32 v8, v6, v6
	v_max_f32_e32 v7, v8, v7
	v_accvgpr_read_b32 v4, a2
	v_cndmask_b32_e64 v6, v6, v7, s[72:73]
	v_accvgpr_read_b32 v7, a88
	v_cmp_lt_u32_e64 s[74:75], v7, v1
	v_add_f32_e32 v7, 0x40051340, v4
	v_max_f32_e32 v8, v6, v6
	v_max_f32_e32 v7, v8, v7
	v_cndmask_b32_e64 v6, v6, v7, s[74:75]
	v_accvgpr_read_b32 v7, a89
	v_cmp_lt_u32_e64 s[66:67], v7, v1
	v_add_f32_e32 v7, 0x40051340, v5
	v_max_f32_e32 v8, v6, v6
	v_accvgpr_read_b32 v13, a7
	v_max_f32_e32 v7, v8, v7
	v_accvgpr_read_b32 v10, a4
	v_cndmask_b32_e64 v6, v6, v7, s[66:67]
	v_add_f32_e32 v7, 0x40051340, v10
	v_max_f32_e32 v8, v6, v6
	v_cmp_lt_u32_e64 s[64:65], v160, v1
	v_max_f32_e32 v7, v8, v7
	v_accvgpr_read_b32 v11, a5
	v_cndmask_b32_e64 v6, v6, v7, s[64:65]
	v_accvgpr_read_b32 v7, a90
	v_cmp_lt_u32_e64 s[62:63], v7, v1
	v_add_f32_e32 v7, 0x40051340, v11
	v_max_f32_e32 v8, v6, v6
	v_max_f32_e32 v7, v8, v7
	v_accvgpr_read_b32 v12, a6
	v_cndmask_b32_e64 v6, v6, v7, s[62:63]
	v_add_f32_e32 v7, 0x40051340, v12
	v_max_f32_e32 v8, v6, v6
	v_cmp_lt_u32_e64 s[60:61], v161, v1
	v_max_f32_e32 v7, v8, v7
	v_mov_b32_e32 v18, s41
	v_cndmask_b32_e64 v6, v6, v7, s[60:61]
	v_accvgpr_read_b32 v7, a91
	v_cmp_lt_u32_e32 vcc, v7, v1
	v_add_f32_e32 v1, 0x40051340, v13
	v_max_f32_e32 v7, v6, v6
	v_max_f32_e32 v1, v7, v1
	v_cndmask_b32_e32 v1, v6, v1, vcc
	v_and_b32_e32 v6, 64, v219
	v_add_u32_e32 v6, 64, v6
	v_xor_b32_e32 v7, 32, v219
	v_cmp_lt_i32_e64 s[76:77], v7, v6
	scratch_store_dwordx4 off, a[8:11], off
	v_readlane_b32 s2, v254, 56
	v_cndmask_b32_e64 v7, v219, v7, s[76:77]
	v_lshlrev_b32_e32 v15, 2, v7
	ds_bpermute_b32 v7, v15, v1
	v_max_f32_e32 v1, v1, v1
	v_readlane_b32 s3, v254, 57
	s_waitcnt lgkmcnt(0)
	v_max_f32_e32 v7, v7, v7
	v_max_f32_e32 v1, v1, v7
	v_xor_b32_e32 v7, 16, v219
	v_cmp_lt_i32_e64 s[76:77], v7, v6
	s_nop 1
	v_cndmask_b32_e64 v6, v219, v7, s[76:77]
	v_lshlrev_b32_e32 v9, 2, v6
	ds_bpermute_b32 v6, v9, v1
	s_waitcnt lgkmcnt(0)
	v_max_f32_e32 v6, v6, v6
	v_max_f32_e32 v14, v1, v6
	v_sub_f32_e32 v1, v2, v14
	v_mul_f32_e32 v2, 0x3fb8aa3b, v1
	v_fma_f32 v6, v1, s40, -v2
	v_rndne_f32_e32 v7, v2
	v_fmac_f32_e32 v6, 0x32a5705f, v1
	v_sub_f32_e32 v2, v2, v7
	v_add_f32_e32 v2, v2, v6
	v_exp_f32_e32 v2, v2
	v_cvt_i32_f32_e32 v6, v7
	v_cmp_ngt_f32_e64 s[76:77], s97, v1
	v_ldexp_f32 v2, v2, v6
	s_nop 0
	v_cndmask_b32_e64 v2, 0, v2, s[76:77]
	v_cmp_nlt_f32_e64 s[76:77], s87, v1
	s_nop 1
	v_cndmask_b32_e64 v1, v94, v2, s[76:77]
	v_cndmask_b32_e64 v6, 0, v1, s[70:71]
	v_sub_f32_e32 v1, v3, v14
	v_mul_f32_e32 v2, 0x3fb8aa3b, v1
	v_fma_f32 v3, v1, s40, -v2
	v_rndne_f32_e32 v7, v2
	v_fmac_f32_e32 v3, 0x32a5705f, v1
	v_sub_f32_e32 v2, v2, v7
	v_add_f32_e32 v2, v2, v3
	v_exp_f32_e32 v2, v2
	v_cvt_i32_f32_e32 v3, v7
	v_cmp_ngt_f32_e64 s[70:71], s97, v1
	v_ldexp_f32 v2, v2, v3
	s_nop 0
	v_cndmask_b32_e64 v2, 0, v2, s[70:71]
	v_cmp_nlt_f32_e64 s[70:71], s87, v1
	v_mov_b32_e32 v1, s69
	s_nop 0
	v_cndmask_b32_e64 v2, v94, v2, s[70:71]
	v_add_f32_e32 v7, v2, v6
	v_cndmask_b32_e64 v3, v1, v2, s[72:73]
	v_sub_f32_e32 v2, v4, v14
	v_mul_f32_e32 v4, 0x3fb8aa3b, v2
	v_cndmask_b32_e64 v1, v6, v7, s[72:73]
	v_fma_f32 v7, v2, s40, -v4
	v_rndne_f32_e32 v8, v4
	v_fmac_f32_e32 v7, 0x32a5705f, v2
	v_sub_f32_e32 v4, v4, v8
	v_add_f32_e32 v4, v4, v7
	v_exp_f32_e32 v4, v4
	v_cvt_i32_f32_e32 v7, v8
	v_cmp_ngt_f32_e64 s[70:71], s97, v2
	v_cvt_pk_f16_f32 v6, v6, v3
	v_ldexp_f32 v4, v4, v7
	v_cndmask_b32_e64 v4, 0, v4, s[70:71]
	v_cmp_nlt_f32_e64 s[70:71], s87, v2
	v_mov_b32_e32 v2, s69
	s_nop 0
	v_cndmask_b32_e64 v4, v94, v4, s[70:71]
	v_cndmask_b32_e64 v8, v2, v4, s[74:75]
	v_sub_f32_e32 v2, v5, v14
	v_add_f32_e32 v7, v1, v4
	v_mul_f32_e32 v4, 0x3fb8aa3b, v2
	v_cndmask_b32_e64 v1, v1, v7, s[74:75]
	v_fma_f32 v5, v2, s40, -v4
	v_rndne_f32_e32 v7, v4
	v_fmac_f32_e32 v5, 0x32a5705f, v2
	v_sub_f32_e32 v4, v4, v7
	v_add_f32_e32 v4, v4, v5
	v_exp_f32_e32 v4, v4
	v_cvt_i32_f32_e32 v5, v7
	v_cmp_ngt_f32_e64 s[70:71], s97, v2
	v_ldexp_f32 v4, v4, v5
	s_nop 0
	v_cndmask_b32_e64 v4, 0, v4, s[70:71]
	v_cmp_nlt_f32_e64 s[70:71], s87, v2
	v_mov_b32_e32 v5, s69
	s_nop 0
	v_cndmask_b32_e64 v2, v94, v4, s[70:71]
	v_add_f32_e32 v4, v1, v2
	v_cndmask_b32_e64 v7, v5, v2, s[66:67]
	v_sub_f32_e32 v2, v10, v14
	v_cndmask_b32_e64 v1, v1, v4, s[66:67]
	v_mul_f32_e32 v4, 0x3fb8aa3b, v2
	v_fma_f32 v5, v2, s40, -v4
	v_rndne_f32_e32 v10, v4
	v_fmac_f32_e32 v5, 0x32a5705f, v2
	v_sub_f32_e32 v4, v4, v10
	v_add_f32_e32 v4, v4, v5
	v_exp_f32_e32 v4, v4
	v_cvt_i32_f32_e32 v5, v10
	v_cmp_ngt_f32_e64 s[66:67], s97, v2
	v_cvt_pk_f16_f32 v7, v8, v7
	v_ldexp_f32 v4, v4, v5
	v_cndmask_b32_e64 v4, 0, v4, s[66:67]
	v_cmp_nlt_f32_e64 s[66:67], s87, v2
	v_mov_b32_e32 v2, s69
	s_nop 0
	v_cndmask_b32_e64 v4, v94, v4, s[66:67]
	v_add_f32_e32 v5, v4, v1
	v_cndmask_b32_e64 v2, v2, v4, s[64:65]
	v_cndmask_b32_e64 v4, v1, v5, s[64:65]
	v_sub_f32_e32 v1, v11, v14
	v_mul_f32_e32 v5, 0x3fb8aa3b, v1
	v_fma_f32 v10, v1, s40, -v5
	v_rndne_f32_e32 v11, v5
	v_fmac_f32_e32 v10, 0x32a5705f, v1
	v_sub_f32_e32 v5, v5, v11
	v_add_f32_e32 v5, v5, v10
	v_exp_f32_e32 v5, v5
	v_cvt_i32_f32_e32 v10, v11
	v_cmp_ngt_f32_e64 s[64:65], s97, v1
	v_ldexp_f32 v5, v5, v10
	s_nop 0
	v_cndmask_b32_e64 v5, 0, v5, s[64:65]
	v_cmp_nlt_f32_e64 s[64:65], s87, v1
	v_mov_b32_e32 v1, s69
	s_nop 0
	v_cndmask_b32_e64 v5, v94, v5, s[64:65]
	v_add_f32_e32 v10, v5, v4
	v_cndmask_b32_e64 v1, v1, v5, s[62:63]
	v_cndmask_b32_e64 v5, v4, v10, s[62:63]
	v_sub_f32_e32 v4, v12, v14
	v_mul_f32_e32 v10, 0x3fb8aa3b, v4
	v_fma_f32 v11, v4, s40, -v10
	v_rndne_f32_e32 v12, v10
	v_fmac_f32_e32 v11, 0x32a5705f, v4
	v_sub_f32_e32 v10, v10, v12
	v_add_f32_e32 v10, v10, v11
	v_exp_f32_e32 v10, v10
	v_cvt_i32_f32_e32 v11, v12
	v_cmp_ngt_f32_e64 s[62:63], s97, v4
	v_cvt_pk_f16_f32 v2, v2, v1
	v_ldexp_f32 v10, v10, v11
	v_cndmask_b32_e64 v10, 0, v10, s[62:63]
	v_cmp_nlt_f32_e64 s[62:63], s87, v4
	v_mov_b32_e32 v4, s69
	s_nop 0
	v_cndmask_b32_e64 v10, v94, v10, s[62:63]
	v_add_f32_e32 v11, v10, v5
	v_cndmask_b32_e64 v4, v4, v10, s[60:61]
	v_cndmask_b32_e64 v10, v5, v11, s[60:61]
	v_sub_f32_e32 v5, v13, v14
	v_mul_f32_e32 v11, 0x3fb8aa3b, v5
	v_fma_f32 v12, v5, s40, -v11
	v_rndne_f32_e32 v13, v11
	v_fmac_f32_e32 v12, 0x32a5705f, v5
	v_sub_f32_e32 v11, v11, v13
	v_add_f32_e32 v11, v11, v12
	v_exp_f32_e32 v11, v11
	v_cvt_i32_f32_e32 v12, v13
	v_cmp_ngt_f32_e64 s[60:61], s97, v5
	v_ldexp_f32 v11, v11, v12
	s_nop 0
	v_cndmask_b32_e64 v11, 0, v11, s[60:61]
	v_cmp_nlt_f32_e64 s[60:61], s87, v5
	v_mov_b32_e32 v5, s69
	s_nop 0
	v_cndmask_b32_e64 v11, v94, v11, s[60:61]
	v_add_f32_e32 v12, v11, v10
	v_cndmask_b32_e32 v100, v5, v11, vcc
	v_sub_f32_e32 v5, v41, v14
	v_cndmask_b32_e32 v22, v10, v12, vcc
	v_mul_f32_e32 v10, 0x3fb8aa3b, v5
	v_fma_f32 v11, v5, s40, -v10
	v_rndne_f32_e32 v12, v10
	v_fmac_f32_e32 v11, 0x32a5705f, v5
	v_sub_f32_e32 v10, v10, v12
	v_add_f32_e32 v10, v10, v11
	v_exp_f32_e32 v10, v10
	v_cvt_i32_f32_e32 v11, v12
	v_cmp_ngt_f32_e32 vcc, s97, v5
	v_ldexp_f32 v10, v10, v11
	s_nop 0
	v_cndmask_b32_e32 v10, 0, v10, vcc
	v_cmp_nlt_f32_e32 vcc, s87, v5
	v_mul_hi_u32 v11, v34, s90
	s_nop 0
	v_cndmask_b32_e32 v10, v94, v10, vcc
	v_cmp_le_f32_e32 vcc, s88, v5
	s_nop 1
	v_cndmask_b32_e32 v5, 0, v10, vcc
	v_fmac_f32_e32 v22, v99, v5
	v_cvt_f16_f32_e32 v5, v5
	ds_bpermute_b32 v15, v15, v22
	v_cmp_ne_u64_e32 vcc, 0, v[126:127]
	v_mul_u32_u24_e32 v10, 0x10001, v5
	v_pk_mul_f16 v101, v45, v10
	v_pk_mul_f16 v99, v42, v10
	;; [unrolled: 1-line block ×32, first 2 shown]
	v_mul_lo_u32 v10, v34, s91
	v_add_u32_e32 v11, v11, v10
	v_mul_lo_u32 v10, v34, s90
	v_lshlrev_b64 v[10:11], 2, v[10:11]
	v_lshl_add_u64 v[12:13], v[128:129], 0, v[10:11]
	v_lshl_add_u64 v[10:11], v[72:73], 2, v[12:13]
	;; [unrolled: 1-line block ×3, first 2 shown]
	v_cndmask_b32_e64 v103, v18, v11, s[44:45]
	v_cndmask_b32_e64 v102, v96, v10, s[44:45]
	flat_load_dwordx4 v[102:105], v[102:103]
	v_lshl_add_u64 v[10:11], v[74:75], 2, v[12:13]
	v_lshl_add_u64 v[10:11], v[10:11], 0, v[50:51]
	v_cndmask_b32_e64 v107, v18, v11, s[46:47]
	v_cndmask_b32_e64 v106, v96, v10, s[46:47]
	v_lshl_add_u64 v[10:11], v[76:77], 2, v[12:13]
	v_lshl_add_u64 v[10:11], v[10:11], 0, v[50:51]
	v_cndmask_b32_e64 v109, v18, v11, s[48:49]
	v_cndmask_b32_e64 v108, v96, v10, s[48:49]
	v_lshl_add_u64 v[10:11], v[78:79], 2, v[12:13]
	v_lshl_add_u64 v[10:11], v[10:11], 0, v[50:51]
	v_cndmask_b32_e64 v111, v18, v11, s[50:51]
	v_cndmask_b32_e64 v110, v96, v10, s[50:51]
	v_lshl_add_u64 v[16:17], v[82:83], 2, v[12:13]
	v_lshl_add_u64 v[10:11], v[80:81], 2, v[12:13]
	;; [unrolled: 1-line block ×4, first 2 shown]
	v_cndmask_b32_e64 v21, v18, v17, s[54:55]
	v_cndmask_b32_e64 v20, v96, v16, s[54:55]
	v_lshl_add_u64 v[16:17], v[84:85], 2, v[12:13]
	v_lshl_add_u64 v[12:13], v[86:87], 2, v[12:13]
	v_cndmask_b32_e64 v11, v18, v11, s[52:53]
	v_cndmask_b32_e64 v10, v96, v10, s[52:53]
	v_lshl_add_u64 v[16:17], v[16:17], 0, v[50:51]
	v_lshl_add_u64 v[12:13], v[12:13], 0, v[50:51]
	v_cndmask_b32_e64 v17, v18, v17, s[56:57]
	v_cndmask_b32_e64 v19, v18, v13, s[58:59]
	v_cndmask_b32_e64 v18, v96, v12, s[58:59]
	v_cndmask_b32_e64 v16, v96, v16, s[56:57]
	v_cvt_f32_f16_sdwa v47, v41 dst_sel:DWORD dst_unused:UNUSED_PAD src0_sel:WORD_1
	v_cvt_f32_f16_e32 v49, v40
	v_cvt_f32_f16_sdwa v50, v40 dst_sel:DWORD dst_unused:UNUSED_PAD src0_sel:WORD_1
	v_cvt_f32_f16_sdwa v53, v45 dst_sel:DWORD dst_unused:UNUSED_PAD src0_sel:WORD_1
	;; [unrolled: 1-line block ×3, first 2 shown]
	v_cvt_f32_f16_e32 v113, v38
	v_cvt_f32_f16_sdwa v114, v38 dst_sel:DWORD dst_unused:UNUSED_PAD src0_sel:WORD_1
	v_cvt_f32_f16_sdwa v115, v37 dst_sel:DWORD dst_unused:UNUSED_PAD src0_sel:WORD_1
	v_cvt_f32_f16_e32 v116, v36
	v_cvt_f32_f16_sdwa v117, v36 dst_sel:DWORD dst_unused:UNUSED_PAD src0_sel:WORD_1
	v_cvt_f32_f16_e32 v118, v35
	;; [unrolled: 2-line block ×13, first 2 shown]
	v_cvt_f32_f16_sdwa v23, v23 dst_sel:DWORD dst_unused:UNUSED_PAD src0_sel:WORD_1
	s_waitcnt lgkmcnt(0)
	v_add_f32_e32 v15, v22, v15
	ds_bpermute_b32 v22, v9, v15
	s_and_b64 s[46:47], s[2:3], vcc
	s_waitcnt lgkmcnt(0)
	v_add_f32_e32 v15, v15, v22
	s_waitcnt vmcnt(0)
	ds_write_b128 v202, v[102:105]
	flat_load_dwordx4 v[102:105], v[106:107]
	s_waitcnt vmcnt(0) lgkmcnt(0)
	ds_write_b128 v247, v[102:105]
	flat_load_dwordx4 v[102:105], v[108:109]
	s_waitcnt vmcnt(0) lgkmcnt(0)
	;; [unrolled: 3-line block ×3, first 2 shown]
	ds_write_b128 v243, v[102:105]
	flat_load_dwordx4 v[10:13], v[10:11]
	v_cvt_f32_f16_e32 v102, v43
	v_cvt_f32_f16_sdwa v43, v43 dst_sel:DWORD dst_unused:UNUSED_PAD src0_sel:WORD_1
	v_cvt_f32_f16_e32 v104, v92
	v_cvt_f32_f16_sdwa v105, v92 dst_sel:DWORD dst_unused:UNUSED_PAD src0_sel:WORD_1
	s_waitcnt vmcnt(0) lgkmcnt(0)
	ds_write_b128 v242, v[10:13]
	flat_load_dwordx4 v[10:13], v[20:21]
	s_waitcnt vmcnt(0) lgkmcnt(0)
	ds_write_b128 v241, v[10:13]
	flat_load_dwordx4 v[10:13], v[16:17]
	;; [unrolled: 3-line block ×3, first 2 shown]
	v_cvt_f32_f16_e32 v18, v99
	v_cvt_f32_f16_sdwa v19, v99 dst_sel:DWORD dst_unused:UNUSED_PAD src0_sel:WORD_1
	v_cvt_f32_f16_sdwa v99, v44 dst_sel:DWORD dst_unused:UNUSED_PAD src0_sel:WORD_1
	v_accvgpr_write_b32 a2, v18
	v_accvgpr_write_b32 a3, v19
	s_waitcnt vmcnt(0) lgkmcnt(0)
	ds_write_b128 v222, v[10:13]
	s_waitcnt lgkmcnt(0)
	s_barrier
	ds_read_u16 v10, v205 offset:528
	ds_read_u16 v11, v205 offset:1056
	ds_read_u16 v17, v206
	ds_read_u16 v16, v206 offset:32
	v_cvt_f32_f16_e32 v12, v101
	v_cvt_f32_f16_sdwa v13, v101 dst_sel:DWORD dst_unused:UNUSED_PAD src0_sel:WORD_1
	s_waitcnt lgkmcnt(1)
	v_perm_b32 v11, v17, v11, s89
	ds_read_u16 v20, v205
	ds_read_u16 v17, v205 offset:32
	v_accvgpr_write_b32 a0, v12
	v_accvgpr_write_b32 a1, v13
	ds_read_u16 v12, v205 offset:16896
	ds_read_u16 v13, v205 offset:17424
	;; [unrolled: 1-line block ×4, first 2 shown]
	s_waitcnt lgkmcnt(5)
	v_perm_b32 v10, v10, v20, s89
	s_nop 1
	v_mfma_f32_16x16x16_f16 a[0:3], v[10:11], v[6:7], a[0:3]
	s_nop 7
	v_accvgpr_read_b32 v3, a0
	v_accvgpr_read_b32 v8, a1
	;; [unrolled: 1-line block ×4, first 2 shown]
	v_cvt_f16_f32_e32 v3, v3
	v_cvt_f16_f32_e32 v8, v8
	;; [unrolled: 1-line block ×4, first 2 shown]
	v_cvt_f32_f16_e32 v20, v3
	v_cvt_f32_f16_e32 v8, v8
	;; [unrolled: 1-line block ×4, first 2 shown]
	s_waitcnt lgkmcnt(0)
	v_perm_b32 v11, v19, v18, s89
	v_perm_b32 v10, v13, v12, s89
	v_cvt_pk_f16_f32 v3, v4, v100
	v_accvgpr_write_b32 a0, v20
	v_accvgpr_write_b32 a1, v8
	;; [unrolled: 1-line block ×4, first 2 shown]
	v_cvt_f32_f16_e32 v20, v98
	v_cvt_f32_f16_sdwa v21, v98 dst_sel:DWORD dst_unused:UNUSED_PAD src0_sel:WORD_1
	v_mfma_f32_16x16x16_f16 a[0:3], v[10:11], v[2:3], a[0:3]
	v_cvt_f32_f16_e32 v34, v42
	v_cvt_f32_f16_sdwa v42, v42 dst_sel:DWORD dst_unused:UNUSED_PAD src0_sel:WORD_1
	v_cvt_f32_f16_e32 v98, v44
	s_nop 4
	v_accvgpr_read_b32 v1, a2
	v_accvgpr_read_b32 v4, a3
	v_cvt_f16_f32_e32 v1, v1
	v_cvt_f16_f32_e32 v4, v4
	v_accvgpr_read_b32 v10, a0
	v_accvgpr_read_b32 v11, a1
	v_accvgpr_write_b32 a0, v20
	v_perm_b32 v1, v4, v1, s89
	ds_read_u16 v4, v205 offset:560
	ds_read_u16 v8, v205 offset:1088
	v_accvgpr_write_b32 a1, v21
	v_accvgpr_write_b32 a2, v34
	;; [unrolled: 1-line block ×3, first 2 shown]
	s_waitcnt lgkmcnt(1)
	v_perm_b32 v18, v4, v17, s89
	s_waitcnt lgkmcnt(0)
	v_perm_b32 v19, v16, v8, s89
	v_cvt_f16_f32_e32 v12, v10
	v_cvt_f16_f32_e32 v13, v11
	v_mfma_f32_16x16x16_f16 a[0:3], v[18:19], v[6:7], a[0:3]
	ds_read_u16 v18, v205 offset:16928
	ds_read_u16 v19, v205 offset:17456
	;; [unrolled: 1-line block ×4, first 2 shown]
	v_perm_b32 v12, v13, v12, s89
	s_nop 2
	v_accvgpr_read_b32 v4, a0
	v_accvgpr_read_b32 v8, a1
	;; [unrolled: 1-line block ×4, first 2 shown]
	v_cvt_f16_f32_e32 v4, v4
	v_cvt_f16_f32_e32 v8, v8
	;; [unrolled: 1-line block ×4, first 2 shown]
	v_cvt_f32_f16_e32 v4, v4
	v_cvt_f32_f16_e32 v8, v8
	;; [unrolled: 1-line block ×4, first 2 shown]
	s_waitcnt lgkmcnt(0)
	v_perm_b32 v17, v21, v20, s89
	v_perm_b32 v16, v19, v18, s89
	v_accvgpr_write_b32 a0, v4
	v_accvgpr_write_b32 a1, v8
	;; [unrolled: 1-line block ×4, first 2 shown]
	v_cvt_f32_f16_e32 v42, v41
	s_nop 0
	v_mfma_f32_16x16x16_f16 a[0:3], v[16:17], v[2:3], a[0:3]
	s_nop 7
	v_accvgpr_read_b32 v4, a2
	v_accvgpr_read_b32 v8, a3
	v_cvt_f16_f32_e32 v4, v4
	v_cvt_f16_f32_e32 v8, v8
	v_accvgpr_read_b32 v17, a0
	v_accvgpr_read_b32 v18, a1
	v_accvgpr_write_b32 a0, v42
	v_perm_b32 v8, v8, v4, s89
	ds_read_u16 v4, v205 offset:64
	ds_read_u16 v16, v205 offset:592
	;; [unrolled: 1-line block ×4, first 2 shown]
	v_accvgpr_write_b32 a1, v47
	v_accvgpr_write_b32 a2, v49
	s_waitcnt lgkmcnt(2)
	v_perm_b32 v40, v16, v4, s89
	v_accvgpr_write_b32 a3, v50
	s_waitcnt lgkmcnt(0)
	v_perm_b32 v41, v34, v21, s89
	v_cvt_f32_f16_e32 v50, v45
	v_cvt_f16_f32_e32 v19, v17
	v_mfma_f32_16x16x16_f16 a[0:3], v[40:41], v[6:7], a[0:3]
	ds_read_u16 v40, v205 offset:16960
	ds_read_u16 v42, v205 offset:17488
	;; [unrolled: 1-line block ×4, first 2 shown]
	v_cvt_f16_f32_e32 v20, v18
	s_waitcnt lgkmcnt(2)
	v_perm_b32 v40, v42, v40, s89
	s_nop 0
	v_accvgpr_read_b32 v4, a0
	v_accvgpr_read_b32 v16, a1
	;; [unrolled: 1-line block ×4, first 2 shown]
	v_cvt_f16_f32_e32 v4, v4
	v_cvt_f16_f32_e32 v16, v16
	;; [unrolled: 1-line block ×4, first 2 shown]
	v_cvt_f32_f16_e32 v4, v4
	v_cvt_f32_f16_e32 v16, v16
	;; [unrolled: 1-line block ×4, first 2 shown]
	s_waitcnt lgkmcnt(0)
	v_perm_b32 v41, v47, v41, s89
	v_accvgpr_write_b32 a0, v4
	v_accvgpr_write_b32 a1, v16
	;; [unrolled: 1-line block ×4, first 2 shown]
	v_perm_b32 v19, v20, v19, s89
	s_nop 0
	v_mfma_f32_16x16x16_f16 a[0:3], v[40:41], v[2:3], a[0:3]
	s_nop 7
	v_accvgpr_read_b32 v4, a2
	v_accvgpr_read_b32 v16, a3
	v_cvt_f16_f32_e32 v4, v4
	v_cvt_f16_f32_e32 v16, v16
	v_accvgpr_read_b32 v34, a0
	v_accvgpr_read_b32 v40, a1
	v_accvgpr_write_b32 a0, v50
	v_perm_b32 v16, v16, v4, s89
	ds_read_u16 v4, v205 offset:96
	ds_read_u16 v21, v205 offset:624
	;; [unrolled: 1-line block ×4, first 2 shown]
	v_accvgpr_write_b32 a1, v53
	v_accvgpr_write_b32 a2, v98
	s_waitcnt lgkmcnt(2)
	v_perm_b32 v44, v21, v4, s89
	v_accvgpr_write_b32 a3, v99
	s_waitcnt lgkmcnt(0)
	v_perm_b32 v45, v49, v47, s89
	ds_read_u16 v47, v205 offset:16992
	ds_read_u16 v49, v205 offset:17520
	;; [unrolled: 1-line block ×4, first 2 shown]
	v_mfma_f32_16x16x16_f16 a[0:3], v[44:45], v[6:7], a[0:3]
	v_cvt_f16_f32_e32 v41, v34
	v_cvt_f16_f32_e32 v42, v40
	v_perm_b32 v41, v42, v41, s89
	s_nop 4
	v_accvgpr_read_b32 v4, a0
	v_accvgpr_read_b32 v21, a1
	v_accvgpr_read_b32 v44, a2
	v_accvgpr_read_b32 v45, a3
	v_cvt_f16_f32_e32 v4, v4
	v_cvt_f16_f32_e32 v21, v21
	v_cvt_f16_f32_e32 v44, v44
	v_cvt_f16_f32_e32 v45, v45
	v_cvt_f32_f16_e32 v4, v4
	v_cvt_f32_f16_e32 v21, v21
	;; [unrolled: 1-line block ×4, first 2 shown]
	s_waitcnt lgkmcnt(0)
	v_perm_b32 v45, v53, v50, s89
	v_perm_b32 v44, v49, v47, s89
	v_accvgpr_write_b32 a0, v4
	v_accvgpr_write_b32 a1, v21
	;; [unrolled: 1-line block ×4, first 2 shown]
	v_cvt_f32_f16_e32 v99, v95
	v_cvt_f32_f16_sdwa v95, v95 dst_sel:DWORD dst_unused:UNUSED_PAD src0_sel:WORD_1
	v_mfma_f32_16x16x16_f16 a[0:3], v[44:45], v[2:3], a[0:3]
	s_nop 7
	v_accvgpr_read_b32 v4, a2
	v_accvgpr_read_b32 v21, a3
	v_cvt_f16_f32_e32 v4, v4
	v_cvt_f16_f32_e32 v21, v21
	v_accvgpr_read_b32 v44, a0
	v_accvgpr_read_b32 v45, a1
	v_accvgpr_write_b32 a0, v99
	v_perm_b32 v21, v21, v4, s89
	ds_read_u16 v4, v205 offset:128
	ds_read_u16 v47, v205 offset:656
	;; [unrolled: 1-line block ×4, first 2 shown]
	v_accvgpr_write_b32 a1, v95
	v_accvgpr_write_b32 a2, v102
	s_waitcnt lgkmcnt(2)
	v_perm_b32 v100, v47, v4, s89
	v_accvgpr_write_b32 a3, v43
	s_waitcnt lgkmcnt(0)
	v_perm_b32 v101, v53, v49, s89
	v_cvt_f16_f32_e32 v50, v44
	v_cvt_f16_f32_e32 v98, v45
	v_mfma_f32_16x16x16_f16 a[0:3], v[100:101], v[6:7], a[0:3]
	ds_read_u16 v53, v205 offset:17024
	ds_read_u16 v95, v205 offset:17552
	;; [unrolled: 1-line block ×4, first 2 shown]
	v_perm_b32 v50, v98, v50, s89
	s_waitcnt lgkmcnt(0)
	v_perm_b32 v101, v100, v99, s89
	s_nop 0
	v_accvgpr_read_b32 v4, a0
	v_accvgpr_read_b32 v43, a1
	;; [unrolled: 1-line block ×4, first 2 shown]
	v_cvt_f16_f32_e32 v4, v4
	v_cvt_f16_f32_e32 v43, v43
	;; [unrolled: 1-line block ×4, first 2 shown]
	v_cvt_f32_f16_e32 v4, v4
	v_cvt_f32_f16_e32 v43, v43
	;; [unrolled: 1-line block ×4, first 2 shown]
	v_perm_b32 v100, v95, v53, s89
	v_accvgpr_write_b32 a0, v4
	v_accvgpr_write_b32 a1, v43
	;; [unrolled: 1-line block ×4, first 2 shown]
	v_cvt_f32_f16_e32 v95, v93
	v_cvt_f32_f16_sdwa v99, v93 dst_sel:DWORD dst_unused:UNUSED_PAD src0_sel:WORD_1
	v_mfma_f32_16x16x16_f16 a[0:3], v[100:101], v[2:3], a[0:3]
	s_nop 7
	v_accvgpr_read_b32 v4, a2
	v_accvgpr_read_b32 v43, a3
	v_cvt_f16_f32_e32 v4, v4
	v_cvt_f16_f32_e32 v43, v43
	v_accvgpr_read_b32 v100, a0
	v_accvgpr_read_b32 v101, a1
	v_accvgpr_write_b32 a0, v95
	v_perm_b32 v43, v43, v4, s89
	ds_read_u16 v4, v205 offset:160
	ds_read_u16 v47, v205 offset:688
	;; [unrolled: 1-line block ×4, first 2 shown]
	v_accvgpr_write_b32 a1, v99
	v_accvgpr_write_b32 a2, v104
	s_waitcnt lgkmcnt(2)
	v_perm_b32 v92, v47, v4, s89
	v_accvgpr_write_b32 a3, v105
	s_waitcnt lgkmcnt(0)
	v_perm_b32 v93, v53, v49, s89
	v_cvt_f32_f16_e32 v104, v0
	v_cvt_f32_f16_sdwa v0, v0 dst_sel:DWORD dst_unused:UNUSED_PAD src0_sel:WORD_1
	v_mfma_f32_16x16x16_f16 a[0:3], v[92:93], v[6:7], a[0:3]
	ds_read_u16 v92, v205 offset:17056
	ds_read_u16 v95, v205 offset:17584
	;; [unrolled: 1-line block ×4, first 2 shown]
	v_cvt_f16_f32_e32 v102, v100
	v_cvt_f16_f32_e32 v103, v101
	s_nop 1
	v_accvgpr_read_b32 v4, a0
	v_accvgpr_read_b32 v47, a1
	;; [unrolled: 1-line block ×4, first 2 shown]
	v_cvt_f16_f32_e32 v4, v4
	v_cvt_f16_f32_e32 v47, v47
	;; [unrolled: 1-line block ×4, first 2 shown]
	v_cvt_f32_f16_e32 v4, v4
	v_cvt_f32_f16_e32 v47, v47
	;; [unrolled: 1-line block ×4, first 2 shown]
	s_waitcnt lgkmcnt(0)
	v_perm_b32 v93, v99, v93, s89
	v_perm_b32 v92, v95, v92, s89
	v_accvgpr_write_b32 a0, v4
	v_accvgpr_write_b32 a1, v47
	;; [unrolled: 1-line block ×4, first 2 shown]
	v_cvt_f32_f16_e32 v95, v90
	v_cvt_f32_f16_sdwa v90, v90 dst_sel:DWORD dst_unused:UNUSED_PAD src0_sel:WORD_1
	v_mfma_f32_16x16x16_f16 a[0:3], v[92:93], v[2:3], a[0:3]
	v_perm_b32 v102, v103, v102, s89
	s_nop 6
	v_accvgpr_read_b32 v4, a2
	v_accvgpr_read_b32 v47, a3
	v_cvt_f16_f32_e32 v4, v4
	v_cvt_f16_f32_e32 v47, v47
	v_accvgpr_read_b32 v105, a0
	v_accvgpr_read_b32 v106, a1
	v_accvgpr_write_b32 a0, v95
	v_perm_b32 v99, v47, v4, s89
	ds_read_u16 v4, v205 offset:192
	ds_read_u16 v47, v205 offset:720
	;; [unrolled: 1-line block ×4, first 2 shown]
	v_accvgpr_write_b32 a1, v90
	v_accvgpr_write_b32 a2, v104
	s_waitcnt lgkmcnt(2)
	v_perm_b32 v92, v47, v4, s89
	v_accvgpr_write_b32 a3, v0
	s_waitcnt lgkmcnt(0)
	v_perm_b32 v93, v53, v49, s89
	v_cvt_f16_f32_e32 v107, v105
	v_cvt_f16_f32_e32 v108, v106
	v_mfma_f32_16x16x16_f16 a[0:3], v[92:93], v[6:7], a[0:3]
	ds_read_u16 v53, v205 offset:17088
	ds_read_u16 v90, v205 offset:17616
	;; [unrolled: 1-line block ×4, first 2 shown]
	s_waitcnt lgkmcnt(0)
	v_perm_b32 v93, v93, v92, s89
	s_nop 1
	v_accvgpr_read_b32 v0, a0
	v_accvgpr_read_b32 v4, a1
	;; [unrolled: 1-line block ×4, first 2 shown]
	v_cvt_f16_f32_e32 v0, v0
	v_cvt_f16_f32_e32 v4, v4
	;; [unrolled: 1-line block ×4, first 2 shown]
	v_cvt_f32_f16_e32 v0, v0
	v_cvt_f32_f16_e32 v4, v4
	v_cvt_f32_f16_e32 v47, v47
	v_cvt_f32_f16_e32 v49, v49
	v_perm_b32 v92, v90, v53, s89
	v_accvgpr_write_b32 a0, v0
	v_accvgpr_write_b32 a1, v4
	;; [unrolled: 1-line block ×4, first 2 shown]
	v_cvt_f32_f16_e32 v53, v91
	v_cvt_f32_f16_sdwa v91, v91 dst_sel:DWORD dst_unused:UNUSED_PAD src0_sel:WORD_1
	v_mfma_f32_16x16x16_f16 a[0:3], v[92:93], v[2:3], a[0:3]
	v_cvt_f32_f16_e32 v92, v5
	v_cvt_f32_f16_sdwa v93, v5 dst_sel:DWORD dst_unused:UNUSED_PAD src0_sel:WORD_1
	s_nop 5
	v_accvgpr_read_b32 v0, a2
	v_accvgpr_read_b32 v4, a3
	v_cvt_f16_f32_e32 v0, v0
	v_cvt_f16_f32_e32 v4, v4
	v_accvgpr_read_b32 v109, a0
	v_accvgpr_read_b32 v110, a1
	v_accvgpr_write_b32 a0, v53
	v_perm_b32 v104, v4, v0, s89
	ds_read_u16 v0, v205 offset:224
	ds_read_u16 v4, v205 offset:752
	ds_read_u16 v47, v205 offset:1280
	ds_read_u16 v49, v206 offset:224
	v_accvgpr_write_b32 a1, v91
	v_accvgpr_write_b32 a2, v92
	s_waitcnt lgkmcnt(2)
	v_perm_b32 v4, v4, v0, s89
	v_accvgpr_write_b32 a3, v93
	s_waitcnt lgkmcnt(0)
	v_perm_b32 v5, v49, v47, s89
	ds_read_u16 v91, v205 offset:17120
	ds_read_u16 v92, v205 offset:17648
	;; [unrolled: 1-line block ×4, first 2 shown]
	v_mfma_f32_16x16x16_f16 a[0:3], v[4:5], v[6:7], a[0:3]
	v_cvt_f16_f32_e32 v90, v109
	v_cvt_f16_f32_e32 v111, v110
	v_perm_b32 v90, v111, v90, s89
	s_nop 4
	v_accvgpr_read_b32 v0, a0
	v_accvgpr_read_b32 v4, a1
	;; [unrolled: 1-line block ×4, first 2 shown]
	v_cvt_f16_f32_e32 v0, v0
	v_cvt_f16_f32_e32 v4, v4
	;; [unrolled: 1-line block ×4, first 2 shown]
	v_cvt_f32_f16_e32 v53, v0
	v_cvt_f32_f16_e32 v0, v4
	;; [unrolled: 1-line block ×4, first 2 shown]
	s_waitcnt lgkmcnt(0)
	v_perm_b32 v5, v95, v93, s89
	v_perm_b32 v4, v92, v91, s89
	v_accvgpr_write_b32 a0, v53
	v_accvgpr_write_b32 a1, v0
	;; [unrolled: 1-line block ×4, first 2 shown]
	v_cvt_f32_f16_e32 v95, v39
	s_nop 0
	v_mfma_f32_16x16x16_f16 a[0:3], v[4:5], v[2:3], a[0:3]
	s_nop 7
	v_accvgpr_read_b32 v0, a2
	v_accvgpr_read_b32 v4, a3
	v_cvt_f16_f32_e32 v0, v0
	v_cvt_f16_f32_e32 v4, v4
	v_accvgpr_read_b32 v5, a0
	v_accvgpr_read_b32 v91, a1
	v_accvgpr_write_b32 a0, v95
	v_perm_b32 v0, v4, v0, s89
	ds_read_u16 v4, v205 offset:256
	ds_read_u16 v47, v205 offset:784
	;; [unrolled: 1-line block ×4, first 2 shown]
	v_accvgpr_write_b32 a1, v112
	v_accvgpr_write_b32 a2, v113
	s_waitcnt lgkmcnt(2)
	v_perm_b32 v38, v47, v4, s89
	v_accvgpr_write_b32 a3, v114
	s_waitcnt lgkmcnt(0)
	v_perm_b32 v39, v53, v49, s89
	ds_read_u16 v49, v205 offset:17152
	ds_read_u16 v53, v205 offset:17680
	ds_read_u16 v95, v205 offset:18208
	ds_read_u16 v112, v206 offset:17152
	v_mfma_f32_16x16x16_f16 a[0:3], v[38:39], v[6:7], a[0:3]
	v_cvt_f16_f32_e32 v92, v5
	v_cvt_f16_f32_e32 v93, v91
	v_perm_b32 v92, v93, v92, s89
	s_nop 4
	v_accvgpr_read_b32 v4, a0
	v_accvgpr_read_b32 v38, a1
	;; [unrolled: 1-line block ×4, first 2 shown]
	v_cvt_f16_f32_e32 v4, v4
	v_cvt_f16_f32_e32 v38, v38
	;; [unrolled: 1-line block ×4, first 2 shown]
	v_cvt_f32_f16_e32 v4, v4
	v_cvt_f32_f16_e32 v113, v38
	;; [unrolled: 1-line block ×4, first 2 shown]
	s_waitcnt lgkmcnt(0)
	v_perm_b32 v39, v112, v95, s89
	v_perm_b32 v38, v53, v49, s89
	v_accvgpr_write_b32 a0, v4
	v_accvgpr_write_b32 a1, v113
	;; [unrolled: 1-line block ×4, first 2 shown]
	v_cvt_f32_f16_e32 v114, v37
	v_perm_b32 v93, v108, v107, s89
	v_mfma_f32_16x16x16_f16 a[0:3], v[38:39], v[2:3], a[0:3]
	s_nop 7
	v_accvgpr_read_b32 v4, a2
	v_accvgpr_read_b32 v47, a3
	v_cvt_f16_f32_e32 v4, v4
	v_cvt_f16_f32_e32 v47, v47
	v_accvgpr_read_b32 v38, a0
	v_accvgpr_read_b32 v39, a1
	v_accvgpr_write_b32 a0, v114
	v_perm_b32 v4, v47, v4, s89
	ds_read_u16 v47, v205 offset:288
	ds_read_u16 v49, v205 offset:816
	;; [unrolled: 1-line block ×4, first 2 shown]
	v_accvgpr_write_b32 a1, v115
	v_accvgpr_write_b32 a2, v116
	s_waitcnt lgkmcnt(2)
	v_perm_b32 v36, v49, v47, s89
	v_accvgpr_write_b32 a3, v117
	s_waitcnt lgkmcnt(0)
	v_perm_b32 v37, v113, v53, s89
	ds_read_u16 v53, v205 offset:17184
	ds_read_u16 v113, v205 offset:17712
	;; [unrolled: 1-line block ×4, first 2 shown]
	v_mfma_f32_16x16x16_f16 a[0:3], v[36:37], v[6:7], a[0:3]
	v_cvt_f16_f32_e32 v95, v38
	v_cvt_f16_f32_e32 v112, v39
	v_perm_b32 v95, v112, v95, s89
	s_nop 4
	v_accvgpr_read_b32 v36, a0
	v_accvgpr_read_b32 v37, a1
	;; [unrolled: 1-line block ×4, first 2 shown]
	v_cvt_f16_f32_e32 v36, v36
	v_cvt_f16_f32_e32 v37, v37
	;; [unrolled: 1-line block ×4, first 2 shown]
	v_cvt_f32_f16_e32 v116, v36
	v_cvt_f32_f16_e32 v117, v37
	;; [unrolled: 1-line block ×4, first 2 shown]
	s_waitcnt lgkmcnt(0)
	v_perm_b32 v37, v115, v114, s89
	v_perm_b32 v36, v113, v53, s89
	v_accvgpr_write_b32 a0, v116
	v_accvgpr_write_b32 a1, v117
	v_accvgpr_write_b32 a2, v47
	v_accvgpr_write_b32 a3, v49
	s_nop 1
	v_mfma_f32_16x16x16_f16 a[0:3], v[36:37], v[2:3], a[0:3]
	s_nop 7
	v_accvgpr_read_b32 v36, a2
	v_accvgpr_read_b32 v47, a3
	v_cvt_f16_f32_e32 v36, v36
	v_cvt_f16_f32_e32 v47, v47
	v_accvgpr_read_b32 v37, a0
	v_accvgpr_read_b32 v113, a1
	v_accvgpr_write_b32 a0, v118
	v_perm_b32 v36, v47, v36, s89
	ds_read_u16 v47, v205 offset:320
	ds_read_u16 v49, v205 offset:848
	;; [unrolled: 1-line block ×4, first 2 shown]
	v_accvgpr_write_b32 a1, v35
	v_accvgpr_write_b32 a2, v119
	;; [unrolled: 1-line block ×3, first 2 shown]
	v_cvt_f16_f32_e32 v114, v37
	s_waitcnt lgkmcnt(0)
	v_perm_b32 v117, v116, v53, s89
	v_perm_b32 v116, v49, v47, s89
	v_cvt_f16_f32_e32 v115, v113
	s_nop 0
	v_mfma_f32_16x16x16_f16 a[0:3], v[116:117], v[6:7], a[0:3]
	ds_read_u16 v53, v205 offset:17216
	ds_read_u16 v116, v205 offset:17744
	;; [unrolled: 1-line block ×4, first 2 shown]
	s_waitcnt lgkmcnt(2)
	v_perm_b32 v116, v116, v53, s89
	s_nop 1
	v_accvgpr_read_b32 v33, a0
	v_accvgpr_read_b32 v35, a1
	;; [unrolled: 1-line block ×4, first 2 shown]
	v_cvt_f16_f32_e32 v33, v33
	v_cvt_f16_f32_e32 v35, v35
	v_cvt_f16_f32_e32 v47, v47
	v_cvt_f16_f32_e32 v49, v49
	v_cvt_f32_f16_e32 v33, v33
	v_cvt_f32_f16_e32 v35, v35
	;; [unrolled: 1-line block ×4, first 2 shown]
	s_waitcnt lgkmcnt(0)
	v_perm_b32 v117, v118, v117, s89
	v_accvgpr_write_b32 a0, v33
	v_accvgpr_write_b32 a1, v35
	;; [unrolled: 1-line block ×4, first 2 shown]
	s_nop 1
	v_mfma_f32_16x16x16_f16 a[0:3], v[116:117], v[2:3], a[0:3]
	s_nop 7
	v_accvgpr_read_b32 v33, a2
	v_accvgpr_read_b32 v47, a3
	v_cvt_f16_f32_e32 v33, v33
	v_cvt_f16_f32_e32 v47, v47
	v_accvgpr_read_b32 v35, a0
	v_accvgpr_read_b32 v116, a1
	v_accvgpr_write_b32 a0, v122
	v_perm_b32 v33, v47, v33, s89
	ds_read_u16 v47, v205 offset:352
	ds_read_u16 v49, v205 offset:880
	;; [unrolled: 1-line block ×4, first 2 shown]
	v_accvgpr_write_b32 a1, v32
	v_accvgpr_write_b32 a2, v123
	s_waitcnt lgkmcnt(2)
	v_perm_b32 v120, v49, v47, s89
	v_accvgpr_write_b32 a3, v31
	s_waitcnt lgkmcnt(0)
	v_perm_b32 v121, v119, v53, s89
	v_cvt_f16_f32_e32 v117, v35
	v_cvt_f16_f32_e32 v118, v116
	v_mfma_f32_16x16x16_f16 a[0:3], v[120:121], v[6:7], a[0:3]
	ds_read_u16 v53, v205 offset:17248
	ds_read_u16 v119, v205 offset:17776
	;; [unrolled: 1-line block ×4, first 2 shown]
	s_waitcnt lgkmcnt(0)
	v_perm_b32 v121, v121, v120, s89
	s_nop 1
	v_accvgpr_read_b32 v31, a0
	v_accvgpr_read_b32 v32, a1
	;; [unrolled: 1-line block ×4, first 2 shown]
	v_cvt_f16_f32_e32 v31, v31
	v_cvt_f16_f32_e32 v32, v32
	;; [unrolled: 1-line block ×4, first 2 shown]
	v_cvt_f32_f16_e32 v31, v31
	v_cvt_f32_f16_e32 v32, v32
	;; [unrolled: 1-line block ×4, first 2 shown]
	v_perm_b32 v120, v119, v53, s89
	v_accvgpr_write_b32 a0, v31
	v_accvgpr_write_b32 a1, v32
	;; [unrolled: 1-line block ×4, first 2 shown]
	s_nop 1
	v_mfma_f32_16x16x16_f16 a[0:3], v[120:121], v[2:3], a[0:3]
	s_nop 7
	v_accvgpr_read_b32 v31, a2
	v_accvgpr_read_b32 v47, a3
	v_cvt_f16_f32_e32 v31, v31
	v_cvt_f16_f32_e32 v47, v47
	v_accvgpr_read_b32 v32, a0
	v_accvgpr_read_b32 v119, a1
	v_accvgpr_write_b32 a0, v128
	v_perm_b32 v31, v47, v31, s89
	ds_read_u16 v47, v205 offset:384
	ds_read_u16 v49, v205 offset:912
	;; [unrolled: 1-line block ×4, first 2 shown]
	v_accvgpr_write_b32 a1, v30
	v_accvgpr_write_b32 a2, v129
	;; [unrolled: 1-line block ×3, first 2 shown]
	v_cvt_f16_f32_e32 v120, v32
	s_waitcnt lgkmcnt(0)
	v_perm_b32 v123, v122, v53, s89
	v_perm_b32 v122, v49, v47, s89
	v_cvt_f16_f32_e32 v121, v119
	s_nop 0
	v_mfma_f32_16x16x16_f16 a[0:3], v[122:123], v[6:7], a[0:3]
	ds_read_u16 v53, v205 offset:17280
	ds_read_u16 v122, v205 offset:17808
	ds_read_u16 v123, v205 offset:18336
	ds_read_u16 v128, v206 offset:17280
	s_waitcnt lgkmcnt(2)
	v_perm_b32 v122, v122, v53, s89
	s_nop 1
	v_accvgpr_read_b32 v29, a0
	v_accvgpr_read_b32 v30, a1
	;; [unrolled: 1-line block ×4, first 2 shown]
	v_cvt_f16_f32_e32 v29, v29
	v_cvt_f16_f32_e32 v30, v30
	;; [unrolled: 1-line block ×4, first 2 shown]
	v_cvt_f32_f16_e32 v29, v29
	v_cvt_f32_f16_e32 v30, v30
	;; [unrolled: 1-line block ×4, first 2 shown]
	s_waitcnt lgkmcnt(0)
	v_perm_b32 v123, v128, v123, s89
	v_accvgpr_write_b32 a0, v29
	v_accvgpr_write_b32 a1, v30
	;; [unrolled: 1-line block ×4, first 2 shown]
	s_nop 1
	v_mfma_f32_16x16x16_f16 a[0:3], v[122:123], v[2:3], a[0:3]
	s_nop 7
	v_accvgpr_read_b32 v29, a2
	v_accvgpr_read_b32 v53, a3
	v_cvt_f16_f32_e32 v29, v29
	v_cvt_f16_f32_e32 v53, v53
	v_accvgpr_read_b32 v30, a0
	v_accvgpr_read_b32 v122, a1
	v_accvgpr_write_b32 a0, v130
	v_perm_b32 v29, v53, v29, s89
	ds_read_u16 v53, v205 offset:416
	ds_read_u16 v123, v205 offset:944
	;; [unrolled: 1-line block ×4, first 2 shown]
	v_accvgpr_write_b32 a1, v28
	v_accvgpr_write_b32 a2, v131
	;; [unrolled: 1-line block ×3, first 2 shown]
	v_cvt_f16_f32_e32 v47, v30
	s_waitcnt lgkmcnt(0)
	v_perm_b32 v129, v129, v128, s89
	v_perm_b32 v128, v123, v53, s89
	v_cvt_f16_f32_e32 v49, v122
	s_nop 0
	v_mfma_f32_16x16x16_f16 a[0:3], v[128:129], v[6:7], a[0:3]
	ds_read_u16 v128, v205 offset:17312
	ds_read_u16 v130, v205 offset:17840
	ds_read_u16 v129, v205 offset:18368
	ds_read_u16 v131, v206 offset:17312
	s_waitcnt lgkmcnt(2)
	v_perm_b32 v128, v130, v128, s89
	s_nop 1
	v_accvgpr_read_b32 v27, a0
	v_accvgpr_read_b32 v28, a1
	;; [unrolled: 1-line block ×4, first 2 shown]
	v_cvt_f16_f32_e32 v27, v27
	v_cvt_f16_f32_e32 v28, v28
	;; [unrolled: 1-line block ×4, first 2 shown]
	v_cvt_f32_f16_e32 v27, v27
	v_cvt_f32_f16_e32 v28, v28
	;; [unrolled: 1-line block ×4, first 2 shown]
	s_waitcnt lgkmcnt(0)
	v_perm_b32 v129, v131, v129, s89
	v_accvgpr_write_b32 a0, v27
	v_accvgpr_write_b32 a1, v28
	;; [unrolled: 1-line block ×4, first 2 shown]
	s_nop 1
	v_mfma_f32_16x16x16_f16 a[0:3], v[128:129], v[2:3], a[0:3]
	s_nop 7
	v_accvgpr_read_b32 v27, a2
	v_accvgpr_read_b32 v53, a3
	v_cvt_f16_f32_e32 v27, v27
	v_cvt_f16_f32_e32 v53, v53
	v_accvgpr_read_b32 v28, a0
	v_accvgpr_read_b32 v123, a1
	v_accvgpr_write_b32 a0, v133
	v_perm_b32 v27, v53, v27, s89
	ds_read_u16 v53, v205 offset:448
	ds_read_u16 v130, v205 offset:976
	;; [unrolled: 1-line block ×4, first 2 shown]
	v_accvgpr_write_b32 a1, v26
	v_accvgpr_write_b32 a2, v134
	s_waitcnt lgkmcnt(2)
	v_perm_b32 v130, v130, v53, s89
	v_accvgpr_write_b32 a3, v25
	s_waitcnt lgkmcnt(0)
	v_perm_b32 v131, v132, v131, s89
	v_cvt_f16_f32_e32 v128, v28
	v_cvt_f16_f32_e32 v129, v123
	v_mfma_f32_16x16x16_f16 a[0:3], v[130:131], v[6:7], a[0:3]
	ds_read_u16 v132, v205 offset:17344
	ds_read_u16 v133, v205 offset:17872
	;; [unrolled: 1-line block ×4, first 2 shown]
	s_waitcnt lgkmcnt(0)
	v_perm_b32 v131, v134, v131, s89
	s_nop 1
	v_accvgpr_read_b32 v25, a0
	v_accvgpr_read_b32 v26, a1
	;; [unrolled: 1-line block ×4, first 2 shown]
	v_cvt_f16_f32_e32 v25, v25
	v_cvt_f16_f32_e32 v26, v26
	;; [unrolled: 1-line block ×4, first 2 shown]
	v_cvt_f32_f16_e32 v25, v25
	v_cvt_f32_f16_e32 v26, v26
	;; [unrolled: 1-line block ×4, first 2 shown]
	v_perm_b32 v130, v133, v132, s89
	v_accvgpr_write_b32 a0, v25
	v_accvgpr_write_b32 a1, v26
	;; [unrolled: 1-line block ×4, first 2 shown]
	s_nop 1
	v_mfma_f32_16x16x16_f16 a[0:3], v[130:131], v[2:3], a[0:3]
	s_nop 7
	v_accvgpr_read_b32 v25, a2
	v_accvgpr_read_b32 v53, a3
	v_cvt_f16_f32_e32 v25, v25
	v_cvt_f16_f32_e32 v53, v53
	v_accvgpr_read_b32 v26, a0
	v_accvgpr_read_b32 v130, a1
	v_accvgpr_write_b32 a0, v136
	v_perm_b32 v25, v53, v25, s89
	ds_read_u16 v53, v205 offset:480
	ds_read_u16 v133, v205 offset:1008
	;; [unrolled: 1-line block ×4, first 2 shown]
	v_accvgpr_write_b32 a1, v24
	v_accvgpr_write_b32 a2, v137
	;; [unrolled: 1-line block ×3, first 2 shown]
	v_cvt_f16_f32_e32 v131, v26
	s_waitcnt lgkmcnt(0)
	v_perm_b32 v135, v135, v134, s89
	v_perm_b32 v134, v133, v53, s89
	v_cvt_f16_f32_e32 v132, v130
	v_perm_b32 v22, v132, v131, s89
	v_mfma_f32_16x16x16_f16 a[0:3], v[134:135], v[6:7], a[0:3]
	s_nop 7
	v_accvgpr_read_b32 v24, a3
	v_accvgpr_read_b32 v6, a0
	;; [unrolled: 1-line block ×4, first 2 shown]
	v_cvt_f16_f32_e32 v133, v24
	ds_read_u16 v24, v205 offset:17376
	ds_read_u16 v134, v205 offset:17904
	;; [unrolled: 1-line block ×4, first 2 shown]
	v_cvt_f16_f32_e32 v6, v6
	v_cvt_f16_f32_e32 v7, v7
	;; [unrolled: 1-line block ×3, first 2 shown]
	v_cvt_f32_f16_e32 v133, v133
	v_cvt_f32_f16_e32 v53, v6
	;; [unrolled: 1-line block ×4, first 2 shown]
	s_waitcnt lgkmcnt(0)
	v_perm_b32 v7, v136, v135, s89
	v_perm_b32 v6, v134, v24, s89
	v_accvgpr_write_b32 a0, v53
	v_accvgpr_write_b32 a1, v137
	;; [unrolled: 1-line block ×4, first 2 shown]
	v_perm_b32 v53, v115, v114, s89
	s_nop 0
	v_mfma_f32_16x16x16_f16 a[0:3], v[6:7], v[2:3], a[0:3]
	s_barrier
	s_nop 6
	v_accvgpr_read_b32 v2, a0
	v_accvgpr_read_b32 v3, a1
	;; [unrolled: 1-line block ×4, first 2 shown]
	v_cvt_f16_f32_e32 v7, v2
	v_cvt_f16_f32_e32 v23, v3
	;; [unrolled: 1-line block ×4, first 2 shown]
	v_perm_b32 v7, v23, v7, s89
	v_perm_b32 v23, v129, v128, s89
	;; [unrolled: 1-line block ×6, first 2 shown]
	s_and_saveexec_b64 s[44:45], s[46:47]
	s_cbranch_execz .LBB29_233
; %bb.232:                              ;   in Loop: Header=BB29_16 Depth=1
	global_load_dword v7, v[126:127], off
	v_cvt_pk_f16_f32 v12, v10, v11
	v_max_f32_e32 v10, v14, v14
	v_cvt_pk_f16_f32 v13, v17, v18
	v_cvt_pk_f16_f32 v17, v34, v40
	;; [unrolled: 1-line block ×15, first 2 shown]
	s_waitcnt vmcnt(0)
	v_max_f32_e32 v11, v7, v7
	v_max_f32_e32 v10, v10, v11
	v_sub_f32_e32 v11, v14, v10
	v_sub_f32_e32 v7, v7, v10
	v_mul_f32_e32 v14, 0x3fb8aa3b, v11
	v_mul_f32_e32 v19, 0x3fb8aa3b, v7
	v_fma_f32 v37, v11, s40, -v14
	v_rndne_f32_e32 v38, v14
	v_fma_f32 v39, v7, s40, -v19
	v_rndne_f32_e32 v40, v19
	v_fmac_f32_e32 v37, 0x32a5705f, v11
	v_sub_f32_e32 v14, v14, v38
	v_fmac_f32_e32 v39, 0x32a5705f, v7
	v_sub_f32_e32 v19, v19, v40
	v_add_f32_e32 v14, v14, v37
	v_cvt_i32_f32_e32 v38, v38
	v_add_f32_e32 v19, v19, v39
	v_exp_f32_e32 v14, v14
	v_cvt_i32_f32_e32 v40, v40
	v_exp_f32_e32 v19, v19
	v_cmp_ngt_f32_e32 vcc, s97, v11
	v_ldexp_f32 v3, v14, v38
	v_ldexp_f32 v14, v19, v40
	v_cndmask_b32_e32 v3, 0, v3, vcc
	v_cmp_ngt_f32_e32 vcc, s97, v7
	s_nop 1
	v_cndmask_b32_e32 v14, 0, v14, vcc
	v_cmp_nlt_f32_e32 vcc, s87, v11
	s_nop 1
	v_cndmask_b32_e32 v3, v94, v3, vcc
	v_cmp_le_f32_e32 vcc, s88, v11
	s_nop 1
	v_cndmask_b32_e32 v3, 0, v3, vcc
	v_cvt_f16_f32_e32 v19, v3
	v_cmp_nlt_f32_e32 vcc, s87, v7
	s_nop 1
	v_cndmask_b32_e32 v11, v94, v14, vcc
	v_fmac_f32_e32 v11, v15, v3
	v_mul_u32_u24_e32 v3, 0x10001, v19
	v_pk_mul_f16 v12, v12, v3
	v_pk_mul_f16 v1, v1, v3
	v_pk_mul_f16 v19, v13, v3
	v_pk_mul_f16 v8, v8, v3
	v_pk_mul_f16 v41, v17, v3
	v_pk_mul_f16 v16, v16, v3
	v_pk_mul_f16 v50, v18, v3
	v_pk_mul_f16 v21, v21, v3
	v_pk_mul_f16 v102, v20, v3
	v_pk_mul_f16 v43, v43, v3
	v_pk_mul_f16 v93, v22, v3
	v_pk_mul_f16 v99, v99, v3
	v_pk_mul_f16 v90, v23, v3
	v_pk_mul_f16 v104, v104, v3
	v_pk_mul_f16 v92, v5, v3
	v_pk_mul_f16 v0, v0, v3
	v_pk_mul_f16 v95, v24, v3
	v_pk_mul_f16 v4, v4, v3
	v_pk_mul_f16 v53, v34, v3
	v_pk_mul_f16 v36, v36, v3
	v_pk_mul_f16 v49, v35, v3
	v_pk_mul_f16 v33, v33, v3
	v_pk_mul_f16 v47, v32, v3
	v_pk_mul_f16 v31, v31, v3
	v_pk_mul_f16 v24, v30, v3
	v_pk_mul_f16 v29, v29, v3
	v_pk_mul_f16 v23, v28, v3
	v_pk_mul_f16 v27, v27, v3
	v_pk_mul_f16 v22, v26, v3
	v_pk_mul_f16 v25, v25, v3
	v_pk_mul_f16 v7, v2, v3
	v_pk_mul_f16 v6, v6, v3
	v_mov_b64_e32 v[14:15], v[10:11]
.LBB29_233:                             ;   in Loop: Header=BB29_16 Depth=1
	s_or_b64 exec, exec, s[44:45]
	s_mov_b64 s[44:45], exec
	v_readlane_b32 s4, v255, 6
	v_readlane_b32 s5, v255, 7
	s_and_b64 s[46:47], s[44:45], s[4:5]
	s_mov_b32 s56, s0
	s_mov_b64 s[54:55], 0x80
	s_mov_b32 s53, s1
	v_accvgpr_read_b32 v224, a15
	v_accvgpr_read_b32 v225, a16
	;; [unrolled: 1-line block ×3, first 2 shown]
	s_mov_b64 exec, s[46:47]
; %bb.234:                              ;   in Loop: Header=BB29_16 Depth=1
	v_accvgpr_read_b32 v2, a43
	v_add_u32_e32 v2, 0, v2
	ds_write2_b32 v2, v14, v15 offset0:128 offset1:129
; %bb.235:                              ;   in Loop: Header=BB29_16 Depth=1
	s_or_b64 exec, exec, s[44:45]
	v_readlane_b32 s0, v254, 58
	v_readlane_b32 s1, v254, 59
	s_waitcnt lgkmcnt(0)
	s_barrier
	s_and_saveexec_b64 s[44:45], s[0:1]
	v_readlane_b32 s62, v255, 12
	s_xor_b64 s[44:45], exec, s[44:45]
	v_readlane_b32 s63, v255, 13
	s_cbranch_execz .LBB29_237
; %bb.236:                              ;   in Loop: Header=BB29_16 Depth=1
	s_barrier
                                        ; implicit-def: $vgpr9
.LBB29_237:                             ;   in Loop: Header=BB29_16 Depth=1
	s_andn2_saveexec_b64 s[44:45], s[44:45]
	s_cbranch_execz .LBB29_241
; %bb.238:                              ;   in Loop: Header=BB29_16 Depth=1
	v_accvgpr_read_b32 v2, a44
	v_add_u32_e32 v5, 0, v2
	ds_read_b64 v[2:3], v5 offset:512
	v_readlane_b32 s0, v255, 8
	v_readlane_b32 s1, v255, 9
	s_waitcnt lgkmcnt(0)
	s_barrier
	ds_bpermute_b32 v10, v9, v2
	v_max_f32_e32 v11, v2, v2
	s_waitcnt lgkmcnt(0)
	v_max_f32_e32 v10, v10, v10
	v_max_f32_e32 v10, v11, v10
	v_sub_f32_e32 v2, v2, v10
	v_mul_f32_e32 v10, 0x3fb8aa3b, v2
	v_fma_f32 v11, v2, s40, -v10
	v_rndne_f32_e32 v13, v10
	v_fmac_f32_e32 v11, 0x32a5705f, v2
	v_sub_f32_e32 v10, v10, v13
	v_add_f32_e32 v10, v10, v11
	v_cvt_i32_f32_e32 v13, v13
	v_exp_f32_e32 v10, v10
	v_cmp_ngt_f32_e32 vcc, s97, v2
	v_ldexp_f32 v10, v10, v13
	s_nop 0
	v_cndmask_b32_e32 v10, 0, v10, vcc
	v_cmp_nlt_f32_e32 vcc, s87, v2
	s_nop 1
	v_cndmask_b32_e32 v2, v94, v10, vcc
	v_mul_f32_e32 v3, v3, v2
	ds_bpermute_b32 v9, v9, v3
	s_and_saveexec_b64 s[46:47], s[0:1]
	s_cbranch_execz .LBB29_240
; %bb.239:                              ;   in Loop: Header=BB29_16 Depth=1
	s_waitcnt lgkmcnt(0)
	v_add_f32_e32 v3, v3, v9
	ds_write_b64 v5, v[2:3] offset:512
.LBB29_240:                             ;   in Loop: Header=BB29_16 Depth=1
	s_or_b64 exec, exec, s[46:47]
.LBB29_241:                             ;   in Loop: Header=BB29_16 Depth=1
	s_or_b64 exec, exec, s[44:45]
	ds_write2_b32 v207, v12, v1 offset1:1
	ds_write2_b32 v207, v19, v8 offset0:8 offset1:9
	ds_write2_b32 v207, v41, v16 offset0:16 offset1:17
	;; [unrolled: 1-line block ×15, first 2 shown]
	s_waitcnt lgkmcnt(0)
	s_barrier
	s_and_saveexec_b64 s[44:45], s[2:3]
	s_cbranch_execz .LBB29_14
; %bb.242:                              ;   in Loop: Header=BB29_16 Depth=1
	v_accvgpr_read_b32 v0, a22
	v_add_u32_e32 v0, v0, v97
	v_cmp_gt_i32_e32 vcc, s96, v0
	v_mov_b32_e32 v1, 0x47
	s_and_saveexec_b64 s[46:47], vcc
	s_cbranch_execz .LBB29_244
; %bb.243:                              ;   in Loop: Header=BB29_16 Depth=1
	v_accvgpr_read_b32 v1, a45
	ds_read2_b32 v[2:3], v1 offset0:128 offset1:129
	ds_read_b32 v4, v1 offset:8960
	v_accvgpr_read_b32 v1, a61
	ds_read2st64_b32 v[6:7], v1 offset1:1
	ds_read2st64_b32 v[8:9], v1 offset0:33 offset1:34
	v_readlane_b32 s0, v255, 0
	s_waitcnt lgkmcnt(1)
	v_cvt_f32_f16_sdwa v11, v6 dst_sel:DWORD dst_unused:UNUSED_PAD src0_sel:WORD_1
	v_cvt_f32_f16_e32 v10, v6
	s_waitcnt lgkmcnt(0)
	v_cvt_f32_f16_sdwa v13, v8 dst_sel:DWORD dst_unused:UNUSED_PAD src0_sel:WORD_1
	v_cvt_f32_f16_e32 v12, v8
	v_mad_u64_u32 v[0:1], s[48:49], s0, v0, v[48:49]
	v_pk_fma_f32 v[10:11], v[2:3], v[10:11], 0 op_sel_hi:[0,1,0]
	v_pk_fma_f32 v[10:11], v[4:5], v[12:13], v[10:11] op_sel_hi:[0,1,1]
	v_div_scale_f32 v5, s[48:49], v3, v3, v11
	v_rcp_f32_e32 v6, v5
	v_ashrrev_i32_e32 v1, 31, v0
	v_lshl_add_u64 v[0:1], v[0:1], 3, v[124:125]
	v_fma_f32 v8, -v5, v6, 1.0
	v_fmac_f32_e32 v6, v8, v6
	v_div_scale_f32 v8, vcc, v11, v3, v11
	v_mul_f32_e32 v12, v8, v6
	v_fma_f32 v13, -v5, v12, v8
	v_fmac_f32_e32 v12, v13, v6
	v_fma_f32 v5, -v5, v12, v8
	v_div_fmas_f32 v5, v5, v6, v12
	v_div_fixup_f32 v11, v5, v3, v11
	v_div_scale_f32 v5, s[48:49], v3, v3, v10
	v_rcp_f32_e32 v6, v5
	s_nop 0
	v_fma_f32 v8, -v5, v6, 1.0
	v_fmac_f32_e32 v6, v8, v6
	v_div_scale_f32 v8, vcc, v10, v3, v10
	v_mul_f32_e32 v12, v8, v6
	v_fma_f32 v13, -v5, v12, v8
	v_fmac_f32_e32 v12, v13, v6
	v_fma_f32 v5, -v5, v12, v8
	v_div_fmas_f32 v5, v5, v6, v12
	v_div_fixup_f32 v10, v5, v3, v10
	global_store_dwordx2 v[0:1], v[10:11], off
	v_cvt_f32_f16_sdwa v11, v7 dst_sel:DWORD dst_unused:UNUSED_PAD src0_sel:WORD_1
	v_cvt_f32_f16_e32 v10, v7
	v_pk_fma_f32 v[6:7], v[2:3], v[10:11], 0 op_sel_hi:[0,1,0]
	v_cvt_f32_f16_sdwa v11, v9 dst_sel:DWORD dst_unused:UNUSED_PAD src0_sel:WORD_1
	v_cvt_f32_f16_e32 v10, v9
	v_pk_fma_f32 v[4:5], v[4:5], v[10:11], v[6:7] op_sel_hi:[0,1,1]
	v_div_scale_f32 v2, s[48:49], v3, v3, v5
	v_rcp_f32_e32 v6, v2
	s_nop 0
	v_fma_f32 v7, -v2, v6, 1.0
	v_fmac_f32_e32 v6, v7, v6
	v_div_scale_f32 v7, vcc, v5, v3, v5
	v_mul_f32_e32 v8, v7, v6
	v_fma_f32 v9, -v2, v8, v7
	v_fmac_f32_e32 v8, v9, v6
	v_fma_f32 v2, -v2, v8, v7
	v_div_fmas_f32 v2, v2, v6, v8
	v_div_fixup_f32 v5, v2, v3, v5
	v_div_scale_f32 v2, s[48:49], v3, v3, v4
	v_rcp_f32_e32 v6, v2
	s_nop 0
	v_fma_f32 v7, -v2, v6, 1.0
	v_fmac_f32_e32 v6, v7, v6
	v_div_scale_f32 v7, vcc, v4, v3, v4
	v_mul_f32_e32 v8, v7, v6
	v_fma_f32 v9, -v2, v8, v7
	v_fmac_f32_e32 v8, v9, v6
	v_fma_f32 v2, -v2, v8, v7
	v_div_fmas_f32 v2, v2, v6, v8
	v_div_fixup_f32 v4, v2, v3, v4
	global_store_dwordx2 v[0:1], v[4:5], off offset:512
	v_mov_b32_e32 v1, 0
.LBB29_244:                             ;   in Loop: Header=BB29_16 Depth=1
	s_or_b64 exec, exec, s[46:47]
	s_movk_i32 s0, 0x47
	v_cmp_gt_i32_e32 vcc, s0, v1
	s_mov_b64 s[46:47], -1
	s_and_saveexec_b64 s[48:49], vcc
; %bb.245:                              ;   in Loop: Header=BB29_16 Depth=1
	v_cmp_eq_u32_e32 vcc, 0, v1
	s_orn2_b64 s[46:47], vcc, exec
; %bb.246:                              ;   in Loop: Header=BB29_16 Depth=1
	s_or_b64 exec, exec, s[48:49]
	s_and_b64 exec, exec, s[46:47]
	s_cbranch_execz .LBB29_14
; %bb.247:                              ;   in Loop: Header=BB29_16 Depth=1
	v_accvgpr_read_b32 v0, a23
	v_add_u32_e32 v0, v0, v97
	v_cmp_gt_i32_e32 vcc, s96, v0
	v_mov_b32_e32 v1, 0x47
	s_and_saveexec_b64 s[46:47], vcc
	s_cbranch_execz .LBB29_249
; %bb.248:                              ;   in Loop: Header=BB29_16 Depth=1
	v_accvgpr_read_b32 v1, a46
	ds_read2_b32 v[2:3], v1 offset0:128 offset1:129
	ds_read_b32 v4, v1 offset:8960
	v_accvgpr_read_b32 v1, a62
	ds_read2st64_b32 v[6:7], v1 offset1:1
	ds_read2st64_b32 v[8:9], v1 offset0:33 offset1:34
	v_readlane_b32 s0, v255, 0
	s_waitcnt lgkmcnt(1)
	v_cvt_f32_f16_sdwa v11, v6 dst_sel:DWORD dst_unused:UNUSED_PAD src0_sel:WORD_1
	v_cvt_f32_f16_e32 v10, v6
	s_waitcnt lgkmcnt(0)
	v_cvt_f32_f16_sdwa v13, v8 dst_sel:DWORD dst_unused:UNUSED_PAD src0_sel:WORD_1
	v_cvt_f32_f16_e32 v12, v8
	v_mad_u64_u32 v[0:1], s[48:49], s0, v0, v[48:49]
	v_pk_fma_f32 v[10:11], v[2:3], v[10:11], 0 op_sel_hi:[0,1,0]
	v_pk_fma_f32 v[10:11], v[4:5], v[12:13], v[10:11] op_sel_hi:[0,1,1]
	v_div_scale_f32 v5, s[48:49], v3, v3, v11
	v_rcp_f32_e32 v6, v5
	v_ashrrev_i32_e32 v1, 31, v0
	v_lshl_add_u64 v[0:1], v[0:1], 3, v[124:125]
	v_fma_f32 v8, -v5, v6, 1.0
	v_fmac_f32_e32 v6, v8, v6
	v_div_scale_f32 v8, vcc, v11, v3, v11
	v_mul_f32_e32 v12, v8, v6
	v_fma_f32 v13, -v5, v12, v8
	v_fmac_f32_e32 v12, v13, v6
	v_fma_f32 v5, -v5, v12, v8
	v_div_fmas_f32 v5, v5, v6, v12
	v_div_fixup_f32 v11, v5, v3, v11
	v_div_scale_f32 v5, s[48:49], v3, v3, v10
	v_rcp_f32_e32 v6, v5
	s_nop 0
	v_fma_f32 v8, -v5, v6, 1.0
	v_fmac_f32_e32 v6, v8, v6
	v_div_scale_f32 v8, vcc, v10, v3, v10
	v_mul_f32_e32 v12, v8, v6
	v_fma_f32 v13, -v5, v12, v8
	v_fmac_f32_e32 v12, v13, v6
	v_fma_f32 v5, -v5, v12, v8
	v_div_fmas_f32 v5, v5, v6, v12
	v_div_fixup_f32 v10, v5, v3, v10
	global_store_dwordx2 v[0:1], v[10:11], off
	v_cvt_f32_f16_sdwa v11, v7 dst_sel:DWORD dst_unused:UNUSED_PAD src0_sel:WORD_1
	v_cvt_f32_f16_e32 v10, v7
	v_pk_fma_f32 v[6:7], v[2:3], v[10:11], 0 op_sel_hi:[0,1,0]
	v_cvt_f32_f16_sdwa v11, v9 dst_sel:DWORD dst_unused:UNUSED_PAD src0_sel:WORD_1
	v_cvt_f32_f16_e32 v10, v9
	v_pk_fma_f32 v[4:5], v[4:5], v[10:11], v[6:7] op_sel_hi:[0,1,1]
	v_div_scale_f32 v2, s[48:49], v3, v3, v5
	v_rcp_f32_e32 v6, v2
	s_nop 0
	v_fma_f32 v7, -v2, v6, 1.0
	v_fmac_f32_e32 v6, v7, v6
	v_div_scale_f32 v7, vcc, v5, v3, v5
	v_mul_f32_e32 v8, v7, v6
	v_fma_f32 v9, -v2, v8, v7
	v_fmac_f32_e32 v8, v9, v6
	v_fma_f32 v2, -v2, v8, v7
	v_div_fmas_f32 v2, v2, v6, v8
	v_div_fixup_f32 v5, v2, v3, v5
	v_div_scale_f32 v2, s[48:49], v3, v3, v4
	v_rcp_f32_e32 v6, v2
	s_nop 0
	v_fma_f32 v7, -v2, v6, 1.0
	v_fmac_f32_e32 v6, v7, v6
	v_div_scale_f32 v7, vcc, v4, v3, v4
	v_mul_f32_e32 v8, v7, v6
	v_fma_f32 v9, -v2, v8, v7
	v_fmac_f32_e32 v8, v9, v6
	v_fma_f32 v2, -v2, v8, v7
	v_div_fmas_f32 v2, v2, v6, v8
	v_div_fixup_f32 v4, v2, v3, v4
	global_store_dwordx2 v[0:1], v[4:5], off offset:512
	v_mov_b32_e32 v1, 0
.LBB29_249:                             ;   in Loop: Header=BB29_16 Depth=1
	s_or_b64 exec, exec, s[46:47]
	s_movk_i32 s0, 0x47
	v_cmp_gt_i32_e32 vcc, s0, v1
	s_mov_b64 s[46:47], -1
	s_and_saveexec_b64 s[48:49], vcc
; %bb.250:                              ;   in Loop: Header=BB29_16 Depth=1
	v_cmp_eq_u32_e32 vcc, 0, v1
	s_orn2_b64 s[46:47], vcc, exec
; %bb.251:                              ;   in Loop: Header=BB29_16 Depth=1
	s_or_b64 exec, exec, s[48:49]
	s_and_b64 exec, exec, s[46:47]
	s_cbranch_execz .LBB29_14
; %bb.252:                              ;   in Loop: Header=BB29_16 Depth=1
	v_accvgpr_read_b32 v0, a24
	v_add_u32_e32 v0, v0, v97
	v_cmp_gt_i32_e32 vcc, s96, v0
	v_mov_b32_e32 v1, 0x47
	s_and_saveexec_b64 s[46:47], vcc
	s_cbranch_execz .LBB29_254
; %bb.253:                              ;   in Loop: Header=BB29_16 Depth=1
	v_accvgpr_read_b32 v1, a47
	ds_read2_b32 v[2:3], v1 offset0:128 offset1:129
	ds_read_b32 v4, v1 offset:8960
	v_accvgpr_read_b32 v1, a63
	ds_read2st64_b32 v[6:7], v1 offset1:1
	ds_read2st64_b32 v[8:9], v1 offset0:33 offset1:34
	v_readlane_b32 s0, v255, 0
	s_waitcnt lgkmcnt(1)
	v_cvt_f32_f16_sdwa v11, v6 dst_sel:DWORD dst_unused:UNUSED_PAD src0_sel:WORD_1
	v_cvt_f32_f16_e32 v10, v6
	s_waitcnt lgkmcnt(0)
	v_cvt_f32_f16_sdwa v13, v8 dst_sel:DWORD dst_unused:UNUSED_PAD src0_sel:WORD_1
	v_cvt_f32_f16_e32 v12, v8
	v_mad_u64_u32 v[0:1], s[48:49], s0, v0, v[48:49]
	v_pk_fma_f32 v[10:11], v[2:3], v[10:11], 0 op_sel_hi:[0,1,0]
	v_pk_fma_f32 v[10:11], v[4:5], v[12:13], v[10:11] op_sel_hi:[0,1,1]
	v_div_scale_f32 v5, s[48:49], v3, v3, v11
	v_rcp_f32_e32 v6, v5
	v_ashrrev_i32_e32 v1, 31, v0
	v_lshl_add_u64 v[0:1], v[0:1], 3, v[124:125]
	v_fma_f32 v8, -v5, v6, 1.0
	v_fmac_f32_e32 v6, v8, v6
	v_div_scale_f32 v8, vcc, v11, v3, v11
	v_mul_f32_e32 v12, v8, v6
	v_fma_f32 v13, -v5, v12, v8
	v_fmac_f32_e32 v12, v13, v6
	v_fma_f32 v5, -v5, v12, v8
	v_div_fmas_f32 v5, v5, v6, v12
	v_div_fixup_f32 v11, v5, v3, v11
	v_div_scale_f32 v5, s[48:49], v3, v3, v10
	v_rcp_f32_e32 v6, v5
	s_nop 0
	v_fma_f32 v8, -v5, v6, 1.0
	v_fmac_f32_e32 v6, v8, v6
	v_div_scale_f32 v8, vcc, v10, v3, v10
	v_mul_f32_e32 v12, v8, v6
	v_fma_f32 v13, -v5, v12, v8
	v_fmac_f32_e32 v12, v13, v6
	v_fma_f32 v5, -v5, v12, v8
	v_div_fmas_f32 v5, v5, v6, v12
	v_div_fixup_f32 v10, v5, v3, v10
	global_store_dwordx2 v[0:1], v[10:11], off
	v_cvt_f32_f16_sdwa v11, v7 dst_sel:DWORD dst_unused:UNUSED_PAD src0_sel:WORD_1
	v_cvt_f32_f16_e32 v10, v7
	v_pk_fma_f32 v[6:7], v[2:3], v[10:11], 0 op_sel_hi:[0,1,0]
	v_cvt_f32_f16_sdwa v11, v9 dst_sel:DWORD dst_unused:UNUSED_PAD src0_sel:WORD_1
	v_cvt_f32_f16_e32 v10, v9
	v_pk_fma_f32 v[4:5], v[4:5], v[10:11], v[6:7] op_sel_hi:[0,1,1]
	v_div_scale_f32 v2, s[48:49], v3, v3, v5
	v_rcp_f32_e32 v6, v2
	s_nop 0
	v_fma_f32 v7, -v2, v6, 1.0
	v_fmac_f32_e32 v6, v7, v6
	v_div_scale_f32 v7, vcc, v5, v3, v5
	v_mul_f32_e32 v8, v7, v6
	v_fma_f32 v9, -v2, v8, v7
	v_fmac_f32_e32 v8, v9, v6
	v_fma_f32 v2, -v2, v8, v7
	v_div_fmas_f32 v2, v2, v6, v8
	v_div_fixup_f32 v5, v2, v3, v5
	v_div_scale_f32 v2, s[48:49], v3, v3, v4
	v_rcp_f32_e32 v6, v2
	s_nop 0
	v_fma_f32 v7, -v2, v6, 1.0
	v_fmac_f32_e32 v6, v7, v6
	v_div_scale_f32 v7, vcc, v4, v3, v4
	v_mul_f32_e32 v8, v7, v6
	v_fma_f32 v9, -v2, v8, v7
	v_fmac_f32_e32 v8, v9, v6
	v_fma_f32 v2, -v2, v8, v7
	v_div_fmas_f32 v2, v2, v6, v8
	v_div_fixup_f32 v4, v2, v3, v4
	global_store_dwordx2 v[0:1], v[4:5], off offset:512
	v_mov_b32_e32 v1, 0
.LBB29_254:                             ;   in Loop: Header=BB29_16 Depth=1
	s_or_b64 exec, exec, s[46:47]
	s_movk_i32 s0, 0x47
	v_cmp_gt_i32_e32 vcc, s0, v1
	s_mov_b64 s[46:47], -1
	s_and_saveexec_b64 s[48:49], vcc
; %bb.255:                              ;   in Loop: Header=BB29_16 Depth=1
	v_cmp_eq_u32_e32 vcc, 0, v1
	s_orn2_b64 s[46:47], vcc, exec
; %bb.256:                              ;   in Loop: Header=BB29_16 Depth=1
	s_or_b64 exec, exec, s[48:49]
	s_and_b64 exec, exec, s[46:47]
	s_cbranch_execz .LBB29_14
; %bb.257:                              ;   in Loop: Header=BB29_16 Depth=1
	v_accvgpr_read_b32 v0, a25
	v_add_u32_e32 v0, v0, v97
	v_cmp_gt_i32_e32 vcc, s96, v0
	v_mov_b32_e32 v1, 0x47
	s_and_saveexec_b64 s[46:47], vcc
	s_cbranch_execz .LBB29_259
; %bb.258:                              ;   in Loop: Header=BB29_16 Depth=1
	v_accvgpr_read_b32 v1, a48
	ds_read2_b32 v[2:3], v1 offset0:128 offset1:129
	ds_read_b32 v4, v1 offset:8960
	v_accvgpr_read_b32 v1, a64
	ds_read2st64_b32 v[6:7], v1 offset1:1
	ds_read2st64_b32 v[8:9], v1 offset0:33 offset1:34
	v_readlane_b32 s0, v255, 0
	s_waitcnt lgkmcnt(1)
	v_cvt_f32_f16_sdwa v11, v6 dst_sel:DWORD dst_unused:UNUSED_PAD src0_sel:WORD_1
	v_cvt_f32_f16_e32 v10, v6
	s_waitcnt lgkmcnt(0)
	v_cvt_f32_f16_sdwa v13, v8 dst_sel:DWORD dst_unused:UNUSED_PAD src0_sel:WORD_1
	v_cvt_f32_f16_e32 v12, v8
	v_mad_u64_u32 v[0:1], s[48:49], s0, v0, v[48:49]
	v_pk_fma_f32 v[10:11], v[2:3], v[10:11], 0 op_sel_hi:[0,1,0]
	v_pk_fma_f32 v[10:11], v[4:5], v[12:13], v[10:11] op_sel_hi:[0,1,1]
	v_div_scale_f32 v5, s[48:49], v3, v3, v11
	v_rcp_f32_e32 v6, v5
	v_ashrrev_i32_e32 v1, 31, v0
	v_lshl_add_u64 v[0:1], v[0:1], 3, v[124:125]
	v_fma_f32 v8, -v5, v6, 1.0
	v_fmac_f32_e32 v6, v8, v6
	v_div_scale_f32 v8, vcc, v11, v3, v11
	v_mul_f32_e32 v12, v8, v6
	v_fma_f32 v13, -v5, v12, v8
	v_fmac_f32_e32 v12, v13, v6
	v_fma_f32 v5, -v5, v12, v8
	v_div_fmas_f32 v5, v5, v6, v12
	v_div_fixup_f32 v11, v5, v3, v11
	v_div_scale_f32 v5, s[48:49], v3, v3, v10
	v_rcp_f32_e32 v6, v5
	s_nop 0
	v_fma_f32 v8, -v5, v6, 1.0
	v_fmac_f32_e32 v6, v8, v6
	v_div_scale_f32 v8, vcc, v10, v3, v10
	v_mul_f32_e32 v12, v8, v6
	v_fma_f32 v13, -v5, v12, v8
	v_fmac_f32_e32 v12, v13, v6
	v_fma_f32 v5, -v5, v12, v8
	v_div_fmas_f32 v5, v5, v6, v12
	v_div_fixup_f32 v10, v5, v3, v10
	global_store_dwordx2 v[0:1], v[10:11], off
	v_cvt_f32_f16_sdwa v11, v7 dst_sel:DWORD dst_unused:UNUSED_PAD src0_sel:WORD_1
	v_cvt_f32_f16_e32 v10, v7
	v_pk_fma_f32 v[6:7], v[2:3], v[10:11], 0 op_sel_hi:[0,1,0]
	v_cvt_f32_f16_sdwa v11, v9 dst_sel:DWORD dst_unused:UNUSED_PAD src0_sel:WORD_1
	v_cvt_f32_f16_e32 v10, v9
	v_pk_fma_f32 v[4:5], v[4:5], v[10:11], v[6:7] op_sel_hi:[0,1,1]
	v_div_scale_f32 v2, s[48:49], v3, v3, v5
	v_rcp_f32_e32 v6, v2
	s_nop 0
	v_fma_f32 v7, -v2, v6, 1.0
	v_fmac_f32_e32 v6, v7, v6
	v_div_scale_f32 v7, vcc, v5, v3, v5
	v_mul_f32_e32 v8, v7, v6
	v_fma_f32 v9, -v2, v8, v7
	v_fmac_f32_e32 v8, v9, v6
	v_fma_f32 v2, -v2, v8, v7
	v_div_fmas_f32 v2, v2, v6, v8
	v_div_fixup_f32 v5, v2, v3, v5
	v_div_scale_f32 v2, s[48:49], v3, v3, v4
	v_rcp_f32_e32 v6, v2
	s_nop 0
	v_fma_f32 v7, -v2, v6, 1.0
	v_fmac_f32_e32 v6, v7, v6
	v_div_scale_f32 v7, vcc, v4, v3, v4
	v_mul_f32_e32 v8, v7, v6
	v_fma_f32 v9, -v2, v8, v7
	v_fmac_f32_e32 v8, v9, v6
	v_fma_f32 v2, -v2, v8, v7
	v_div_fmas_f32 v2, v2, v6, v8
	v_div_fixup_f32 v4, v2, v3, v4
	global_store_dwordx2 v[0:1], v[4:5], off offset:512
	v_mov_b32_e32 v1, 0
.LBB29_259:                             ;   in Loop: Header=BB29_16 Depth=1
	s_or_b64 exec, exec, s[46:47]
	s_movk_i32 s0, 0x47
	v_cmp_gt_i32_e32 vcc, s0, v1
	s_mov_b64 s[46:47], -1
	s_and_saveexec_b64 s[48:49], vcc
; %bb.260:                              ;   in Loop: Header=BB29_16 Depth=1
	v_cmp_eq_u32_e32 vcc, 0, v1
	s_orn2_b64 s[46:47], vcc, exec
; %bb.261:                              ;   in Loop: Header=BB29_16 Depth=1
	s_or_b64 exec, exec, s[48:49]
	s_and_b64 exec, exec, s[46:47]
	s_cbranch_execz .LBB29_14
; %bb.262:                              ;   in Loop: Header=BB29_16 Depth=1
	v_accvgpr_read_b32 v0, a26
	v_add_u32_e32 v0, v0, v97
	v_cmp_gt_i32_e32 vcc, s96, v0
	v_mov_b32_e32 v1, 0x47
	s_and_saveexec_b64 s[46:47], vcc
	s_cbranch_execz .LBB29_264
; %bb.263:                              ;   in Loop: Header=BB29_16 Depth=1
	v_accvgpr_read_b32 v1, a49
	ds_read2_b32 v[2:3], v1 offset0:128 offset1:129
	ds_read_b32 v4, v1 offset:8960
	v_accvgpr_read_b32 v1, a65
	ds_read2st64_b32 v[6:7], v1 offset1:1
	ds_read2st64_b32 v[8:9], v1 offset0:33 offset1:34
	v_readlane_b32 s0, v255, 0
	s_waitcnt lgkmcnt(1)
	v_cvt_f32_f16_sdwa v11, v6 dst_sel:DWORD dst_unused:UNUSED_PAD src0_sel:WORD_1
	v_cvt_f32_f16_e32 v10, v6
	s_waitcnt lgkmcnt(0)
	v_cvt_f32_f16_sdwa v13, v8 dst_sel:DWORD dst_unused:UNUSED_PAD src0_sel:WORD_1
	v_cvt_f32_f16_e32 v12, v8
	v_mad_u64_u32 v[0:1], s[48:49], s0, v0, v[48:49]
	v_pk_fma_f32 v[10:11], v[2:3], v[10:11], 0 op_sel_hi:[0,1,0]
	v_pk_fma_f32 v[10:11], v[4:5], v[12:13], v[10:11] op_sel_hi:[0,1,1]
	v_div_scale_f32 v5, s[48:49], v3, v3, v11
	v_rcp_f32_e32 v6, v5
	v_ashrrev_i32_e32 v1, 31, v0
	v_lshl_add_u64 v[0:1], v[0:1], 3, v[124:125]
	v_fma_f32 v8, -v5, v6, 1.0
	v_fmac_f32_e32 v6, v8, v6
	v_div_scale_f32 v8, vcc, v11, v3, v11
	v_mul_f32_e32 v12, v8, v6
	v_fma_f32 v13, -v5, v12, v8
	v_fmac_f32_e32 v12, v13, v6
	v_fma_f32 v5, -v5, v12, v8
	v_div_fmas_f32 v5, v5, v6, v12
	v_div_fixup_f32 v11, v5, v3, v11
	v_div_scale_f32 v5, s[48:49], v3, v3, v10
	v_rcp_f32_e32 v6, v5
	s_nop 0
	v_fma_f32 v8, -v5, v6, 1.0
	v_fmac_f32_e32 v6, v8, v6
	v_div_scale_f32 v8, vcc, v10, v3, v10
	v_mul_f32_e32 v12, v8, v6
	v_fma_f32 v13, -v5, v12, v8
	v_fmac_f32_e32 v12, v13, v6
	v_fma_f32 v5, -v5, v12, v8
	v_div_fmas_f32 v5, v5, v6, v12
	v_div_fixup_f32 v10, v5, v3, v10
	global_store_dwordx2 v[0:1], v[10:11], off
	v_cvt_f32_f16_sdwa v11, v7 dst_sel:DWORD dst_unused:UNUSED_PAD src0_sel:WORD_1
	v_cvt_f32_f16_e32 v10, v7
	v_pk_fma_f32 v[6:7], v[2:3], v[10:11], 0 op_sel_hi:[0,1,0]
	v_cvt_f32_f16_sdwa v11, v9 dst_sel:DWORD dst_unused:UNUSED_PAD src0_sel:WORD_1
	v_cvt_f32_f16_e32 v10, v9
	v_pk_fma_f32 v[4:5], v[4:5], v[10:11], v[6:7] op_sel_hi:[0,1,1]
	v_div_scale_f32 v2, s[48:49], v3, v3, v5
	v_rcp_f32_e32 v6, v2
	s_nop 0
	v_fma_f32 v7, -v2, v6, 1.0
	v_fmac_f32_e32 v6, v7, v6
	v_div_scale_f32 v7, vcc, v5, v3, v5
	v_mul_f32_e32 v8, v7, v6
	v_fma_f32 v9, -v2, v8, v7
	v_fmac_f32_e32 v8, v9, v6
	v_fma_f32 v2, -v2, v8, v7
	v_div_fmas_f32 v2, v2, v6, v8
	v_div_fixup_f32 v5, v2, v3, v5
	v_div_scale_f32 v2, s[48:49], v3, v3, v4
	v_rcp_f32_e32 v6, v2
	s_nop 0
	v_fma_f32 v7, -v2, v6, 1.0
	v_fmac_f32_e32 v6, v7, v6
	v_div_scale_f32 v7, vcc, v4, v3, v4
	v_mul_f32_e32 v8, v7, v6
	v_fma_f32 v9, -v2, v8, v7
	v_fmac_f32_e32 v8, v9, v6
	v_fma_f32 v2, -v2, v8, v7
	v_div_fmas_f32 v2, v2, v6, v8
	v_div_fixup_f32 v4, v2, v3, v4
	global_store_dwordx2 v[0:1], v[4:5], off offset:512
	v_mov_b32_e32 v1, 0
.LBB29_264:                             ;   in Loop: Header=BB29_16 Depth=1
	s_or_b64 exec, exec, s[46:47]
	s_movk_i32 s0, 0x47
	v_cmp_gt_i32_e32 vcc, s0, v1
	s_mov_b64 s[46:47], -1
	s_and_saveexec_b64 s[48:49], vcc
; %bb.265:                              ;   in Loop: Header=BB29_16 Depth=1
	v_cmp_eq_u32_e32 vcc, 0, v1
	s_orn2_b64 s[46:47], vcc, exec
; %bb.266:                              ;   in Loop: Header=BB29_16 Depth=1
	s_or_b64 exec, exec, s[48:49]
	s_and_b64 exec, exec, s[46:47]
	s_cbranch_execz .LBB29_14
; %bb.267:                              ;   in Loop: Header=BB29_16 Depth=1
	v_accvgpr_read_b32 v0, a27
	v_add_u32_e32 v0, v0, v97
	v_cmp_gt_i32_e32 vcc, s96, v0
	v_mov_b32_e32 v1, 0x47
	s_and_saveexec_b64 s[46:47], vcc
	s_cbranch_execz .LBB29_269
; %bb.268:                              ;   in Loop: Header=BB29_16 Depth=1
	v_accvgpr_read_b32 v1, a50
	ds_read2_b32 v[2:3], v1 offset0:128 offset1:129
	ds_read_b32 v4, v1 offset:8960
	v_accvgpr_read_b32 v1, a66
	ds_read2st64_b32 v[6:7], v1 offset1:1
	ds_read2st64_b32 v[8:9], v1 offset0:33 offset1:34
	v_readlane_b32 s0, v255, 0
	s_waitcnt lgkmcnt(1)
	v_cvt_f32_f16_sdwa v11, v6 dst_sel:DWORD dst_unused:UNUSED_PAD src0_sel:WORD_1
	v_cvt_f32_f16_e32 v10, v6
	s_waitcnt lgkmcnt(0)
	v_cvt_f32_f16_sdwa v13, v8 dst_sel:DWORD dst_unused:UNUSED_PAD src0_sel:WORD_1
	v_cvt_f32_f16_e32 v12, v8
	v_mad_u64_u32 v[0:1], s[48:49], s0, v0, v[48:49]
	v_pk_fma_f32 v[10:11], v[2:3], v[10:11], 0 op_sel_hi:[0,1,0]
	v_pk_fma_f32 v[10:11], v[4:5], v[12:13], v[10:11] op_sel_hi:[0,1,1]
	v_div_scale_f32 v5, s[48:49], v3, v3, v11
	v_rcp_f32_e32 v6, v5
	v_ashrrev_i32_e32 v1, 31, v0
	v_lshl_add_u64 v[0:1], v[0:1], 3, v[124:125]
	v_fma_f32 v8, -v5, v6, 1.0
	v_fmac_f32_e32 v6, v8, v6
	v_div_scale_f32 v8, vcc, v11, v3, v11
	v_mul_f32_e32 v12, v8, v6
	v_fma_f32 v13, -v5, v12, v8
	v_fmac_f32_e32 v12, v13, v6
	v_fma_f32 v5, -v5, v12, v8
	v_div_fmas_f32 v5, v5, v6, v12
	v_div_fixup_f32 v11, v5, v3, v11
	v_div_scale_f32 v5, s[48:49], v3, v3, v10
	v_rcp_f32_e32 v6, v5
	s_nop 0
	v_fma_f32 v8, -v5, v6, 1.0
	v_fmac_f32_e32 v6, v8, v6
	v_div_scale_f32 v8, vcc, v10, v3, v10
	v_mul_f32_e32 v12, v8, v6
	v_fma_f32 v13, -v5, v12, v8
	v_fmac_f32_e32 v12, v13, v6
	v_fma_f32 v5, -v5, v12, v8
	v_div_fmas_f32 v5, v5, v6, v12
	v_div_fixup_f32 v10, v5, v3, v10
	global_store_dwordx2 v[0:1], v[10:11], off
	v_cvt_f32_f16_sdwa v11, v7 dst_sel:DWORD dst_unused:UNUSED_PAD src0_sel:WORD_1
	v_cvt_f32_f16_e32 v10, v7
	v_pk_fma_f32 v[6:7], v[2:3], v[10:11], 0 op_sel_hi:[0,1,0]
	v_cvt_f32_f16_sdwa v11, v9 dst_sel:DWORD dst_unused:UNUSED_PAD src0_sel:WORD_1
	v_cvt_f32_f16_e32 v10, v9
	v_pk_fma_f32 v[4:5], v[4:5], v[10:11], v[6:7] op_sel_hi:[0,1,1]
	v_div_scale_f32 v2, s[48:49], v3, v3, v5
	v_rcp_f32_e32 v6, v2
	s_nop 0
	v_fma_f32 v7, -v2, v6, 1.0
	v_fmac_f32_e32 v6, v7, v6
	v_div_scale_f32 v7, vcc, v5, v3, v5
	v_mul_f32_e32 v8, v7, v6
	v_fma_f32 v9, -v2, v8, v7
	v_fmac_f32_e32 v8, v9, v6
	v_fma_f32 v2, -v2, v8, v7
	v_div_fmas_f32 v2, v2, v6, v8
	v_div_fixup_f32 v5, v2, v3, v5
	v_div_scale_f32 v2, s[48:49], v3, v3, v4
	v_rcp_f32_e32 v6, v2
	s_nop 0
	v_fma_f32 v7, -v2, v6, 1.0
	v_fmac_f32_e32 v6, v7, v6
	v_div_scale_f32 v7, vcc, v4, v3, v4
	v_mul_f32_e32 v8, v7, v6
	v_fma_f32 v9, -v2, v8, v7
	v_fmac_f32_e32 v8, v9, v6
	v_fma_f32 v2, -v2, v8, v7
	v_div_fmas_f32 v2, v2, v6, v8
	v_div_fixup_f32 v4, v2, v3, v4
	global_store_dwordx2 v[0:1], v[4:5], off offset:512
	v_mov_b32_e32 v1, 0
.LBB29_269:                             ;   in Loop: Header=BB29_16 Depth=1
	s_or_b64 exec, exec, s[46:47]
	s_movk_i32 s0, 0x47
	v_cmp_gt_i32_e32 vcc, s0, v1
	s_mov_b64 s[46:47], -1
	s_and_saveexec_b64 s[48:49], vcc
; %bb.270:                              ;   in Loop: Header=BB29_16 Depth=1
	v_cmp_eq_u32_e32 vcc, 0, v1
	s_orn2_b64 s[46:47], vcc, exec
; %bb.271:                              ;   in Loop: Header=BB29_16 Depth=1
	s_or_b64 exec, exec, s[48:49]
	s_and_b64 exec, exec, s[46:47]
	s_cbranch_execz .LBB29_14
; %bb.272:                              ;   in Loop: Header=BB29_16 Depth=1
	v_accvgpr_read_b32 v0, a28
	v_add_u32_e32 v0, v0, v97
	v_cmp_gt_i32_e32 vcc, s96, v0
	v_mov_b32_e32 v1, 0x47
	s_and_saveexec_b64 s[46:47], vcc
	s_cbranch_execz .LBB29_274
; %bb.273:                              ;   in Loop: Header=BB29_16 Depth=1
	v_accvgpr_read_b32 v1, a51
	ds_read2_b32 v[2:3], v1 offset0:128 offset1:129
	ds_read_b32 v4, v1 offset:8960
	v_accvgpr_read_b32 v1, a67
	ds_read2st64_b32 v[6:7], v1 offset1:1
	ds_read2st64_b32 v[8:9], v1 offset0:33 offset1:34
	v_readlane_b32 s0, v255, 0
	s_waitcnt lgkmcnt(1)
	v_cvt_f32_f16_sdwa v11, v6 dst_sel:DWORD dst_unused:UNUSED_PAD src0_sel:WORD_1
	v_cvt_f32_f16_e32 v10, v6
	s_waitcnt lgkmcnt(0)
	v_cvt_f32_f16_sdwa v13, v8 dst_sel:DWORD dst_unused:UNUSED_PAD src0_sel:WORD_1
	v_cvt_f32_f16_e32 v12, v8
	v_mad_u64_u32 v[0:1], s[48:49], s0, v0, v[48:49]
	v_pk_fma_f32 v[10:11], v[2:3], v[10:11], 0 op_sel_hi:[0,1,0]
	v_pk_fma_f32 v[10:11], v[4:5], v[12:13], v[10:11] op_sel_hi:[0,1,1]
	v_div_scale_f32 v5, s[48:49], v3, v3, v11
	v_rcp_f32_e32 v6, v5
	v_ashrrev_i32_e32 v1, 31, v0
	v_lshl_add_u64 v[0:1], v[0:1], 3, v[124:125]
	v_fma_f32 v8, -v5, v6, 1.0
	v_fmac_f32_e32 v6, v8, v6
	v_div_scale_f32 v8, vcc, v11, v3, v11
	v_mul_f32_e32 v12, v8, v6
	v_fma_f32 v13, -v5, v12, v8
	v_fmac_f32_e32 v12, v13, v6
	v_fma_f32 v5, -v5, v12, v8
	v_div_fmas_f32 v5, v5, v6, v12
	v_div_fixup_f32 v11, v5, v3, v11
	v_div_scale_f32 v5, s[48:49], v3, v3, v10
	v_rcp_f32_e32 v6, v5
	s_nop 0
	v_fma_f32 v8, -v5, v6, 1.0
	v_fmac_f32_e32 v6, v8, v6
	v_div_scale_f32 v8, vcc, v10, v3, v10
	v_mul_f32_e32 v12, v8, v6
	v_fma_f32 v13, -v5, v12, v8
	v_fmac_f32_e32 v12, v13, v6
	v_fma_f32 v5, -v5, v12, v8
	v_div_fmas_f32 v5, v5, v6, v12
	v_div_fixup_f32 v10, v5, v3, v10
	global_store_dwordx2 v[0:1], v[10:11], off
	v_cvt_f32_f16_sdwa v11, v7 dst_sel:DWORD dst_unused:UNUSED_PAD src0_sel:WORD_1
	v_cvt_f32_f16_e32 v10, v7
	v_pk_fma_f32 v[6:7], v[2:3], v[10:11], 0 op_sel_hi:[0,1,0]
	v_cvt_f32_f16_sdwa v11, v9 dst_sel:DWORD dst_unused:UNUSED_PAD src0_sel:WORD_1
	v_cvt_f32_f16_e32 v10, v9
	v_pk_fma_f32 v[4:5], v[4:5], v[10:11], v[6:7] op_sel_hi:[0,1,1]
	v_div_scale_f32 v2, s[48:49], v3, v3, v5
	v_rcp_f32_e32 v6, v2
	s_nop 0
	v_fma_f32 v7, -v2, v6, 1.0
	v_fmac_f32_e32 v6, v7, v6
	v_div_scale_f32 v7, vcc, v5, v3, v5
	v_mul_f32_e32 v8, v7, v6
	v_fma_f32 v9, -v2, v8, v7
	v_fmac_f32_e32 v8, v9, v6
	v_fma_f32 v2, -v2, v8, v7
	v_div_fmas_f32 v2, v2, v6, v8
	v_div_fixup_f32 v5, v2, v3, v5
	v_div_scale_f32 v2, s[48:49], v3, v3, v4
	v_rcp_f32_e32 v6, v2
	s_nop 0
	v_fma_f32 v7, -v2, v6, 1.0
	v_fmac_f32_e32 v6, v7, v6
	v_div_scale_f32 v7, vcc, v4, v3, v4
	v_mul_f32_e32 v8, v7, v6
	v_fma_f32 v9, -v2, v8, v7
	v_fmac_f32_e32 v8, v9, v6
	v_fma_f32 v2, -v2, v8, v7
	v_div_fmas_f32 v2, v2, v6, v8
	v_div_fixup_f32 v4, v2, v3, v4
	global_store_dwordx2 v[0:1], v[4:5], off offset:512
	v_mov_b32_e32 v1, 0
.LBB29_274:                             ;   in Loop: Header=BB29_16 Depth=1
	s_or_b64 exec, exec, s[46:47]
	s_movk_i32 s0, 0x47
	v_cmp_gt_i32_e32 vcc, s0, v1
	s_mov_b64 s[46:47], -1
	s_and_saveexec_b64 s[48:49], vcc
; %bb.275:                              ;   in Loop: Header=BB29_16 Depth=1
	v_cmp_eq_u32_e32 vcc, 0, v1
	s_orn2_b64 s[46:47], vcc, exec
; %bb.276:                              ;   in Loop: Header=BB29_16 Depth=1
	s_or_b64 exec, exec, s[48:49]
	s_and_b64 exec, exec, s[46:47]
	s_cbranch_execz .LBB29_14
; %bb.277:                              ;   in Loop: Header=BB29_16 Depth=1
	v_accvgpr_read_b32 v0, a29
	v_add_u32_e32 v0, v0, v97
	v_cmp_gt_i32_e32 vcc, s96, v0
	v_mov_b32_e32 v1, 0x47
	s_and_saveexec_b64 s[46:47], vcc
	s_cbranch_execz .LBB29_279
; %bb.278:                              ;   in Loop: Header=BB29_16 Depth=1
	v_accvgpr_read_b32 v1, a52
	ds_read2_b32 v[2:3], v1 offset0:128 offset1:129
	ds_read_b32 v4, v1 offset:8960
	v_accvgpr_read_b32 v1, a68
	ds_read2st64_b32 v[6:7], v1 offset1:1
	ds_read2st64_b32 v[8:9], v1 offset0:33 offset1:34
	v_readlane_b32 s0, v255, 0
	s_waitcnt lgkmcnt(1)
	v_cvt_f32_f16_sdwa v11, v6 dst_sel:DWORD dst_unused:UNUSED_PAD src0_sel:WORD_1
	v_cvt_f32_f16_e32 v10, v6
	s_waitcnt lgkmcnt(0)
	v_cvt_f32_f16_sdwa v13, v8 dst_sel:DWORD dst_unused:UNUSED_PAD src0_sel:WORD_1
	v_cvt_f32_f16_e32 v12, v8
	v_mad_u64_u32 v[0:1], s[48:49], s0, v0, v[48:49]
	v_pk_fma_f32 v[10:11], v[2:3], v[10:11], 0 op_sel_hi:[0,1,0]
	v_pk_fma_f32 v[10:11], v[4:5], v[12:13], v[10:11] op_sel_hi:[0,1,1]
	v_div_scale_f32 v5, s[48:49], v3, v3, v11
	v_rcp_f32_e32 v6, v5
	v_ashrrev_i32_e32 v1, 31, v0
	v_lshl_add_u64 v[0:1], v[0:1], 3, v[124:125]
	v_fma_f32 v8, -v5, v6, 1.0
	v_fmac_f32_e32 v6, v8, v6
	v_div_scale_f32 v8, vcc, v11, v3, v11
	v_mul_f32_e32 v12, v8, v6
	v_fma_f32 v13, -v5, v12, v8
	v_fmac_f32_e32 v12, v13, v6
	v_fma_f32 v5, -v5, v12, v8
	v_div_fmas_f32 v5, v5, v6, v12
	v_div_fixup_f32 v11, v5, v3, v11
	v_div_scale_f32 v5, s[48:49], v3, v3, v10
	v_rcp_f32_e32 v6, v5
	s_nop 0
	v_fma_f32 v8, -v5, v6, 1.0
	v_fmac_f32_e32 v6, v8, v6
	v_div_scale_f32 v8, vcc, v10, v3, v10
	v_mul_f32_e32 v12, v8, v6
	v_fma_f32 v13, -v5, v12, v8
	v_fmac_f32_e32 v12, v13, v6
	v_fma_f32 v5, -v5, v12, v8
	v_div_fmas_f32 v5, v5, v6, v12
	v_div_fixup_f32 v10, v5, v3, v10
	global_store_dwordx2 v[0:1], v[10:11], off
	v_cvt_f32_f16_sdwa v11, v7 dst_sel:DWORD dst_unused:UNUSED_PAD src0_sel:WORD_1
	v_cvt_f32_f16_e32 v10, v7
	v_pk_fma_f32 v[6:7], v[2:3], v[10:11], 0 op_sel_hi:[0,1,0]
	v_cvt_f32_f16_sdwa v11, v9 dst_sel:DWORD dst_unused:UNUSED_PAD src0_sel:WORD_1
	v_cvt_f32_f16_e32 v10, v9
	v_pk_fma_f32 v[4:5], v[4:5], v[10:11], v[6:7] op_sel_hi:[0,1,1]
	v_div_scale_f32 v2, s[48:49], v3, v3, v5
	v_rcp_f32_e32 v6, v2
	s_nop 0
	v_fma_f32 v7, -v2, v6, 1.0
	v_fmac_f32_e32 v6, v7, v6
	v_div_scale_f32 v7, vcc, v5, v3, v5
	v_mul_f32_e32 v8, v7, v6
	v_fma_f32 v9, -v2, v8, v7
	v_fmac_f32_e32 v8, v9, v6
	v_fma_f32 v2, -v2, v8, v7
	v_div_fmas_f32 v2, v2, v6, v8
	v_div_fixup_f32 v5, v2, v3, v5
	v_div_scale_f32 v2, s[48:49], v3, v3, v4
	v_rcp_f32_e32 v6, v2
	s_nop 0
	v_fma_f32 v7, -v2, v6, 1.0
	v_fmac_f32_e32 v6, v7, v6
	v_div_scale_f32 v7, vcc, v4, v3, v4
	v_mul_f32_e32 v8, v7, v6
	v_fma_f32 v9, -v2, v8, v7
	v_fmac_f32_e32 v8, v9, v6
	v_fma_f32 v2, -v2, v8, v7
	v_div_fmas_f32 v2, v2, v6, v8
	v_div_fixup_f32 v4, v2, v3, v4
	global_store_dwordx2 v[0:1], v[4:5], off offset:512
	v_mov_b32_e32 v1, 0
.LBB29_279:                             ;   in Loop: Header=BB29_16 Depth=1
	s_or_b64 exec, exec, s[46:47]
	s_movk_i32 s0, 0x47
	v_cmp_gt_i32_e32 vcc, s0, v1
	s_mov_b64 s[46:47], -1
	s_and_saveexec_b64 s[48:49], vcc
; %bb.280:                              ;   in Loop: Header=BB29_16 Depth=1
	v_cmp_eq_u32_e32 vcc, 0, v1
	s_orn2_b64 s[46:47], vcc, exec
; %bb.281:                              ;   in Loop: Header=BB29_16 Depth=1
	s_or_b64 exec, exec, s[48:49]
	s_and_b64 exec, exec, s[46:47]
	s_cbranch_execz .LBB29_14
; %bb.282:                              ;   in Loop: Header=BB29_16 Depth=1
	v_accvgpr_read_b32 v0, a30
	v_add_u32_e32 v0, v0, v97
	v_cmp_gt_i32_e32 vcc, s96, v0
	v_mov_b32_e32 v1, 0x47
	s_and_saveexec_b64 s[46:47], vcc
	s_cbranch_execz .LBB29_284
; %bb.283:                              ;   in Loop: Header=BB29_16 Depth=1
	v_accvgpr_read_b32 v1, a53
	ds_read2_b32 v[2:3], v1 offset0:128 offset1:129
	ds_read_b32 v4, v1 offset:8960
	v_accvgpr_read_b32 v1, a69
	ds_read2st64_b32 v[6:7], v1 offset1:1
	ds_read2st64_b32 v[8:9], v1 offset0:33 offset1:34
	v_readlane_b32 s0, v255, 0
	s_waitcnt lgkmcnt(1)
	v_cvt_f32_f16_sdwa v11, v6 dst_sel:DWORD dst_unused:UNUSED_PAD src0_sel:WORD_1
	v_cvt_f32_f16_e32 v10, v6
	s_waitcnt lgkmcnt(0)
	v_cvt_f32_f16_sdwa v13, v8 dst_sel:DWORD dst_unused:UNUSED_PAD src0_sel:WORD_1
	v_cvt_f32_f16_e32 v12, v8
	v_mad_u64_u32 v[0:1], s[48:49], s0, v0, v[48:49]
	v_pk_fma_f32 v[10:11], v[2:3], v[10:11], 0 op_sel_hi:[0,1,0]
	v_pk_fma_f32 v[10:11], v[4:5], v[12:13], v[10:11] op_sel_hi:[0,1,1]
	v_div_scale_f32 v5, s[48:49], v3, v3, v11
	v_rcp_f32_e32 v6, v5
	v_ashrrev_i32_e32 v1, 31, v0
	v_lshl_add_u64 v[0:1], v[0:1], 3, v[124:125]
	v_fma_f32 v8, -v5, v6, 1.0
	v_fmac_f32_e32 v6, v8, v6
	v_div_scale_f32 v8, vcc, v11, v3, v11
	v_mul_f32_e32 v12, v8, v6
	v_fma_f32 v13, -v5, v12, v8
	v_fmac_f32_e32 v12, v13, v6
	v_fma_f32 v5, -v5, v12, v8
	v_div_fmas_f32 v5, v5, v6, v12
	v_div_fixup_f32 v11, v5, v3, v11
	v_div_scale_f32 v5, s[48:49], v3, v3, v10
	v_rcp_f32_e32 v6, v5
	s_nop 0
	v_fma_f32 v8, -v5, v6, 1.0
	v_fmac_f32_e32 v6, v8, v6
	v_div_scale_f32 v8, vcc, v10, v3, v10
	v_mul_f32_e32 v12, v8, v6
	v_fma_f32 v13, -v5, v12, v8
	v_fmac_f32_e32 v12, v13, v6
	v_fma_f32 v5, -v5, v12, v8
	v_div_fmas_f32 v5, v5, v6, v12
	v_div_fixup_f32 v10, v5, v3, v10
	global_store_dwordx2 v[0:1], v[10:11], off
	v_cvt_f32_f16_sdwa v11, v7 dst_sel:DWORD dst_unused:UNUSED_PAD src0_sel:WORD_1
	v_cvt_f32_f16_e32 v10, v7
	v_pk_fma_f32 v[6:7], v[2:3], v[10:11], 0 op_sel_hi:[0,1,0]
	v_cvt_f32_f16_sdwa v11, v9 dst_sel:DWORD dst_unused:UNUSED_PAD src0_sel:WORD_1
	v_cvt_f32_f16_e32 v10, v9
	v_pk_fma_f32 v[4:5], v[4:5], v[10:11], v[6:7] op_sel_hi:[0,1,1]
	v_div_scale_f32 v2, s[48:49], v3, v3, v5
	v_rcp_f32_e32 v6, v2
	s_nop 0
	v_fma_f32 v7, -v2, v6, 1.0
	v_fmac_f32_e32 v6, v7, v6
	v_div_scale_f32 v7, vcc, v5, v3, v5
	v_mul_f32_e32 v8, v7, v6
	v_fma_f32 v9, -v2, v8, v7
	v_fmac_f32_e32 v8, v9, v6
	v_fma_f32 v2, -v2, v8, v7
	v_div_fmas_f32 v2, v2, v6, v8
	v_div_fixup_f32 v5, v2, v3, v5
	v_div_scale_f32 v2, s[48:49], v3, v3, v4
	v_rcp_f32_e32 v6, v2
	s_nop 0
	v_fma_f32 v7, -v2, v6, 1.0
	v_fmac_f32_e32 v6, v7, v6
	v_div_scale_f32 v7, vcc, v4, v3, v4
	v_mul_f32_e32 v8, v7, v6
	v_fma_f32 v9, -v2, v8, v7
	v_fmac_f32_e32 v8, v9, v6
	v_fma_f32 v2, -v2, v8, v7
	v_div_fmas_f32 v2, v2, v6, v8
	v_div_fixup_f32 v4, v2, v3, v4
	global_store_dwordx2 v[0:1], v[4:5], off offset:512
	v_mov_b32_e32 v1, 0
.LBB29_284:                             ;   in Loop: Header=BB29_16 Depth=1
	s_or_b64 exec, exec, s[46:47]
	s_movk_i32 s0, 0x47
	v_cmp_gt_i32_e32 vcc, s0, v1
	s_mov_b64 s[46:47], -1
	s_and_saveexec_b64 s[48:49], vcc
; %bb.285:                              ;   in Loop: Header=BB29_16 Depth=1
	v_cmp_eq_u32_e32 vcc, 0, v1
	s_orn2_b64 s[46:47], vcc, exec
; %bb.286:                              ;   in Loop: Header=BB29_16 Depth=1
	s_or_b64 exec, exec, s[48:49]
	s_and_b64 exec, exec, s[46:47]
	s_cbranch_execz .LBB29_14
; %bb.287:                              ;   in Loop: Header=BB29_16 Depth=1
	v_accvgpr_read_b32 v0, a31
	v_add_u32_e32 v0, v0, v97
	v_cmp_gt_i32_e32 vcc, s96, v0
	v_mov_b32_e32 v1, 0x47
	s_and_saveexec_b64 s[46:47], vcc
	s_cbranch_execz .LBB29_289
; %bb.288:                              ;   in Loop: Header=BB29_16 Depth=1
	v_accvgpr_read_b32 v1, a54
	ds_read2_b32 v[2:3], v1 offset0:128 offset1:129
	ds_read_b32 v4, v1 offset:8960
	v_accvgpr_read_b32 v1, a70
	ds_read2st64_b32 v[6:7], v1 offset1:1
	ds_read2st64_b32 v[8:9], v1 offset0:33 offset1:34
	v_readlane_b32 s0, v255, 0
	s_waitcnt lgkmcnt(1)
	v_cvt_f32_f16_sdwa v11, v6 dst_sel:DWORD dst_unused:UNUSED_PAD src0_sel:WORD_1
	v_cvt_f32_f16_e32 v10, v6
	s_waitcnt lgkmcnt(0)
	v_cvt_f32_f16_sdwa v13, v8 dst_sel:DWORD dst_unused:UNUSED_PAD src0_sel:WORD_1
	v_cvt_f32_f16_e32 v12, v8
	v_mad_u64_u32 v[0:1], s[48:49], s0, v0, v[48:49]
	v_pk_fma_f32 v[10:11], v[2:3], v[10:11], 0 op_sel_hi:[0,1,0]
	v_pk_fma_f32 v[10:11], v[4:5], v[12:13], v[10:11] op_sel_hi:[0,1,1]
	v_div_scale_f32 v5, s[48:49], v3, v3, v11
	v_rcp_f32_e32 v6, v5
	v_ashrrev_i32_e32 v1, 31, v0
	v_lshl_add_u64 v[0:1], v[0:1], 3, v[124:125]
	v_fma_f32 v8, -v5, v6, 1.0
	v_fmac_f32_e32 v6, v8, v6
	v_div_scale_f32 v8, vcc, v11, v3, v11
	v_mul_f32_e32 v12, v8, v6
	v_fma_f32 v13, -v5, v12, v8
	v_fmac_f32_e32 v12, v13, v6
	v_fma_f32 v5, -v5, v12, v8
	v_div_fmas_f32 v5, v5, v6, v12
	v_div_fixup_f32 v11, v5, v3, v11
	v_div_scale_f32 v5, s[48:49], v3, v3, v10
	v_rcp_f32_e32 v6, v5
	s_nop 0
	v_fma_f32 v8, -v5, v6, 1.0
	v_fmac_f32_e32 v6, v8, v6
	v_div_scale_f32 v8, vcc, v10, v3, v10
	v_mul_f32_e32 v12, v8, v6
	v_fma_f32 v13, -v5, v12, v8
	v_fmac_f32_e32 v12, v13, v6
	v_fma_f32 v5, -v5, v12, v8
	v_div_fmas_f32 v5, v5, v6, v12
	v_div_fixup_f32 v10, v5, v3, v10
	global_store_dwordx2 v[0:1], v[10:11], off
	v_cvt_f32_f16_sdwa v11, v7 dst_sel:DWORD dst_unused:UNUSED_PAD src0_sel:WORD_1
	v_cvt_f32_f16_e32 v10, v7
	v_pk_fma_f32 v[6:7], v[2:3], v[10:11], 0 op_sel_hi:[0,1,0]
	v_cvt_f32_f16_sdwa v11, v9 dst_sel:DWORD dst_unused:UNUSED_PAD src0_sel:WORD_1
	v_cvt_f32_f16_e32 v10, v9
	v_pk_fma_f32 v[4:5], v[4:5], v[10:11], v[6:7] op_sel_hi:[0,1,1]
	v_div_scale_f32 v2, s[48:49], v3, v3, v5
	v_rcp_f32_e32 v6, v2
	s_nop 0
	v_fma_f32 v7, -v2, v6, 1.0
	v_fmac_f32_e32 v6, v7, v6
	v_div_scale_f32 v7, vcc, v5, v3, v5
	v_mul_f32_e32 v8, v7, v6
	v_fma_f32 v9, -v2, v8, v7
	v_fmac_f32_e32 v8, v9, v6
	v_fma_f32 v2, -v2, v8, v7
	v_div_fmas_f32 v2, v2, v6, v8
	v_div_fixup_f32 v5, v2, v3, v5
	v_div_scale_f32 v2, s[48:49], v3, v3, v4
	v_rcp_f32_e32 v6, v2
	s_nop 0
	v_fma_f32 v7, -v2, v6, 1.0
	v_fmac_f32_e32 v6, v7, v6
	v_div_scale_f32 v7, vcc, v4, v3, v4
	v_mul_f32_e32 v8, v7, v6
	v_fma_f32 v9, -v2, v8, v7
	v_fmac_f32_e32 v8, v9, v6
	v_fma_f32 v2, -v2, v8, v7
	v_div_fmas_f32 v2, v2, v6, v8
	v_div_fixup_f32 v4, v2, v3, v4
	global_store_dwordx2 v[0:1], v[4:5], off offset:512
	v_mov_b32_e32 v1, 0
.LBB29_289:                             ;   in Loop: Header=BB29_16 Depth=1
	s_or_b64 exec, exec, s[46:47]
	s_movk_i32 s0, 0x47
	v_cmp_gt_i32_e32 vcc, s0, v1
	s_mov_b64 s[46:47], -1
	s_and_saveexec_b64 s[48:49], vcc
; %bb.290:                              ;   in Loop: Header=BB29_16 Depth=1
	v_cmp_eq_u32_e32 vcc, 0, v1
	s_orn2_b64 s[46:47], vcc, exec
; %bb.291:                              ;   in Loop: Header=BB29_16 Depth=1
	s_or_b64 exec, exec, s[48:49]
	s_and_b64 exec, exec, s[46:47]
	s_cbranch_execz .LBB29_14
; %bb.292:                              ;   in Loop: Header=BB29_16 Depth=1
	v_accvgpr_read_b32 v0, a32
	v_add_u32_e32 v0, v0, v97
	v_cmp_gt_i32_e32 vcc, s96, v0
	v_mov_b32_e32 v1, 0x47
	s_and_saveexec_b64 s[46:47], vcc
	s_cbranch_execz .LBB29_294
; %bb.293:                              ;   in Loop: Header=BB29_16 Depth=1
	v_accvgpr_read_b32 v1, a55
	ds_read2_b32 v[2:3], v1 offset0:128 offset1:129
	ds_read_b32 v4, v1 offset:8960
	v_accvgpr_read_b32 v1, a71
	ds_read2st64_b32 v[6:7], v1 offset1:1
	ds_read2st64_b32 v[8:9], v1 offset0:33 offset1:34
	v_readlane_b32 s0, v255, 0
	s_waitcnt lgkmcnt(1)
	v_cvt_f32_f16_sdwa v11, v6 dst_sel:DWORD dst_unused:UNUSED_PAD src0_sel:WORD_1
	v_cvt_f32_f16_e32 v10, v6
	s_waitcnt lgkmcnt(0)
	v_cvt_f32_f16_sdwa v13, v8 dst_sel:DWORD dst_unused:UNUSED_PAD src0_sel:WORD_1
	v_cvt_f32_f16_e32 v12, v8
	v_mad_u64_u32 v[0:1], s[48:49], s0, v0, v[48:49]
	v_pk_fma_f32 v[10:11], v[2:3], v[10:11], 0 op_sel_hi:[0,1,0]
	v_pk_fma_f32 v[10:11], v[4:5], v[12:13], v[10:11] op_sel_hi:[0,1,1]
	v_div_scale_f32 v5, s[48:49], v3, v3, v11
	v_rcp_f32_e32 v6, v5
	v_ashrrev_i32_e32 v1, 31, v0
	v_lshl_add_u64 v[0:1], v[0:1], 3, v[124:125]
	v_fma_f32 v8, -v5, v6, 1.0
	v_fmac_f32_e32 v6, v8, v6
	v_div_scale_f32 v8, vcc, v11, v3, v11
	v_mul_f32_e32 v12, v8, v6
	v_fma_f32 v13, -v5, v12, v8
	v_fmac_f32_e32 v12, v13, v6
	v_fma_f32 v5, -v5, v12, v8
	v_div_fmas_f32 v5, v5, v6, v12
	v_div_fixup_f32 v11, v5, v3, v11
	v_div_scale_f32 v5, s[48:49], v3, v3, v10
	v_rcp_f32_e32 v6, v5
	s_nop 0
	v_fma_f32 v8, -v5, v6, 1.0
	v_fmac_f32_e32 v6, v8, v6
	v_div_scale_f32 v8, vcc, v10, v3, v10
	v_mul_f32_e32 v12, v8, v6
	v_fma_f32 v13, -v5, v12, v8
	v_fmac_f32_e32 v12, v13, v6
	v_fma_f32 v5, -v5, v12, v8
	v_div_fmas_f32 v5, v5, v6, v12
	v_div_fixup_f32 v10, v5, v3, v10
	global_store_dwordx2 v[0:1], v[10:11], off
	v_cvt_f32_f16_sdwa v11, v7 dst_sel:DWORD dst_unused:UNUSED_PAD src0_sel:WORD_1
	v_cvt_f32_f16_e32 v10, v7
	v_pk_fma_f32 v[6:7], v[2:3], v[10:11], 0 op_sel_hi:[0,1,0]
	v_cvt_f32_f16_sdwa v11, v9 dst_sel:DWORD dst_unused:UNUSED_PAD src0_sel:WORD_1
	v_cvt_f32_f16_e32 v10, v9
	v_pk_fma_f32 v[4:5], v[4:5], v[10:11], v[6:7] op_sel_hi:[0,1,1]
	v_div_scale_f32 v2, s[48:49], v3, v3, v5
	v_rcp_f32_e32 v6, v2
	s_nop 0
	v_fma_f32 v7, -v2, v6, 1.0
	v_fmac_f32_e32 v6, v7, v6
	v_div_scale_f32 v7, vcc, v5, v3, v5
	v_mul_f32_e32 v8, v7, v6
	v_fma_f32 v9, -v2, v8, v7
	v_fmac_f32_e32 v8, v9, v6
	v_fma_f32 v2, -v2, v8, v7
	v_div_fmas_f32 v2, v2, v6, v8
	v_div_fixup_f32 v5, v2, v3, v5
	v_div_scale_f32 v2, s[48:49], v3, v3, v4
	v_rcp_f32_e32 v6, v2
	s_nop 0
	v_fma_f32 v7, -v2, v6, 1.0
	v_fmac_f32_e32 v6, v7, v6
	v_div_scale_f32 v7, vcc, v4, v3, v4
	v_mul_f32_e32 v8, v7, v6
	v_fma_f32 v9, -v2, v8, v7
	v_fmac_f32_e32 v8, v9, v6
	v_fma_f32 v2, -v2, v8, v7
	v_div_fmas_f32 v2, v2, v6, v8
	v_div_fixup_f32 v4, v2, v3, v4
	global_store_dwordx2 v[0:1], v[4:5], off offset:512
	v_mov_b32_e32 v1, 0
.LBB29_294:                             ;   in Loop: Header=BB29_16 Depth=1
	s_or_b64 exec, exec, s[46:47]
	s_movk_i32 s0, 0x47
	v_cmp_gt_i32_e32 vcc, s0, v1
	s_mov_b64 s[46:47], -1
	s_and_saveexec_b64 s[48:49], vcc
; %bb.295:                              ;   in Loop: Header=BB29_16 Depth=1
	v_cmp_eq_u32_e32 vcc, 0, v1
	s_orn2_b64 s[46:47], vcc, exec
; %bb.296:                              ;   in Loop: Header=BB29_16 Depth=1
	s_or_b64 exec, exec, s[48:49]
	s_and_b64 exec, exec, s[46:47]
	s_cbranch_execz .LBB29_14
; %bb.297:                              ;   in Loop: Header=BB29_16 Depth=1
	v_accvgpr_read_b32 v0, a33
	v_add_u32_e32 v0, v0, v97
	v_cmp_gt_i32_e32 vcc, s96, v0
	v_mov_b32_e32 v1, 0x47
	s_and_saveexec_b64 s[46:47], vcc
	s_cbranch_execz .LBB29_299
; %bb.298:                              ;   in Loop: Header=BB29_16 Depth=1
	v_accvgpr_read_b32 v1, a56
	ds_read2_b32 v[2:3], v1 offset0:128 offset1:129
	ds_read_b32 v4, v1 offset:8960
	v_accvgpr_read_b32 v1, a72
	ds_read2st64_b32 v[6:7], v1 offset1:1
	ds_read2st64_b32 v[8:9], v1 offset0:33 offset1:34
	v_readlane_b32 s0, v255, 0
	s_waitcnt lgkmcnt(1)
	v_cvt_f32_f16_sdwa v11, v6 dst_sel:DWORD dst_unused:UNUSED_PAD src0_sel:WORD_1
	v_cvt_f32_f16_e32 v10, v6
	s_waitcnt lgkmcnt(0)
	v_cvt_f32_f16_sdwa v13, v8 dst_sel:DWORD dst_unused:UNUSED_PAD src0_sel:WORD_1
	v_cvt_f32_f16_e32 v12, v8
	v_mad_u64_u32 v[0:1], s[48:49], s0, v0, v[48:49]
	v_pk_fma_f32 v[10:11], v[2:3], v[10:11], 0 op_sel_hi:[0,1,0]
	v_pk_fma_f32 v[10:11], v[4:5], v[12:13], v[10:11] op_sel_hi:[0,1,1]
	v_div_scale_f32 v5, s[48:49], v3, v3, v11
	v_rcp_f32_e32 v6, v5
	v_ashrrev_i32_e32 v1, 31, v0
	v_lshl_add_u64 v[0:1], v[0:1], 3, v[124:125]
	v_fma_f32 v8, -v5, v6, 1.0
	v_fmac_f32_e32 v6, v8, v6
	v_div_scale_f32 v8, vcc, v11, v3, v11
	v_mul_f32_e32 v12, v8, v6
	v_fma_f32 v13, -v5, v12, v8
	v_fmac_f32_e32 v12, v13, v6
	v_fma_f32 v5, -v5, v12, v8
	v_div_fmas_f32 v5, v5, v6, v12
	v_div_fixup_f32 v11, v5, v3, v11
	v_div_scale_f32 v5, s[48:49], v3, v3, v10
	v_rcp_f32_e32 v6, v5
	s_nop 0
	v_fma_f32 v8, -v5, v6, 1.0
	v_fmac_f32_e32 v6, v8, v6
	v_div_scale_f32 v8, vcc, v10, v3, v10
	v_mul_f32_e32 v12, v8, v6
	v_fma_f32 v13, -v5, v12, v8
	v_fmac_f32_e32 v12, v13, v6
	v_fma_f32 v5, -v5, v12, v8
	v_div_fmas_f32 v5, v5, v6, v12
	v_div_fixup_f32 v10, v5, v3, v10
	global_store_dwordx2 v[0:1], v[10:11], off
	v_cvt_f32_f16_sdwa v11, v7 dst_sel:DWORD dst_unused:UNUSED_PAD src0_sel:WORD_1
	v_cvt_f32_f16_e32 v10, v7
	v_pk_fma_f32 v[6:7], v[2:3], v[10:11], 0 op_sel_hi:[0,1,0]
	v_cvt_f32_f16_sdwa v11, v9 dst_sel:DWORD dst_unused:UNUSED_PAD src0_sel:WORD_1
	v_cvt_f32_f16_e32 v10, v9
	v_pk_fma_f32 v[4:5], v[4:5], v[10:11], v[6:7] op_sel_hi:[0,1,1]
	v_div_scale_f32 v2, s[48:49], v3, v3, v5
	v_rcp_f32_e32 v6, v2
	s_nop 0
	v_fma_f32 v7, -v2, v6, 1.0
	v_fmac_f32_e32 v6, v7, v6
	v_div_scale_f32 v7, vcc, v5, v3, v5
	v_mul_f32_e32 v8, v7, v6
	v_fma_f32 v9, -v2, v8, v7
	v_fmac_f32_e32 v8, v9, v6
	v_fma_f32 v2, -v2, v8, v7
	v_div_fmas_f32 v2, v2, v6, v8
	v_div_fixup_f32 v5, v2, v3, v5
	v_div_scale_f32 v2, s[48:49], v3, v3, v4
	v_rcp_f32_e32 v6, v2
	s_nop 0
	v_fma_f32 v7, -v2, v6, 1.0
	v_fmac_f32_e32 v6, v7, v6
	v_div_scale_f32 v7, vcc, v4, v3, v4
	v_mul_f32_e32 v8, v7, v6
	v_fma_f32 v9, -v2, v8, v7
	v_fmac_f32_e32 v8, v9, v6
	v_fma_f32 v2, -v2, v8, v7
	v_div_fmas_f32 v2, v2, v6, v8
	v_div_fixup_f32 v4, v2, v3, v4
	global_store_dwordx2 v[0:1], v[4:5], off offset:512
	v_mov_b32_e32 v1, 0
.LBB29_299:                             ;   in Loop: Header=BB29_16 Depth=1
	s_or_b64 exec, exec, s[46:47]
	s_movk_i32 s0, 0x47
	v_cmp_gt_i32_e32 vcc, s0, v1
	s_mov_b64 s[46:47], -1
	s_and_saveexec_b64 s[48:49], vcc
; %bb.300:                              ;   in Loop: Header=BB29_16 Depth=1
	v_cmp_eq_u32_e32 vcc, 0, v1
	s_orn2_b64 s[46:47], vcc, exec
; %bb.301:                              ;   in Loop: Header=BB29_16 Depth=1
	s_or_b64 exec, exec, s[48:49]
	s_and_b64 exec, exec, s[46:47]
	s_cbranch_execz .LBB29_14
; %bb.302:                              ;   in Loop: Header=BB29_16 Depth=1
	v_accvgpr_read_b32 v0, a34
	v_add_u32_e32 v0, v0, v97
	v_cmp_gt_i32_e32 vcc, s96, v0
	v_mov_b32_e32 v1, 0x47
	s_and_saveexec_b64 s[46:47], vcc
	s_cbranch_execz .LBB29_304
; %bb.303:                              ;   in Loop: Header=BB29_16 Depth=1
	v_accvgpr_read_b32 v1, a57
	ds_read2_b32 v[2:3], v1 offset0:128 offset1:129
	ds_read_b32 v4, v1 offset:8960
	v_accvgpr_read_b32 v1, a73
	ds_read2st64_b32 v[6:7], v1 offset1:1
	ds_read2st64_b32 v[8:9], v1 offset0:33 offset1:34
	v_readlane_b32 s0, v255, 0
	s_waitcnt lgkmcnt(1)
	v_cvt_f32_f16_sdwa v11, v6 dst_sel:DWORD dst_unused:UNUSED_PAD src0_sel:WORD_1
	v_cvt_f32_f16_e32 v10, v6
	s_waitcnt lgkmcnt(0)
	v_cvt_f32_f16_sdwa v13, v8 dst_sel:DWORD dst_unused:UNUSED_PAD src0_sel:WORD_1
	v_cvt_f32_f16_e32 v12, v8
	v_mad_u64_u32 v[0:1], s[48:49], s0, v0, v[48:49]
	v_pk_fma_f32 v[10:11], v[2:3], v[10:11], 0 op_sel_hi:[0,1,0]
	v_pk_fma_f32 v[10:11], v[4:5], v[12:13], v[10:11] op_sel_hi:[0,1,1]
	v_div_scale_f32 v5, s[48:49], v3, v3, v11
	v_rcp_f32_e32 v6, v5
	v_ashrrev_i32_e32 v1, 31, v0
	v_lshl_add_u64 v[0:1], v[0:1], 3, v[124:125]
	v_fma_f32 v8, -v5, v6, 1.0
	v_fmac_f32_e32 v6, v8, v6
	v_div_scale_f32 v8, vcc, v11, v3, v11
	v_mul_f32_e32 v12, v8, v6
	v_fma_f32 v13, -v5, v12, v8
	v_fmac_f32_e32 v12, v13, v6
	v_fma_f32 v5, -v5, v12, v8
	v_div_fmas_f32 v5, v5, v6, v12
	v_div_fixup_f32 v11, v5, v3, v11
	v_div_scale_f32 v5, s[48:49], v3, v3, v10
	v_rcp_f32_e32 v6, v5
	s_nop 0
	v_fma_f32 v8, -v5, v6, 1.0
	v_fmac_f32_e32 v6, v8, v6
	v_div_scale_f32 v8, vcc, v10, v3, v10
	v_mul_f32_e32 v12, v8, v6
	v_fma_f32 v13, -v5, v12, v8
	v_fmac_f32_e32 v12, v13, v6
	v_fma_f32 v5, -v5, v12, v8
	v_div_fmas_f32 v5, v5, v6, v12
	v_div_fixup_f32 v10, v5, v3, v10
	global_store_dwordx2 v[0:1], v[10:11], off
	v_cvt_f32_f16_sdwa v11, v7 dst_sel:DWORD dst_unused:UNUSED_PAD src0_sel:WORD_1
	v_cvt_f32_f16_e32 v10, v7
	v_pk_fma_f32 v[6:7], v[2:3], v[10:11], 0 op_sel_hi:[0,1,0]
	v_cvt_f32_f16_sdwa v11, v9 dst_sel:DWORD dst_unused:UNUSED_PAD src0_sel:WORD_1
	v_cvt_f32_f16_e32 v10, v9
	v_pk_fma_f32 v[4:5], v[4:5], v[10:11], v[6:7] op_sel_hi:[0,1,1]
	v_div_scale_f32 v2, s[48:49], v3, v3, v5
	v_rcp_f32_e32 v6, v2
	s_nop 0
	v_fma_f32 v7, -v2, v6, 1.0
	v_fmac_f32_e32 v6, v7, v6
	v_div_scale_f32 v7, vcc, v5, v3, v5
	v_mul_f32_e32 v8, v7, v6
	v_fma_f32 v9, -v2, v8, v7
	v_fmac_f32_e32 v8, v9, v6
	v_fma_f32 v2, -v2, v8, v7
	v_div_fmas_f32 v2, v2, v6, v8
	v_div_fixup_f32 v5, v2, v3, v5
	v_div_scale_f32 v2, s[48:49], v3, v3, v4
	v_rcp_f32_e32 v6, v2
	s_nop 0
	v_fma_f32 v7, -v2, v6, 1.0
	v_fmac_f32_e32 v6, v7, v6
	v_div_scale_f32 v7, vcc, v4, v3, v4
	v_mul_f32_e32 v8, v7, v6
	v_fma_f32 v9, -v2, v8, v7
	v_fmac_f32_e32 v8, v9, v6
	v_fma_f32 v2, -v2, v8, v7
	v_div_fmas_f32 v2, v2, v6, v8
	v_div_fixup_f32 v4, v2, v3, v4
	global_store_dwordx2 v[0:1], v[4:5], off offset:512
	v_mov_b32_e32 v1, 0
.LBB29_304:                             ;   in Loop: Header=BB29_16 Depth=1
	s_or_b64 exec, exec, s[46:47]
	s_movk_i32 s0, 0x47
	v_cmp_gt_i32_e32 vcc, s0, v1
	s_mov_b64 s[46:47], -1
	s_and_saveexec_b64 s[48:49], vcc
; %bb.305:                              ;   in Loop: Header=BB29_16 Depth=1
	v_cmp_eq_u32_e32 vcc, 0, v1
	s_orn2_b64 s[46:47], vcc, exec
; %bb.306:                              ;   in Loop: Header=BB29_16 Depth=1
	s_or_b64 exec, exec, s[48:49]
	s_and_b64 exec, exec, s[46:47]
	s_cbranch_execz .LBB29_14
; %bb.307:                              ;   in Loop: Header=BB29_16 Depth=1
	v_accvgpr_read_b32 v0, a35
	v_add_u32_e32 v0, v0, v97
	v_cmp_gt_i32_e32 vcc, s96, v0
	v_mov_b32_e32 v1, 0x47
	s_and_saveexec_b64 s[46:47], vcc
	s_cbranch_execz .LBB29_309
; %bb.308:                              ;   in Loop: Header=BB29_16 Depth=1
	v_accvgpr_read_b32 v1, a58
	ds_read2_b32 v[2:3], v1 offset0:128 offset1:129
	ds_read_b32 v4, v1 offset:8960
	v_accvgpr_read_b32 v1, a74
	ds_read2st64_b32 v[6:7], v1 offset1:1
	ds_read2st64_b32 v[8:9], v1 offset0:33 offset1:34
	v_readlane_b32 s0, v255, 0
	s_waitcnt lgkmcnt(1)
	v_cvt_f32_f16_sdwa v11, v6 dst_sel:DWORD dst_unused:UNUSED_PAD src0_sel:WORD_1
	v_cvt_f32_f16_e32 v10, v6
	s_waitcnt lgkmcnt(0)
	v_cvt_f32_f16_sdwa v13, v8 dst_sel:DWORD dst_unused:UNUSED_PAD src0_sel:WORD_1
	v_cvt_f32_f16_e32 v12, v8
	v_mad_u64_u32 v[0:1], s[48:49], s0, v0, v[48:49]
	v_pk_fma_f32 v[10:11], v[2:3], v[10:11], 0 op_sel_hi:[0,1,0]
	v_pk_fma_f32 v[10:11], v[4:5], v[12:13], v[10:11] op_sel_hi:[0,1,1]
	v_div_scale_f32 v5, s[48:49], v3, v3, v11
	v_rcp_f32_e32 v6, v5
	v_ashrrev_i32_e32 v1, 31, v0
	v_lshl_add_u64 v[0:1], v[0:1], 3, v[124:125]
	v_fma_f32 v8, -v5, v6, 1.0
	v_fmac_f32_e32 v6, v8, v6
	v_div_scale_f32 v8, vcc, v11, v3, v11
	v_mul_f32_e32 v12, v8, v6
	v_fma_f32 v13, -v5, v12, v8
	v_fmac_f32_e32 v12, v13, v6
	v_fma_f32 v5, -v5, v12, v8
	v_div_fmas_f32 v5, v5, v6, v12
	v_div_fixup_f32 v11, v5, v3, v11
	v_div_scale_f32 v5, s[48:49], v3, v3, v10
	v_rcp_f32_e32 v6, v5
	s_nop 0
	v_fma_f32 v8, -v5, v6, 1.0
	v_fmac_f32_e32 v6, v8, v6
	v_div_scale_f32 v8, vcc, v10, v3, v10
	v_mul_f32_e32 v12, v8, v6
	v_fma_f32 v13, -v5, v12, v8
	v_fmac_f32_e32 v12, v13, v6
	v_fma_f32 v5, -v5, v12, v8
	v_div_fmas_f32 v5, v5, v6, v12
	v_div_fixup_f32 v10, v5, v3, v10
	global_store_dwordx2 v[0:1], v[10:11], off
	v_cvt_f32_f16_sdwa v11, v7 dst_sel:DWORD dst_unused:UNUSED_PAD src0_sel:WORD_1
	v_cvt_f32_f16_e32 v10, v7
	v_pk_fma_f32 v[6:7], v[2:3], v[10:11], 0 op_sel_hi:[0,1,0]
	v_cvt_f32_f16_sdwa v11, v9 dst_sel:DWORD dst_unused:UNUSED_PAD src0_sel:WORD_1
	v_cvt_f32_f16_e32 v10, v9
	v_pk_fma_f32 v[4:5], v[4:5], v[10:11], v[6:7] op_sel_hi:[0,1,1]
	v_div_scale_f32 v2, s[48:49], v3, v3, v5
	v_rcp_f32_e32 v6, v2
	s_nop 0
	v_fma_f32 v7, -v2, v6, 1.0
	v_fmac_f32_e32 v6, v7, v6
	v_div_scale_f32 v7, vcc, v5, v3, v5
	v_mul_f32_e32 v8, v7, v6
	v_fma_f32 v9, -v2, v8, v7
	v_fmac_f32_e32 v8, v9, v6
	v_fma_f32 v2, -v2, v8, v7
	v_div_fmas_f32 v2, v2, v6, v8
	v_div_fixup_f32 v5, v2, v3, v5
	v_div_scale_f32 v2, s[48:49], v3, v3, v4
	v_rcp_f32_e32 v6, v2
	s_nop 0
	v_fma_f32 v7, -v2, v6, 1.0
	v_fmac_f32_e32 v6, v7, v6
	v_div_scale_f32 v7, vcc, v4, v3, v4
	v_mul_f32_e32 v8, v7, v6
	v_fma_f32 v9, -v2, v8, v7
	v_fmac_f32_e32 v8, v9, v6
	v_fma_f32 v2, -v2, v8, v7
	v_div_fmas_f32 v2, v2, v6, v8
	v_div_fixup_f32 v4, v2, v3, v4
	global_store_dwordx2 v[0:1], v[4:5], off offset:512
	v_mov_b32_e32 v1, 0
.LBB29_309:                             ;   in Loop: Header=BB29_16 Depth=1
	s_or_b64 exec, exec, s[46:47]
	s_movk_i32 s0, 0x47
	v_cmp_gt_i32_e32 vcc, s0, v1
	s_mov_b64 s[46:47], -1
	s_and_saveexec_b64 s[48:49], vcc
; %bb.310:                              ;   in Loop: Header=BB29_16 Depth=1
	v_cmp_eq_u32_e32 vcc, 0, v1
	s_orn2_b64 s[46:47], vcc, exec
; %bb.311:                              ;   in Loop: Header=BB29_16 Depth=1
	s_or_b64 exec, exec, s[48:49]
	s_and_b64 exec, exec, s[46:47]
	s_cbranch_execz .LBB29_14
; %bb.312:                              ;   in Loop: Header=BB29_16 Depth=1
	v_accvgpr_read_b32 v0, a36
	v_add_u32_e32 v0, v0, v97
	v_cmp_gt_i32_e32 vcc, s96, v0
	v_mov_b32_e32 v1, 0x47
	s_and_saveexec_b64 s[46:47], vcc
	s_cbranch_execz .LBB29_314
; %bb.313:                              ;   in Loop: Header=BB29_16 Depth=1
	v_accvgpr_read_b32 v1, a59
	ds_read2_b32 v[2:3], v1 offset0:128 offset1:129
	ds_read_b32 v4, v1 offset:8960
	v_accvgpr_read_b32 v1, a75
	ds_read2st64_b32 v[6:7], v1 offset1:1
	ds_read2st64_b32 v[8:9], v1 offset0:33 offset1:34
	v_readlane_b32 s0, v255, 0
	s_waitcnt lgkmcnt(1)
	v_cvt_f32_f16_sdwa v11, v6 dst_sel:DWORD dst_unused:UNUSED_PAD src0_sel:WORD_1
	v_cvt_f32_f16_e32 v10, v6
	s_waitcnt lgkmcnt(0)
	v_cvt_f32_f16_sdwa v13, v8 dst_sel:DWORD dst_unused:UNUSED_PAD src0_sel:WORD_1
	v_cvt_f32_f16_e32 v12, v8
	v_mad_u64_u32 v[0:1], s[48:49], s0, v0, v[48:49]
	v_pk_fma_f32 v[10:11], v[2:3], v[10:11], 0 op_sel_hi:[0,1,0]
	v_pk_fma_f32 v[10:11], v[4:5], v[12:13], v[10:11] op_sel_hi:[0,1,1]
	v_div_scale_f32 v5, s[48:49], v3, v3, v11
	v_rcp_f32_e32 v6, v5
	v_ashrrev_i32_e32 v1, 31, v0
	v_lshl_add_u64 v[0:1], v[0:1], 3, v[124:125]
	v_fma_f32 v8, -v5, v6, 1.0
	v_fmac_f32_e32 v6, v8, v6
	v_div_scale_f32 v8, vcc, v11, v3, v11
	v_mul_f32_e32 v12, v8, v6
	v_fma_f32 v13, -v5, v12, v8
	v_fmac_f32_e32 v12, v13, v6
	v_fma_f32 v5, -v5, v12, v8
	v_div_fmas_f32 v5, v5, v6, v12
	v_div_fixup_f32 v11, v5, v3, v11
	v_div_scale_f32 v5, s[48:49], v3, v3, v10
	v_rcp_f32_e32 v6, v5
	s_nop 0
	v_fma_f32 v8, -v5, v6, 1.0
	v_fmac_f32_e32 v6, v8, v6
	v_div_scale_f32 v8, vcc, v10, v3, v10
	v_mul_f32_e32 v12, v8, v6
	v_fma_f32 v13, -v5, v12, v8
	v_fmac_f32_e32 v12, v13, v6
	v_fma_f32 v5, -v5, v12, v8
	v_div_fmas_f32 v5, v5, v6, v12
	v_div_fixup_f32 v10, v5, v3, v10
	global_store_dwordx2 v[0:1], v[10:11], off
	v_cvt_f32_f16_sdwa v11, v7 dst_sel:DWORD dst_unused:UNUSED_PAD src0_sel:WORD_1
	v_cvt_f32_f16_e32 v10, v7
	v_pk_fma_f32 v[6:7], v[2:3], v[10:11], 0 op_sel_hi:[0,1,0]
	v_cvt_f32_f16_sdwa v11, v9 dst_sel:DWORD dst_unused:UNUSED_PAD src0_sel:WORD_1
	v_cvt_f32_f16_e32 v10, v9
	v_pk_fma_f32 v[4:5], v[4:5], v[10:11], v[6:7] op_sel_hi:[0,1,1]
	v_div_scale_f32 v2, s[48:49], v3, v3, v5
	v_rcp_f32_e32 v6, v2
	s_nop 0
	v_fma_f32 v7, -v2, v6, 1.0
	v_fmac_f32_e32 v6, v7, v6
	v_div_scale_f32 v7, vcc, v5, v3, v5
	v_mul_f32_e32 v8, v7, v6
	v_fma_f32 v9, -v2, v8, v7
	v_fmac_f32_e32 v8, v9, v6
	v_fma_f32 v2, -v2, v8, v7
	v_div_fmas_f32 v2, v2, v6, v8
	v_div_fixup_f32 v5, v2, v3, v5
	v_div_scale_f32 v2, s[48:49], v3, v3, v4
	v_rcp_f32_e32 v6, v2
	s_nop 0
	v_fma_f32 v7, -v2, v6, 1.0
	v_fmac_f32_e32 v6, v7, v6
	v_div_scale_f32 v7, vcc, v4, v3, v4
	v_mul_f32_e32 v8, v7, v6
	v_fma_f32 v9, -v2, v8, v7
	v_fmac_f32_e32 v8, v9, v6
	v_fma_f32 v2, -v2, v8, v7
	v_div_fmas_f32 v2, v2, v6, v8
	v_div_fixup_f32 v4, v2, v3, v4
	global_store_dwordx2 v[0:1], v[4:5], off offset:512
	v_mov_b32_e32 v1, 0
.LBB29_314:                             ;   in Loop: Header=BB29_16 Depth=1
	s_or_b64 exec, exec, s[46:47]
	s_movk_i32 s0, 0x47
	v_cmp_gt_i32_e32 vcc, s0, v1
	s_mov_b64 s[46:47], -1
	s_and_saveexec_b64 s[48:49], vcc
; %bb.315:                              ;   in Loop: Header=BB29_16 Depth=1
	v_cmp_eq_u32_e32 vcc, 0, v1
	s_orn2_b64 s[46:47], vcc, exec
; %bb.316:                              ;   in Loop: Header=BB29_16 Depth=1
	s_or_b64 exec, exec, s[48:49]
	s_and_b64 exec, exec, s[46:47]
	s_cbranch_execz .LBB29_14
; %bb.317:                              ;   in Loop: Header=BB29_16 Depth=1
	v_accvgpr_read_b32 v0, a37
	v_add_u32_e32 v0, v0, v97
	v_cmp_gt_i32_e32 vcc, s96, v0
	s_and_b64 exec, exec, vcc
	s_cbranch_execz .LBB29_14
; %bb.318:                              ;   in Loop: Header=BB29_16 Depth=1
	v_accvgpr_read_b32 v1, a60
	ds_read2_b32 v[2:3], v1 offset0:128 offset1:129
	ds_read_b32 v4, v1 offset:8960
	v_accvgpr_read_b32 v1, a76
	ds_read2st64_b32 v[6:7], v1 offset1:1
	ds_read2st64_b32 v[8:9], v1 offset0:33 offset1:34
	v_readlane_b32 s0, v255, 0
	s_waitcnt lgkmcnt(1)
	v_cvt_f32_f16_sdwa v11, v6 dst_sel:DWORD dst_unused:UNUSED_PAD src0_sel:WORD_1
	v_cvt_f32_f16_e32 v10, v6
	s_waitcnt lgkmcnt(0)
	v_cvt_f32_f16_sdwa v13, v8 dst_sel:DWORD dst_unused:UNUSED_PAD src0_sel:WORD_1
	v_cvt_f32_f16_e32 v12, v8
	v_mad_u64_u32 v[0:1], s[46:47], s0, v0, v[48:49]
	v_pk_fma_f32 v[10:11], v[2:3], v[10:11], 0 op_sel_hi:[0,1,0]
	v_pk_fma_f32 v[10:11], v[4:5], v[12:13], v[10:11] op_sel_hi:[0,1,1]
	v_div_scale_f32 v5, s[46:47], v3, v3, v11
	v_rcp_f32_e32 v6, v5
	v_ashrrev_i32_e32 v1, 31, v0
	v_lshl_add_u64 v[0:1], v[0:1], 3, v[124:125]
	v_fma_f32 v8, -v5, v6, 1.0
	v_fmac_f32_e32 v6, v8, v6
	v_div_scale_f32 v8, vcc, v11, v3, v11
	v_mul_f32_e32 v12, v8, v6
	v_fma_f32 v13, -v5, v12, v8
	v_fmac_f32_e32 v12, v13, v6
	v_fma_f32 v5, -v5, v12, v8
	v_div_fmas_f32 v5, v5, v6, v12
	v_div_fixup_f32 v11, v5, v3, v11
	v_div_scale_f32 v5, s[46:47], v3, v3, v10
	v_rcp_f32_e32 v6, v5
	s_nop 0
	v_fma_f32 v8, -v5, v6, 1.0
	v_fmac_f32_e32 v6, v8, v6
	v_div_scale_f32 v8, vcc, v10, v3, v10
	v_mul_f32_e32 v12, v8, v6
	v_fma_f32 v13, -v5, v12, v8
	v_fmac_f32_e32 v12, v13, v6
	v_fma_f32 v5, -v5, v12, v8
	v_div_fmas_f32 v5, v5, v6, v12
	v_div_fixup_f32 v10, v5, v3, v10
	global_store_dwordx2 v[0:1], v[10:11], off
	v_cvt_f32_f16_sdwa v11, v7 dst_sel:DWORD dst_unused:UNUSED_PAD src0_sel:WORD_1
	v_cvt_f32_f16_e32 v10, v7
	v_pk_fma_f32 v[6:7], v[2:3], v[10:11], 0 op_sel_hi:[0,1,0]
	v_cvt_f32_f16_sdwa v11, v9 dst_sel:DWORD dst_unused:UNUSED_PAD src0_sel:WORD_1
	v_cvt_f32_f16_e32 v10, v9
	v_pk_fma_f32 v[4:5], v[4:5], v[10:11], v[6:7] op_sel_hi:[0,1,1]
	v_div_scale_f32 v2, s[46:47], v3, v3, v5
	v_rcp_f32_e32 v6, v2
	s_nop 0
	v_fma_f32 v7, -v2, v6, 1.0
	v_fmac_f32_e32 v6, v7, v6
	v_div_scale_f32 v7, vcc, v5, v3, v5
	v_mul_f32_e32 v8, v7, v6
	v_fma_f32 v9, -v2, v8, v7
	v_fmac_f32_e32 v8, v9, v6
	v_fma_f32 v2, -v2, v8, v7
	v_div_fmas_f32 v2, v2, v6, v8
	v_div_fixup_f32 v5, v2, v3, v5
	v_div_scale_f32 v2, s[46:47], v3, v3, v4
	v_rcp_f32_e32 v6, v2
	s_nop 0
	v_fma_f32 v7, -v2, v6, 1.0
	v_fmac_f32_e32 v6, v7, v6
	v_div_scale_f32 v7, vcc, v4, v3, v4
	v_mul_f32_e32 v8, v7, v6
	v_fma_f32 v9, -v2, v8, v7
	v_fmac_f32_e32 v8, v9, v6
	v_fma_f32 v2, -v2, v8, v7
	v_div_fmas_f32 v2, v2, v6, v8
	v_div_fixup_f32 v4, v2, v3, v4
	global_store_dwordx2 v[0:1], v[4:5], off offset:512
	s_branch .LBB29_14
.LBB29_319:
	v_readlane_b32 s16, v254, 26
	v_readlane_b32 s36, v254, 48
	;; [unrolled: 1-line block ×17, first 2 shown]
	v_accvgpr_read_b32 v213, a12
	v_accvgpr_read_b32 v214, a13
	;; [unrolled: 1-line block ×4, first 2 shown]
	v_readlane_b32 s24, v254, 34
	v_readlane_b32 s25, v254, 35
	;; [unrolled: 1-line block ×7, first 2 shown]
	s_andn2_b64 vcc, exec, s[44:45]
	s_cbranch_vccnz .LBB29_12
.LBB29_320:
	v_readlane_b32 s2, v254, 7
	s_abs_i32 s0, s2
	v_cvt_f32_u32_e32 v0, s0
	s_sub_i32 s5, 0, s0
	s_abs_i32 s3, s56
	s_xor_b32 s1, s56, s2
	v_rcp_iflag_f32_e32 v0, v0
	s_ashr_i32 s1, s1, 31
	v_readlane_b32 s9, v254, 6
	s_mov_b64 s[40:41], 0
	v_mul_f32_e32 v0, 0x4f7ffffe, v0
	v_cvt_u32_f32_e32 v0, v0
	s_nop 0
	v_readfirstlane_b32 s6, v0
	s_mul_i32 s5, s5, s6
	s_mul_hi_u32 s5, s6, s5
	s_add_i32 s6, s6, s5
	s_mul_hi_u32 s5, s3, s6
	s_mul_i32 s6, s5, s0
	s_sub_i32 s3, s3, s6
	s_add_i32 s7, s5, 1
	s_sub_i32 s6, s3, s0
	s_cmp_ge_u32 s3, s0
	s_cselect_b32 s5, s7, s5
	s_cselect_b32 s3, s6, s3
	s_add_i32 s6, s5, 1
	s_cmp_ge_u32 s3, s0
	s_cselect_b32 s0, s6, s5
	s_abs_i32 s5, s9
	v_cvt_f32_u32_e32 v0, s5
	s_xor_b32 s0, s0, s1
	s_sub_i32 s6, 0, s5
	s_sub_i32 s3, s0, s1
	v_rcp_iflag_f32_e32 v0, v0
	s_mul_i32 s0, s3, s2
	s_sub_i32 s0, s56, s0
	s_abs_i32 s4, s0
	v_mul_f32_e32 v0, 0x4f7ffffe, v0
	v_cvt_u32_f32_e32 v0, v0
	s_xor_b32 s1, s0, s9
	s_ashr_i32 s1, s1, 31
	v_readlane_b32 s2, v254, 3
	v_readfirstlane_b32 s7, v0
	s_mul_i32 s6, s6, s7
	s_mul_hi_u32 s6, s7, s6
	s_add_i32 s7, s7, s6
	s_mul_hi_u32 s6, s4, s7
	s_mul_i32 s7, s6, s5
	s_sub_i32 s4, s4, s7
	s_add_i32 s8, s6, 1
	s_sub_i32 s7, s4, s5
	s_cmp_ge_u32 s4, s5
	s_cselect_b32 s6, s8, s6
	s_cselect_b32 s4, s7, s4
	s_add_i32 s7, s6, 1
	s_cmp_ge_u32 s4, s5
	s_cselect_b32 s4, s7, s6
	s_abs_i32 s5, s2
	v_cvt_f32_u32_e32 v0, s5
	s_xor_b32 s4, s4, s1
	s_sub_i32 s7, 0, s5
	s_sub_i32 s6, s4, s1
	v_rcp_iflag_f32_e32 v0, v0
	s_mul_i32 s1, s6, s9
	s_sub_i32 s1, s0, s1
	s_abs_i32 s4, s1
	v_mul_f32_e32 v0, 0x4f7ffffe, v0
	v_cvt_u32_f32_e32 v0, v0
	s_xor_b32 s0, s1, s2
	s_ashr_i32 s0, s0, 31
	v_readfirstlane_b32 s8, v0
	s_mul_i32 s7, s7, s8
	s_mul_hi_u32 s7, s8, s7
	s_add_i32 s8, s8, s7
	s_mul_hi_u32 s7, s4, s8
	s_mul_i32 s8, s7, s5
	s_sub_i32 s4, s4, s8
	s_add_i32 s9, s7, 1
	s_sub_i32 s8, s4, s5
	s_cmp_ge_u32 s4, s5
	s_cselect_b32 s7, s9, s7
	s_cselect_b32 s4, s8, s4
	s_add_i32 s8, s7, 1
	s_cmp_ge_u32 s4, s5
	s_cselect_b32 s4, s8, s7
	s_xor_b32 s4, s4, s0
	s_sub_i32 s0, s4, s0
	s_mul_i32 s4, s0, s2
	s_sub_i32 s1, s1, s4
	s_abs_i32 s9, s1
	v_readlane_b32 s2, v254, 24
	s_ashr_i32 s7, s3, 31
	s_mul_hi_u32 s8, s9, s2
	s_cmp_eq_u64 s[22:23], 0
	s_cbranch_scc1 .LBB29_322
; %bb.321:
	s_abs_i32 s4, s10
	v_cvt_f32_u32_e32 v0, s4
	s_sub_i32 s10, 0, s4
	s_abs_i32 s5, s3
	v_readlane_b32 s24, v254, 15
	v_rcp_iflag_f32_e32 v0, v0
	v_readlane_b32 s25, v254, 16
	v_mul_f32_e32 v0, 0x4f7ffffe, v0
	v_cvt_u32_f32_e32 v0, v0
	s_nop 0
	v_readfirstlane_b32 s11, v0
	s_mul_i32 s10, s10, s11
	s_mul_hi_u32 s10, s11, s10
	s_add_i32 s11, s11, s10
	s_mul_hi_u32 s10, s5, s11
	s_mul_i32 s10, s10, s4
	s_sub_i32 s5, s5, s10
	s_sub_i32 s10, s5, s4
	s_cmp_ge_u32 s5, s4
	s_cselect_b32 s5, s10, s5
	s_sub_i32 s10, s5, s4
	s_cmp_ge_u32 s5, s4
	s_cselect_b32 s4, s10, s5
	s_xor_b32 s4, s4, s7
	s_sub_i32 s4, s4, s7
	s_ashr_i32 s5, s4, 31
	s_mul_hi_u32 s10, s24, s4
	s_mul_i32 s5, s24, s5
	s_mul_i32 s11, s25, s4
	s_add_i32 s5, s10, s5
	s_add_i32 s5, s5, s11
	s_mul_i32 s4, s24, s4
	s_add_u32 s40, s22, s4
	s_addc_u32 s41, s23, s5
.LBB29_322:
	s_ashr_i32 s11, s1, 31
	v_readlane_b32 s1, v254, 2
	s_mul_i32 s10, s6, s1
	s_add_i32 s10, s10, s0
	v_cmp_le_f32_e64 s[0:1], s37, 0
	s_and_b64 vcc, exec, s[0:1]
	v_mov_b32_e32 v40, 1.0
	s_cbranch_vccnz .LBB29_324
; %bb.323:
	v_readlane_b32 s0, v254, 12
	v_mov_b32_e32 v1, s39
	v_mov_b32_e32 v2, s38
	;; [unrolled: 1-line block ×3, first 2 shown]
	v_sub_co_u32_e32 v0, vcc, s10, v0
	s_add_i32 s0, s10, 1
	v_lshlrev_b32_e32 v0, 1, v0
	v_cndmask_b32_e32 v1, v1, v2, vcc
	v_or_b32_e32 v0, 1, v0
	v_mov_b32_e32 v2, s0
	v_cndmask_b32_e32 v0, v0, v2, vcc
	v_cvt_f32_i32_e32 v0, v0
	v_cmp_neq_f32_e32 vcc, 1.0, v1
	s_mov_b32 s0, 0x3f2aaaab
	s_movk_i32 s4, 0x204
	v_cndmask_b32_e32 v16, 1.0, v0, vcc
	v_cmp_neq_f32_e32 vcc, 0, v16
	s_mov_b32 s1, 0x42b17218
	s_mov_b32 s5, 0x3fb8aa3b
	v_cndmask_b32_e32 v17, 1.0, v1, vcc
	v_frexp_mant_f32_e64 v0, |v17|
	v_cmp_gt_f32_e32 vcc, s0, v0
	s_mov_b32 s0, 0x3f317218
	s_brev_b32 s14, -2
	v_cndmask_b32_e64 v1, 1.0, 2.0, vcc
	v_mul_f32_e32 v0, v0, v1
	v_add_f32_e32 v3, 1.0, v0
	v_rcp_f32_e32 v8, v3
	v_add_f32_e32 v1, -1.0, v3
	v_sub_f32_e32 v5, v0, v1
	v_add_f32_e32 v1, -1.0, v0
	v_mul_f32_e32 v9, v1, v8
	v_mul_f32_e32 v2, v3, v9
	v_fma_f32 v4, v9, v3, -v2
	v_fmac_f32_e32 v4, v9, v5
	v_add_f32_e32 v0, v2, v4
	v_sub_f32_e32 v3, v1, v0
	v_pk_add_f32 v[6:7], v[0:1], v[2:3] neg_lo:[0,1] neg_hi:[0,1]
	v_mov_b32_e32 v5, v0
	v_pk_add_f32 v[0:1], v[6:7], v[4:5] neg_lo:[0,1] neg_hi:[0,1]
	v_mov_b32_e32 v4, 0x3e91f4c4
	v_add_f32_e32 v0, v0, v1
	v_add_f32_e32 v0, v3, v0
	v_mul_f32_e32 v1, v8, v0
	v_add_f32_e32 v0, v9, v1
	v_sub_f32_e32 v2, v0, v9
	v_sub_f32_e32 v10, v1, v2
	v_mul_f32_e32 v1, v0, v0
	v_fma_f32 v3, v0, v0, -v1
	v_add_f32_e32 v2, v10, v10
	v_fmac_f32_e32 v3, v0, v2
	v_add_f32_e32 v2, v1, v3
	v_fmac_f32_e32 v4, 0x3e76c4e1, v2
	v_fmaak_f32 v4, v2, v4, 0x3ecccdef
	v_sub_f32_e32 v1, v2, v1
	v_sub_f32_e32 v11, v3, v1
	v_mul_f32_e32 v1, v2, v4
	v_fma_f32 v3, v2, v4, -v1
	v_fmac_f32_e32 v3, v11, v4
	v_add_f32_e32 v4, v1, v3
	v_add_f32_e32 v5, 0x3f2aaaaa, v4
	v_sub_f32_e32 v1, v4, v1
	v_sub_f32_e32 v1, v3, v1
	v_add_f32_e32 v3, 0xbf2aaaaa, v5
	v_add_f32_e32 v1, 0x31739010, v1
	v_sub_f32_e32 v3, v4, v3
	v_pk_mul_f32 v[6:7], v[0:1], v[2:3]
	v_pk_add_f32 v[8:9], v[0:1], v[2:3]
	v_fma_f32 v4, v2, v0, -v6
	v_fmac_f32_e32 v4, v2, v10
	v_mov_b32_e32 v7, v9
	v_fmac_f32_e32 v4, v11, v0
	v_pk_add_f32 v[2:3], v[6:7], v[4:5]
	v_ldexp_f32 v12, v10, 1
	v_sub_f32_e32 v1, v2, v6
	v_sub_f32_e32 v1, v4, v1
	;; [unrolled: 1-line block ×3, first 2 shown]
	v_add_f32_e32 v7, v9, v4
	v_pk_mul_f32 v[4:5], v[2:3], v[2:3] op_sel:[0,1] op_sel_hi:[1,0]
	v_cvt_f64_f32_e64 v[8:9], |v17|
	v_frexp_exp_i32_f64_e32 v5, v[8:9]
	v_subbrev_co_u32_e32 v5, vcc, 0, v5, vcc
	v_cvt_f32_i32_e32 v5, v5
	v_fma_f32 v6, v2, v3, -v4
	v_fmac_f32_e32 v6, v2, v7
	v_fmac_f32_e32 v6, v1, v3
	v_mul_f32_e32 v2, 0x3f317218, v5
	v_fma_f32 v1, v5, s0, -v2
	v_fmamk_f32 v8, v5, 0xb102e308, v1
	v_ldexp_f32 v9, v0, 1
	v_add_f32_e32 v3, v4, v6
	v_pk_add_f32 v[0:1], v[2:3], v[8:9]
	v_mov_b32_e32 v10, v3
	v_mov_b32_e32 v11, v1
	;; [unrolled: 1-line block ×3, first 2 shown]
	v_pk_add_f32 v[4:5], v[10:11], v[4:5] neg_lo:[0,1] neg_hi:[0,1]
	v_mov_b32_e32 v7, v3
	v_pk_add_f32 v[4:5], v[6:7], v[4:5] neg_lo:[0,1] neg_hi:[0,1]
	v_mov_b32_e32 v9, v0
	v_add_f32_e32 v3, v12, v4
	v_add_f32_e32 v3, v3, v5
	v_pk_add_f32 v[4:5], v[0:1], v[2:3] neg_lo:[0,1] neg_hi:[0,1]
	v_pk_add_f32 v[6:7], v[0:1], v[2:3]
	v_mov_b32_e32 v14, v1
	v_mov_b32_e32 v5, v7
	v_pk_add_f32 v[10:11], v[8:9], v[4:5] neg_lo:[0,1] neg_hi:[0,1]
	v_pk_add_f32 v[4:5], v[8:9], v[4:5]
	v_mov_b32_e32 v2, v3
	v_pk_add_f32 v[8:9], v[4:5], v[0:1] op_sel:[1,0] op_sel_hi:[0,1] neg_lo:[0,1] neg_hi:[0,1]
	v_pk_add_f32 v[12:13], v[6:7], v[8:9] op_sel_hi:[1,0] neg_lo:[0,1] neg_hi:[0,1]
	v_mov_b32_e32 v6, v7
	v_mov_b32_e32 v7, v5
	;; [unrolled: 1-line block ×3, first 2 shown]
	v_pk_add_f32 v[6:7], v[6:7], v[14:15] neg_lo:[0,1] neg_hi:[0,1]
	v_mov_b32_e32 v3, v0
	v_pk_add_f32 v[0:1], v[2:3], v[6:7] neg_lo:[0,1] neg_hi:[0,1]
	v_mov_b32_e32 v12, v10
	v_pk_add_f32 v[2:3], v[12:13], v[0:1]
	v_mov_b32_e32 v11, v5
	v_pk_add_f32 v[6:7], v[2:3], v[2:3] op_sel:[0,1] op_sel_hi:[1,0]
	s_mov_b32 s0, 0x7f800000
	v_pk_add_f32 v[4:5], v[4:5], v[6:7] op_sel:[1,0] op_sel_hi:[0,1]
	v_mov_b32_e32 v3, v4
	v_pk_add_f32 v[8:9], v[2:3], v[10:11] neg_lo:[0,1] neg_hi:[0,1]
	v_mov_b32_e32 v1, v6
	v_sub_f32_e32 v2, v2, v8
	v_pk_add_f32 v[0:1], v[0:1], v[8:9] neg_lo:[0,1] neg_hi:[0,1]
	v_sub_f32_e32 v2, v10, v2
	v_add_f32_e32 v0, v0, v2
	v_add_f32_e32 v0, v0, v1
	v_add_f32_e32 v1, v4, v0
	v_sub_f32_e32 v2, v1, v4
	v_sub_f32_e32 v0, v0, v2
	v_mul_f32_e32 v2, v16, v1
	v_fma_f32 v1, v16, v1, -v2
	v_fmac_f32_e32 v1, v16, v0
	v_add_f32_e32 v0, v2, v1
	v_cmp_class_f32_e64 vcc, v2, s4
	v_sub_f32_e32 v3, v0, v2
	v_sub_f32_e32 v1, v1, v3
	v_cndmask_b32_e32 v0, v0, v2, vcc
	v_mov_b32_e32 v2, 0x37000000
	v_cmp_eq_f32_e32 vcc, s1, v0
	s_mov_b32 s2, s12
	v_cmp_class_f32_e64 s[12:13], v17, s4
	v_cndmask_b32_e32 v2, 0, v2, vcc
	v_sub_f32_e32 v3, v0, v2
	v_mul_f32_e32 v4, 0x3fb8aa3b, v3
	v_fma_f32 v5, v3, s5, -v4
	v_rndne_f32_e32 v6, v4
	v_fmamk_f32 v5, v3, 0x32a5705f, v5
	v_sub_f32_e32 v4, v4, v6
	v_add_f32_e32 v4, v4, v5
	v_exp_f32_e32 v4, v4
	v_cvt_i32_f32_e32 v5, v6
	v_cmp_neq_f32_e64 vcc, |v0|, s0
	s_mov_b32 s0, 0xc2ce8ed0
	s_nop 0
	v_cndmask_b32_e32 v0, 0, v1, vcc
	v_ldexp_f32 v1, v4, v5
	v_cmp_ngt_f32_e32 vcc, s0, v3
	v_add_f32_e32 v0, v2, v0
	v_mov_b32_e32 v2, 0x7f800000
	v_cndmask_b32_e32 v1, 0, v1, vcc
	v_cmp_nlt_f32_e32 vcc, s1, v3
	v_mov_b32_e32 v3, 0x7fc00000
	s_nop 0
	v_cndmask_b32_e32 v1, v2, v1, vcc
	v_fma_f32 v0, v1, v0, v1
	v_cmp_class_f32_e64 vcc, v1, s4
	v_cmp_gt_f32_e64 s[4:5], 0, v16
	s_nop 0
	v_cndmask_b32_e32 v0, v0, v1, vcc
	v_trunc_f32_e32 v1, v16
	v_cmp_eq_f32_e32 vcc, v1, v16
	v_mul_f32_e32 v1, 0.5, v16
	v_trunc_f32_e32 v4, v1
	v_cmp_neq_f32_e64 s[0:1], v4, v1
	s_and_b64 s[0:1], vcc, s[0:1]
	s_nop 0
	v_cndmask_b32_e64 v1, 1.0, v17, s[0:1]
	v_bfi_b32 v0, s14, v0, v1
	v_cndmask_b32_e32 v1, v3, v0, vcc
	v_cmp_gt_f32_e32 vcc, 0, v17
	s_nop 1
	v_cndmask_b32_e32 v0, v0, v1, vcc
	v_cmp_eq_f32_e32 vcc, 0, v17
	s_xor_b64 s[4:5], s[4:5], vcc
	v_cndmask_b32_e64 v1, v2, 0, s[4:5]
	v_cndmask_b32_e64 v2, 0, v17, s[0:1]
	v_bfi_b32 v1, s14, v1, v2
	s_or_b64 vcc, vcc, s[12:13]
	v_cndmask_b32_e32 v0, v0, v1, vcc
	v_cmp_o_f32_e32 vcc, v17, v17
	s_mov_b32 s12, s2
	s_nop 0
	v_cndmask_b32_e32 v40, v3, v0, vcc
.LBB29_324:
	v_readlane_b32 s2, v254, 25
	s_mul_i32 s1, s8, s2
	v_readlane_b32 s0, v254, 23
	s_sub_i32 s1, s9, s1
	s_xor_b32 s0, s11, s0
	s_add_i32 s4, s8, 1
	s_sub_i32 s5, s1, s2
	s_cmp_ge_u32 s1, s2
	s_cselect_b32 s4, s4, s8
	s_cselect_b32 s1, s5, s1
	s_add_i32 s5, s4, 1
	s_cmp_ge_u32 s1, s2
	s_cselect_b32 s1, s5, s4
	s_xor_b32 s1, s1, s0
	s_sub_i32 s4, s1, s0
	s_cmp_eq_u64 s[26:27], 0
	s_cbranch_scc1 .LBB29_326
; %bb.325:
	v_readlane_b32 s0, v254, 0
	s_mul_i32 s0, s3, s0
	s_add_i32 s0, s4, s0
	s_ashr_i32 s1, s0, 31
	s_lshl_b64 s[0:1], s[0:1], 2
	s_add_u32 s0, s26, s0
	s_addc_u32 s1, s27, s1
	v_mov_b32_e32 v0, 0
	global_load_dword v0, v0, s[0:1]
	s_waitcnt vmcnt(0)
	v_ashrrev_i32_e32 v1, 31, v0
	v_lshrrev_b32_e32 v1, 26, v1
	v_add_u32_e32 v0, v0, v1
	v_ashrrev_i32_e32 v0, 6, v0
	v_min_i32_e32 v99, v99, v0
.LBB29_326:
	v_readlane_b32 s8, v254, 8
	v_readlane_b32 s9, v254, 9
	s_mul_i32 s0, s3, s9
	s_ashr_i32 s1, s0, 31
	s_add_u32 s0, s16, s0
	s_mul_i32 s10, s10, s8
	s_addc_u32 s1, s17, s1
	s_ashr_i32 s5, s10, 31
	s_add_u32 s0, s0, s10
	s_addc_u32 s1, s1, s5
	s_lshl_b32 s8, s4, 5
	v_and_b32_e32 v64, 0x3ff, v24
	v_add_u32_e32 v113, s8, v192
	s_mov_b32 s9, 0x10001
	v_lshl_add_u32 v1, v64, 2, 0
	v_cmp_le_i32_e32 vcc, s96, v113
	s_and_saveexec_b64 s[4:5], vcc
	s_xor_b64 s[4:5], exec, s[4:5]
; %bb.327:
	s_movk_i32 s10, 0x210
	v_mad_u32_u24 v0, v192, s10, v1
	v_mov_b32_e32 v2, 0
	ds_write2st64_b32 v0, v2, v2 offset1:1
; %bb.328:
	s_or_saveexec_b64 s[4:5], s[4:5]
	v_mul_lo_u32 v0, v25, s9
	v_lshlrev_b32_e32 v65, 2, v64
	s_xor_b64 exec, exec, s[4:5]
	s_cbranch_execz .LBB29_330
; %bb.329:
	v_mad_u64_u32 v[2:3], s[10:11], v113, s53, v[64:65]
	v_ashrrev_i32_e32 v3, 31, v2
	v_lshl_add_u64 v[2:3], v[2:3], 3, s[0:1]
	global_load_dwordx2 v[4:5], v[2:3], off
	global_load_dwordx2 v[6:7], v[2:3], off offset:512
	v_mul_u32_u24_e32 v2, 0x210, v192
	v_add3_u32 v2, 0, v2, v65
	s_waitcnt vmcnt(1)
	v_cvt_pk_f16_f32 v3, v4, v5
	s_waitcnt vmcnt(0)
	v_cvt_pk_f16_f32 v4, v6, v7
	v_pk_mul_f16 v3, v3, v0
	v_pk_mul_f16 v4, v4, v0
	ds_write2st64_b32 v2, v3, v4 offset1:1
.LBB29_330:
	s_or_b64 exec, exec, s[4:5]
	v_add_u32_e32 v115, s8, v198
	v_cmp_le_i32_e32 vcc, s96, v115
	s_and_saveexec_b64 s[4:5], vcc
	s_xor_b64 s[4:5], exec, s[4:5]
; %bb.331:
	s_movk_i32 s9, 0x210
	v_mad_u32_u24 v2, v198, s9, v1
	v_mov_b32_e32 v3, 0
	ds_write2st64_b32 v2, v3, v3 offset1:1
                                        ; implicit-def: $vgpr198
; %bb.332:
	s_andn2_saveexec_b64 s[4:5], s[4:5]
	s_cbranch_execz .LBB29_334
; %bb.333:
	v_mad_u64_u32 v[2:3], s[10:11], v115, s53, v[64:65]
	v_ashrrev_i32_e32 v3, 31, v2
	v_lshl_add_u64 v[2:3], v[2:3], 3, s[0:1]
	global_load_dwordx2 v[4:5], v[2:3], off
	global_load_dwordx2 v[6:7], v[2:3], off offset:512
	v_mul_u32_u24_e32 v2, 0x210, v198
	v_add3_u32 v2, 0, v2, v65
	s_waitcnt vmcnt(1)
	v_cvt_pk_f16_f32 v3, v4, v5
	s_waitcnt vmcnt(0)
	v_cvt_pk_f16_f32 v4, v6, v7
	v_pk_mul_f16 v3, v3, v0
	v_pk_mul_f16 v4, v4, v0
	ds_write2st64_b32 v2, v3, v4 offset1:1
.LBB29_334:
	s_or_b64 exec, exec, s[4:5]
	v_add_u32_e32 v116, s8, v159
	v_cmp_le_i32_e32 vcc, s96, v116
	s_and_saveexec_b64 s[4:5], vcc
	s_xor_b64 s[4:5], exec, s[4:5]
; %bb.335:
	s_movk_i32 s9, 0x210
	v_mad_u32_u24 v2, v159, s9, v1
	v_mov_b32_e32 v3, 0
	ds_write2st64_b32 v2, v3, v3 offset1:1
                                        ; implicit-def: $vgpr159
; %bb.336:
	s_andn2_saveexec_b64 s[4:5], s[4:5]
	s_cbranch_execz .LBB29_338
; %bb.337:
	v_mad_u64_u32 v[2:3], s[10:11], v116, s53, v[64:65]
	v_ashrrev_i32_e32 v3, 31, v2
	v_lshl_add_u64 v[2:3], v[2:3], 3, s[0:1]
	global_load_dwordx2 v[4:5], v[2:3], off
	global_load_dwordx2 v[6:7], v[2:3], off offset:512
	v_mul_u32_u24_e32 v2, 0x210, v159
	v_add3_u32 v2, 0, v2, v65
	s_waitcnt vmcnt(1)
	v_cvt_pk_f16_f32 v3, v4, v5
	s_waitcnt vmcnt(0)
	v_cvt_pk_f16_f32 v4, v6, v7
	v_pk_mul_f16 v3, v3, v0
	v_pk_mul_f16 v4, v4, v0
	ds_write2st64_b32 v2, v3, v4 offset1:1
.LBB29_338:
	s_or_b64 exec, exec, s[4:5]
	v_add_u32_e32 v117, s8, v158
	v_cmp_le_i32_e32 vcc, s96, v117
	s_and_saveexec_b64 s[4:5], vcc
	s_xor_b64 s[4:5], exec, s[4:5]
; %bb.339:
	s_movk_i32 s9, 0x210
	v_mad_u32_u24 v2, v158, s9, v1
	v_mov_b32_e32 v3, 0
	ds_write2st64_b32 v2, v3, v3 offset1:1
                                        ; implicit-def: $vgpr158
; %bb.340:
	s_andn2_saveexec_b64 s[4:5], s[4:5]
	s_cbranch_execz .LBB29_342
; %bb.341:
	v_mad_u64_u32 v[2:3], s[10:11], v117, s53, v[64:65]
	v_ashrrev_i32_e32 v3, 31, v2
	v_lshl_add_u64 v[2:3], v[2:3], 3, s[0:1]
	global_load_dwordx2 v[4:5], v[2:3], off
	global_load_dwordx2 v[6:7], v[2:3], off offset:512
	v_mul_u32_u24_e32 v2, 0x210, v158
	v_add3_u32 v2, 0, v2, v65
	s_waitcnt vmcnt(1)
	v_cvt_pk_f16_f32 v3, v4, v5
	s_waitcnt vmcnt(0)
	v_cvt_pk_f16_f32 v4, v6, v7
	v_pk_mul_f16 v3, v3, v0
	v_pk_mul_f16 v4, v4, v0
	ds_write2st64_b32 v2, v3, v4 offset1:1
.LBB29_342:
	s_or_b64 exec, exec, s[4:5]
	v_add_u32_e32 v118, s8, v157
	v_cmp_le_i32_e32 vcc, s96, v118
	s_and_saveexec_b64 s[4:5], vcc
	s_xor_b64 s[4:5], exec, s[4:5]
; %bb.343:
	s_movk_i32 s9, 0x210
	v_mad_u32_u24 v2, v157, s9, v1
	v_mov_b32_e32 v3, 0
	ds_write2st64_b32 v2, v3, v3 offset1:1
                                        ; implicit-def: $vgpr157
; %bb.344:
	s_andn2_saveexec_b64 s[4:5], s[4:5]
	s_cbranch_execz .LBB29_346
; %bb.345:
	v_mad_u64_u32 v[2:3], s[10:11], v118, s53, v[64:65]
	v_ashrrev_i32_e32 v3, 31, v2
	v_lshl_add_u64 v[2:3], v[2:3], 3, s[0:1]
	global_load_dwordx2 v[4:5], v[2:3], off
	global_load_dwordx2 v[6:7], v[2:3], off offset:512
	v_mul_u32_u24_e32 v2, 0x210, v157
	v_add3_u32 v2, 0, v2, v65
	s_waitcnt vmcnt(1)
	v_cvt_pk_f16_f32 v3, v4, v5
	s_waitcnt vmcnt(0)
	v_cvt_pk_f16_f32 v4, v6, v7
	v_pk_mul_f16 v3, v3, v0
	v_pk_mul_f16 v4, v4, v0
	ds_write2st64_b32 v2, v3, v4 offset1:1
.LBB29_346:
	s_or_b64 exec, exec, s[4:5]
	v_add_u32_e32 v119, s8, v226
	v_cmp_le_i32_e32 vcc, s96, v119
	s_and_saveexec_b64 s[4:5], vcc
	s_xor_b64 s[4:5], exec, s[4:5]
; %bb.347:
	s_movk_i32 s9, 0x210
	v_mad_u32_u24 v2, v226, s9, v1
	v_mov_b32_e32 v3, 0
	ds_write2st64_b32 v2, v3, v3 offset1:1
                                        ; implicit-def: $vgpr226
; %bb.348:
	s_andn2_saveexec_b64 s[4:5], s[4:5]
	s_cbranch_execz .LBB29_350
; %bb.349:
	v_mad_u64_u32 v[2:3], s[10:11], v119, s53, v[64:65]
	v_ashrrev_i32_e32 v3, 31, v2
	v_lshl_add_u64 v[2:3], v[2:3], 3, s[0:1]
	global_load_dwordx2 v[4:5], v[2:3], off
	global_load_dwordx2 v[6:7], v[2:3], off offset:512
	v_mul_u32_u24_e32 v2, 0x210, v226
	v_add3_u32 v2, 0, v2, v65
	s_waitcnt vmcnt(1)
	v_cvt_pk_f16_f32 v3, v4, v5
	s_waitcnt vmcnt(0)
	v_cvt_pk_f16_f32 v4, v6, v7
	v_pk_mul_f16 v3, v3, v0
	v_pk_mul_f16 v4, v4, v0
	ds_write2st64_b32 v2, v3, v4 offset1:1
.LBB29_350:
	s_or_b64 exec, exec, s[4:5]
	v_add_u32_e32 v120, s8, v225
	v_cmp_le_i32_e32 vcc, s96, v120
	s_and_saveexec_b64 s[4:5], vcc
	s_xor_b64 s[4:5], exec, s[4:5]
; %bb.351:
	s_movk_i32 s9, 0x210
	v_mad_u32_u24 v2, v225, s9, v1
	v_mov_b32_e32 v3, 0
	ds_write2st64_b32 v2, v3, v3 offset1:1
                                        ; implicit-def: $vgpr225
; %bb.352:
	s_andn2_saveexec_b64 s[4:5], s[4:5]
	s_cbranch_execz .LBB29_354
; %bb.353:
	v_mad_u64_u32 v[2:3], s[10:11], v120, s53, v[64:65]
	v_ashrrev_i32_e32 v3, 31, v2
	v_lshl_add_u64 v[2:3], v[2:3], 3, s[0:1]
	global_load_dwordx2 v[4:5], v[2:3], off
	global_load_dwordx2 v[6:7], v[2:3], off offset:512
	v_mul_u32_u24_e32 v2, 0x210, v225
	v_add3_u32 v2, 0, v2, v65
	s_waitcnt vmcnt(1)
	v_cvt_pk_f16_f32 v3, v4, v5
	s_waitcnt vmcnt(0)
	v_cvt_pk_f16_f32 v4, v6, v7
	v_pk_mul_f16 v3, v3, v0
	v_pk_mul_f16 v4, v4, v0
	ds_write2st64_b32 v2, v3, v4 offset1:1
.LBB29_354:
	s_or_b64 exec, exec, s[4:5]
	v_add_u32_e32 v121, s8, v224
	v_cmp_le_i32_e32 vcc, s96, v121
	s_and_saveexec_b64 s[4:5], vcc
	s_xor_b64 s[4:5], exec, s[4:5]
; %bb.355:
	s_movk_i32 s8, 0x210
	v_mad_u32_u24 v0, v224, s8, v1
	v_mov_b32_e32 v1, 0
	ds_write2st64_b32 v0, v1, v1 offset1:1
                                        ; implicit-def: $vgpr224
                                        ; implicit-def: $vgpr0
; %bb.356:
	s_andn2_saveexec_b64 s[4:5], s[4:5]
	s_cbranch_execz .LBB29_358
; %bb.357:
	v_mad_u64_u32 v[2:3], s[8:9], v121, s53, v[64:65]
	v_ashrrev_i32_e32 v3, 31, v2
	v_lshl_add_u64 v[2:3], v[2:3], 3, s[0:1]
	global_load_dwordx2 v[4:5], v[2:3], off
	global_load_dwordx2 v[6:7], v[2:3], off offset:512
	v_mul_u32_u24_e32 v1, 0x210, v224
	v_add3_u32 v1, 0, v1, v65
	s_waitcnt vmcnt(1)
	v_cvt_pk_f16_f32 v2, v4, v5
	s_waitcnt vmcnt(0)
	v_cvt_pk_f16_f32 v3, v6, v7
	v_pk_mul_f16 v2, v2, v0
	v_pk_mul_f16 v0, v3, v0
	ds_write2st64_b32 v1, v2, v0 offset1:1
.LBB29_358:
	s_or_b64 exec, exec, s[4:5]
	v_readlane_b32 s4, v254, 13
	v_readlane_b32 s5, v254, 14
	s_mul_i32 s0, s4, s7
	s_mul_hi_u32 s1, s4, s3
	s_add_i32 s0, s1, s0
	s_mul_i32 s1, s5, s3
	v_readlane_b32 s8, v254, 19
	s_add_i32 s0, s0, s1
	s_mul_i32 s1, s4, s3
	v_readlane_b32 s11, v254, 22
	s_add_u32 s1, s20, s1
	s_mul_i32 s4, s6, s11
	s_addc_u32 s0, s21, s0
	s_ashr_i32 s5, s4, 31
	s_add_u32 s33, s1, s4
	v_readlane_b32 s9, v254, 20
	s_addc_u32 s50, s0, s5
	s_mul_i32 s0, s8, s7
	s_mul_hi_u32 s1, s8, s3
	s_add_i32 s0, s1, s0
	s_mul_i32 s1, s9, s3
	s_add_i32 s0, s0, s1
	s_mul_i32 s1, s8, s3
	v_readlane_b32 s2, v254, 17
	v_readlane_b32 s3, v254, 18
	s_add_u32 s1, s18, s1
	s_mul_i32 s6, s6, s3
	s_addc_u32 s0, s19, s0
	s_ashr_i32 s4, s6, 31
	s_add_u32 s3, s1, s6
	v_lshrrev_b32_e32 v1, 3, v64
	s_addc_u32 s51, s0, s4
	v_and_b32_e32 v32, 0x1ff0, v214
	s_movk_i32 s0, 0x210
	v_and_b32_e32 v106, 15, v64
	v_and_b32_e32 v1, 0x7e, v1
	v_mad_u32_u24 v0, v32, s0, 0
	v_mul_u32_u24_e32 v114, 0x210, v106
	v_lshlrev_b32_e32 v107, 2, v1
	v_add3_u32 v0, v0, v114, v107
	s_waitcnt lgkmcnt(0)
	s_barrier
	ds_read2_b64 v[28:31], v0 offset1:4
	ds_read2_b64 v[24:27], v0 offset0:8 offset1:12
	ds_read2_b64 v[20:23], v0 offset0:16 offset1:20
	;; [unrolled: 1-line block ×7, first 2 shown]
	v_add_u32_e32 v123, -1, v99
	v_cmp_ge_i32_e32 vcc, s52, v123
	s_mov_b32 s53, 0
	s_and_b64 vcc, exec, vcc
	v_or_b32_e32 v112, v32, v106
	v_lshlrev_b32_e32 v42, 1, v64
	v_mbcnt_lo_u32_b32 v111, -1, 0
	v_and_b32_e32 v109, 8, v214
	v_lshrrev_b32_e32 v122, 5, v64
	v_lshrrev_b32_e32 v110, 2, v64
	v_lshlrev_b32_e32 v108, 1, v106
	v_readlane_b32 s10, v254, 21
	s_waitcnt lgkmcnt(0)
	s_barrier
	s_cbranch_vccnz .LBB29_370
; %bb.359:
	v_mov_b32_e32 v45, 0
	v_mov_b32_e32 v43, v45
	v_mul_u32_u24_e32 v32, 0x90, v192
	v_readlane_b32 s6, v254, 10
	v_lshl_add_u64 v[46:47], s[40:41], 0, v[42:43]
	v_add3_u32 v43, 0, v32, v42
	v_mul_hi_u32 v32, s6, v113
	v_readlane_b32 s7, v254, 11
	v_add_u32_e32 v32, v113, v32
	s_cmp_lg_u64 s[40:41], 0
	v_lshrrev_b32_e32 v32, s7, v32
	v_mul_lo_u32 v32, v32, s96
	v_sub_u32_e32 v32, v113, v32
	v_mad_i64_i32 v[48:49], s[4:5], v32, s12, 0
	v_mul_hi_u32 v32, s6, v115
	v_add_u32_e32 v32, v115, v32
	v_lshrrev_b32_e32 v32, s7, v32
	v_mul_lo_u32 v32, v32, s96
	v_sub_u32_e32 v32, v115, v32
	v_mad_i64_i32 v[50:51], s[4:5], v32, s12, 0
	v_mul_hi_u32 v32, s6, v116
	v_add_u32_e32 v32, v116, v32
	;; [unrolled: 6-line block ×7, first 2 shown]
	v_lshrrev_b32_e32 v32, s7, v32
	v_mul_lo_u32 v32, v32, s96
	v_sub_u32_e32 v32, v121, v32
	v_mad_i64_i32 v[62:63], s[4:5], v32, s12, 0
	v_mbcnt_hi_u32_b32 v32, -1, v111
	v_and_b32_e32 v35, 64, v32
	v_add_u32_e32 v35, 64, v35
	v_xor_b32_e32 v36, 32, v32
	v_cmp_lt_i32_e32 vcc, v36, v35
	s_cselect_b64 s[44:45], -1, 0
	s_lshl_b32 s19, s62, 3
	v_cndmask_b32_e32 v36, v32, v36, vcc
	v_lshlrev_b32_e32 v131, 2, v36
	v_xor_b32_e32 v36, 16, v32
	v_cmp_lt_i32_e32 vcc, v36, v35
	s_lshl_b32 s36, s90, 3
	v_and_b32_e32 v33, 16, v213
	v_cndmask_b32_e32 v32, v32, v36, vcc
	v_lshl_add_u32 v36, v192, 1, v122
	v_mul_lo_u32 v66, s62, v36
	v_mul_lo_u32 v82, s90, v36
	v_add_u32_e32 v68, s19, v66
	v_add_u32_e32 v84, s36, v82
	v_lshlrev_b32_e32 v132, 2, v32
	v_and_b32_e32 v32, 0x7c, v65
	v_add_u32_e32 v70, s19, v68
	v_add_u32_e32 v86, s36, v84
	v_mul_u32_u24_e32 v37, 0x210, v36
	v_lshlrev_b32_e32 v38, 2, v32
	v_add_u32_e32 v72, s19, v70
	v_add_u32_e32 v88, s36, v86
	v_add3_u32 v133, 0, v37, v38
	v_add_u32_e32 v74, s19, v72
	v_and_b32_e32 v38, 0xfc, v110
	v_add_u32_e32 v90, s36, v88
	s_movk_i32 s18, 0x90
	v_mul_u32_u24_e32 v34, 0x210, v33
	s_movk_i32 s4, 0x420
	v_add_u32_e32 v76, s19, v74
	v_add_u32_e32 v39, v38, v33
	v_add_u16_e32 v33, v38, v33
	v_add_u32_e32 v92, s36, v90
	s_mov_b32 s2, s12
	v_mad_u32_u24 v35, v109, s4, 0
	v_cmp_gt_u32_e64 s[38:39], 64, v36
	v_cmp_gt_u32_e64 s[4:5], 56, v36
	;; [unrolled: 1-line block ×7, first 2 shown]
	v_add_u32_e32 v78, s19, v76
	v_cmp_gt_u32_e64 s[16:17], 8, v36
	v_mad_u32_u24 v41, v112, s18, 0
	v_lshrrev_b16_e32 v33, 1, v33
	v_add_u32_e32 v94, s36, v92
	v_mul_u32_u24_e32 v36, 0x210, v38
	v_or_b32_e32 v38, 3, v110
	s_mov_b64 s[42:43], src_private_base
	v_add_u32_e32 v80, s19, v78
	v_add3_u32 v37, 0, v114, v107
	v_lshl_add_u32 v33, v33, 2, v41
	v_lshl_add_u32 v41, v39, 1, v41
	v_add_u32_e32 v96, s36, v94
	v_mul_u32_u24_e32 v38, 0x210, v38
	v_cmp_lt_u32_e64 s[0:1], 63, v64
	v_add_u32_e32 v124, 0x240, v43
	v_add_u32_e32 v125, 0x480, v43
	;; [unrolled: 1-line block ×7, first 2 shown]
	v_ashrrev_i32_e32 v67, 31, v66
	v_add_u32_e32 v134, 0x1080, v133
	v_ashrrev_i32_e32 v69, 31, v68
	v_add_u32_e32 v135, 0x2100, v133
	;; [unrolled: 2-line block ×8, first 2 shown]
	v_add_u32_e32 v142, 0x44, v41
	v_cmp_gt_u32_e64 s[18:19], 64, v39
	v_cmp_gt_u32_e64 s[20:21], 63, v39
	;; [unrolled: 1-line block ×8, first 2 shown]
	v_ashrrev_i32_e32 v83, 31, v82
	v_ashrrev_i32_e32 v85, 31, v84
	v_ashrrev_i32_e32 v87, 31, v86
	v_ashrrev_i32_e32 v89, 31, v88
	v_ashrrev_i32_e32 v91, 31, v90
	v_ashrrev_i32_e32 v93, 31, v92
	v_ashrrev_i32_e32 v95, 31, v94
	v_ashrrev_i32_e32 v97, 31, v96
	v_add3_u32 v143, v35, v36, v108
	v_add3_u32 v144, v35, v38, v108
	v_mov_b32_e32 v98, v40
	v_mov_b32_e32 v99, v40
	s_lshl_b32 s46, s52, 6
	v_mov_b32_e32 v162, 0xfeffffff
	v_lshlrev_b32_e32 v44, 2, v32
	v_add_u32_e32 v145, v37, v34
	v_add_u32_e32 v146, 0x8400, v33
	s_mov_b32 s42, 0x3fb8aa3b
	s_mov_b32 s54, 0xc2ce8ed0
	s_mov_b32 s55, 0x42b17218
	s_mov_b32 s56, 0xc1a00000
	s_mov_b32 s57, 0x5040100
	v_mov_b32_e32 v147, 0
	v_mov_b32_e32 v206, v45
	;; [unrolled: 1-line block ×39, first 2 shown]
.LBB29_360:                             ; =>This Inner Loop Header: Depth=1
	v_cndmask_b32_e64 v32, 0, 1, s[44:45]
	v_cmp_ne_u32_e64 s[36:37], 1, v32
	s_andn2_b64 vcc, exec, s[44:45]
	s_ashr_i32 s47, s46, 31
	s_cbranch_vccnz .LBB29_366
; %bb.361:                              ;   in Loop: Header=BB29_360 Depth=1
	s_and_saveexec_b64 s[48:49], s[0:1]
	s_xor_b64 s[48:49], exec, s[48:49]
	s_cbranch_execz .LBB29_363
; %bb.362:                              ;   in Loop: Header=BB29_360 Depth=1
	ds_write_b16 v43, v45 offset:33792
	ds_write_b16 v124, v45 offset:33792
	ds_write_b16 v125, v45 offset:33792
	ds_write_b16 v126, v45 offset:33792
.LBB29_363:                             ;   in Loop: Header=BB29_360 Depth=1
	s_or_saveexec_b64 s[48:49], s[48:49]
	v_mov_b32_e32 v32, 0
	v_mov_b32_e32 v33, 0
	;; [unrolled: 1-line block ×4, first 2 shown]
	s_xor_b64 exec, exec, s[48:49]
	s_cbranch_execz .LBB29_365
; %bb.364:                              ;   in Loop: Header=BB29_360 Depth=1
	v_lshl_add_u64 v[32:33], s[46:47], 1, v[46:47]
	v_lshl_add_u64 v[34:35], v[48:49], 1, v[32:33]
	v_lshl_add_u64 v[36:37], v[50:51], 1, v[32:33]
	v_lshl_add_u64 v[38:39], v[52:53], 1, v[32:33]
	v_lshl_add_u64 v[166:167], v[54:55], 1, v[32:33]
	v_lshl_add_u64 v[170:171], v[56:57], 1, v[32:33]
	v_lshl_add_u64 v[176:177], v[58:59], 1, v[32:33]
	v_lshl_add_u64 v[182:183], v[60:61], 1, v[32:33]
	v_lshl_add_u64 v[186:187], v[62:63], 1, v[32:33]
	global_load_ushort v41, v[34:35], off
	s_nop 0
	global_load_ushort v36, v[36:37], off
	s_nop 0
	;; [unrolled: 2-line block ×3, first 2 shown]
	global_load_ushort v38, v[166:167], off
	global_load_ushort v32, v[170:171], off
	;; [unrolled: 1-line block ×5, first 2 shown]
	s_waitcnt vmcnt(7)
	ds_write_b16 v43, v41 offset:33792
	s_waitcnt vmcnt(6)
	ds_write_b16 v124, v36 offset:33792
	s_waitcnt vmcnt(5)
	ds_write_b16 v125, v37 offset:33792
	s_waitcnt vmcnt(4)
	ds_write_b16 v126, v38 offset:33792
.LBB29_365:                             ;   in Loop: Header=BB29_360 Depth=1
	s_or_b64 exec, exec, s[48:49]
	s_waitcnt vmcnt(3)
	ds_write_b16 v127, v32 offset:33792
	s_waitcnt vmcnt(2)
	ds_write_b16 v128, v33 offset:33792
	;; [unrolled: 2-line block ×4, first 2 shown]
.LBB29_366:                             ;   in Loop: Header=BB29_360 Depth=1
	s_mul_hi_i32 s49, s46, s62
	s_mul_i32 s48, s46, s62
	s_lshl_b64 s[48:49], s[48:49], 2
	s_add_u32 s48, s3, s48
	s_addc_u32 s49, s51, s49
	v_lshl_add_u64 v[32:33], v[66:67], 2, s[48:49]
	v_lshl_add_u64 v[32:33], v[32:33], 0, v[44:45]
	v_mov_b32_e32 v38, s43
	v_cndmask_b32_e64 v33, v38, v33, s[38:39]
	v_cndmask_b32_e64 v32, v147, v32, s[38:39]
	scratch_store_dwordx4 off, v[206:209], off
	flat_load_dwordx4 v[32:35], v[32:33]
	v_lshl_add_u64 v[36:37], v[68:69], 2, s[48:49]
	v_lshl_add_u64 v[36:37], v[36:37], 0, v[44:45]
	v_cndmask_b32_e64 v37, v38, v37, s[4:5]
	v_cndmask_b32_e64 v36, v147, v36, s[4:5]
	v_add_u32_e32 v41, 0x4000, v145
	s_and_b64 vcc, exec, s[36:37]
	s_waitcnt vmcnt(0) lgkmcnt(0)
	ds_write_b128 v133, v[32:35]
	flat_load_dwordx4 v[32:35], v[36:37]
	v_lshl_add_u64 v[36:37], v[70:71], 2, s[48:49]
	v_lshl_add_u64 v[36:37], v[36:37], 0, v[44:45]
	v_cndmask_b32_e64 v37, v38, v37, s[6:7]
	v_cndmask_b32_e64 v36, v147, v36, s[6:7]
	s_waitcnt vmcnt(0) lgkmcnt(0)
	ds_write_b128 v134, v[32:35]
	flat_load_dwordx4 v[32:35], v[36:37]
	v_lshl_add_u64 v[36:37], v[72:73], 2, s[48:49]
	v_lshl_add_u64 v[36:37], v[36:37], 0, v[44:45]
	v_cndmask_b32_e64 v37, v38, v37, s[8:9]
	v_cndmask_b32_e64 v36, v147, v36, s[8:9]
	s_waitcnt vmcnt(0) lgkmcnt(0)
	ds_write_b128 v135, v[32:35]
	flat_load_dwordx4 v[32:35], v[36:37]
	v_lshl_add_u64 v[36:37], v[74:75], 2, s[48:49]
	v_lshl_add_u64 v[36:37], v[36:37], 0, v[44:45]
	v_cndmask_b32_e64 v37, v38, v37, s[10:11]
	v_cndmask_b32_e64 v36, v147, v36, s[10:11]
	s_waitcnt vmcnt(0) lgkmcnt(0)
	ds_write_b128 v136, v[32:35]
	flat_load_dwordx4 v[32:35], v[36:37]
	v_lshl_add_u64 v[36:37], v[76:77], 2, s[48:49]
	v_lshl_add_u64 v[36:37], v[36:37], 0, v[44:45]
	v_cndmask_b32_e64 v37, v38, v37, s[12:13]
	v_cndmask_b32_e64 v36, v147, v36, s[12:13]
	s_waitcnt vmcnt(0) lgkmcnt(0)
	ds_write_b128 v137, v[32:35]
	flat_load_dwordx4 v[32:35], v[36:37]
	v_lshl_add_u64 v[36:37], v[78:79], 2, s[48:49]
	v_lshl_add_u64 v[36:37], v[36:37], 0, v[44:45]
	v_cndmask_b32_e64 v37, v38, v37, s[14:15]
	v_cndmask_b32_e64 v36, v147, v36, s[14:15]
	s_waitcnt vmcnt(0) lgkmcnt(0)
	ds_write_b128 v138, v[32:35]
	flat_load_dwordx4 v[32:35], v[36:37]
	v_lshl_add_u64 v[36:37], v[80:81], 2, s[48:49]
	v_lshl_add_u64 v[36:37], v[36:37], 0, v[44:45]
	v_cndmask_b32_e64 v37, v38, v37, s[16:17]
	v_cndmask_b32_e64 v36, v147, v36, s[16:17]
	s_waitcnt vmcnt(0) lgkmcnt(0)
	ds_write_b128 v139, v[32:35]
	flat_load_dwordx4 v[32:35], v[36:37]
	s_waitcnt vmcnt(0) lgkmcnt(0)
	ds_write_b128 v140, v[32:35]
	s_waitcnt lgkmcnt(0)
	s_barrier
	ds_read2_b64 v[32:35], v145 offset1:4
	ds_read2_b64 v[36:39], v41 offset0:64 offset1:68
	s_waitcnt lgkmcnt(1)
	v_mfma_f32_16x16x16_f16 a[0:3], v[32:33], v[28:29], 0
	s_waitcnt lgkmcnt(0)
	v_mfma_f32_16x16x16_f16 a[4:7], v[36:37], v[28:29], 0
	v_mfma_f32_16x16x16_f16 a[0:3], v[34:35], v[30:31], a[0:3]
	ds_read2_b64 v[32:35], v145 offset0:8 offset1:12
	v_mfma_f32_16x16x16_f16 a[4:7], v[38:39], v[30:31], a[4:7]
	ds_read2_b64 v[36:39], v41 offset0:72 offset1:76
	s_waitcnt lgkmcnt(1)
	v_mfma_f32_16x16x16_f16 a[0:3], v[32:33], v[24:25], a[0:3]
	s_waitcnt lgkmcnt(0)
	v_mfma_f32_16x16x16_f16 a[4:7], v[36:37], v[24:25], a[4:7]
	v_mfma_f32_16x16x16_f16 a[0:3], v[34:35], v[26:27], a[0:3]
	ds_read2_b64 v[32:35], v145 offset0:16 offset1:20
	v_mfma_f32_16x16x16_f16 a[4:7], v[38:39], v[26:27], a[4:7]
	;; [unrolled: 8-line block ×7, first 2 shown]
	ds_read2_b64 v[36:39], v41 offset0:120 offset1:124
	s_waitcnt lgkmcnt(0)
	s_barrier
	v_mfma_f32_16x16x16_f16 a[0:3], v[32:33], v[0:1], a[0:3]
	v_mfma_f32_16x16x16_f16 a[4:7], v[36:37], v[0:1], a[4:7]
	v_mfma_f32_16x16x16_f16 a[0:3], v[34:35], v[2:3], a[0:3]
	v_mfma_f32_16x16x16_f16 a[4:7], v[38:39], v[2:3], a[4:7]
	s_cbranch_vccnz .LBB29_368
; %bb.367:                              ;   in Loop: Header=BB29_360 Depth=1
	ds_read2_b32 v[166:167], v146 offset1:1
	ds_read_b32 v163, v141 offset:33792
	ds_read_b32 v182, v142 offset:33792
	s_nop 2
	v_accvgpr_read_b32 v39, a3
	v_accvgpr_read_b32 v38, a2
	v_mov_b32_e32 v41, v40
	s_waitcnt lgkmcnt(2)
	v_cvt_f32_f16_e32 v170, v167
	v_cvt_f32_f16_sdwa v171, v167 dst_sel:DWORD dst_unused:UNUSED_PAD src0_sel:WORD_1
	v_cvt_f32_f16_e32 v176, v166
	v_cvt_f32_f16_sdwa v177, v166 dst_sel:DWORD dst_unused:UNUSED_PAD src0_sel:WORD_1
	s_waitcnt lgkmcnt(1)
	v_cvt_f32_f16_sdwa v167, v163 dst_sel:DWORD dst_unused:UNUSED_PAD src0_sel:WORD_1
	v_cvt_f32_f16_e32 v166, v163
	v_pk_fma_f32 v[38:39], v[40:41], v[170:171], v[38:39]
	s_waitcnt lgkmcnt(0)
	v_cvt_f32_f16_sdwa v171, v182 dst_sel:DWORD dst_unused:UNUSED_PAD src0_sel:WORD_1
	v_cvt_f32_f16_e32 v170, v182
	v_accvgpr_read_b32 v35, a7
	v_accvgpr_read_b32 v37, a1
	;; [unrolled: 1-line block ×6, first 2 shown]
	v_pk_fma_f32 v[36:37], v[98:99], v[176:177], v[36:37]
	v_pk_fma_f32 v[32:33], v[98:99], v[166:167], v[32:33]
	v_accvgpr_write_b32 a0, v36
	v_pk_fma_f32 v[34:35], v[40:41], v[170:171], v[34:35]
	v_accvgpr_write_b32 a1, v37
	v_accvgpr_write_b32 a4, v32
	;; [unrolled: 1-line block ×7, first 2 shown]
.LBB29_368:                             ;   in Loop: Header=BB29_360 Depth=1
	s_nop 5
	v_accvgpr_read_b32 v37, a3
	v_accvgpr_read_b32 v34, a0
	v_add_f32_e32 v32, 0x40051340, v34
	v_max_f32_e32 v33, v162, v162
	v_max_f32_e32 v32, v33, v32
	v_accvgpr_read_b32 v35, a1
	v_cndmask_b32_e64 v32, v162, v32, s[18:19]
	v_add_f32_e32 v33, 0x40051340, v35
	v_max_f32_e32 v38, v32, v32
	v_max_f32_e32 v33, v38, v33
	v_accvgpr_read_b32 v36, a2
	v_cndmask_b32_e64 v32, v32, v33, s[20:21]
	v_add_f32_e32 v33, 0x40051340, v36
	v_max_f32_e32 v38, v32, v32
	v_max_f32_e32 v33, v38, v33
	v_cndmask_b32_e64 v32, v32, v33, s[22:23]
	v_add_f32_e32 v33, 0x40051340, v37
	v_max_f32_e32 v38, v32, v32
	v_accvgpr_read_b32 v189, a7
	v_max_f32_e32 v33, v38, v33
	v_accvgpr_read_b32 v186, a4
	v_cndmask_b32_e64 v32, v32, v33, s[24:25]
	v_add_f32_e32 v33, 0x40051340, v186
	v_max_f32_e32 v38, v32, v32
	v_max_f32_e32 v33, v38, v33
	v_accvgpr_read_b32 v187, a5
	v_cndmask_b32_e64 v32, v32, v33, s[26:27]
	v_add_f32_e32 v33, 0x40051340, v187
	v_max_f32_e32 v38, v32, v32
	;; [unrolled: 5-line block ×3, first 2 shown]
	v_max_f32_e32 v33, v38, v33
	v_cndmask_b32_e64 v32, v32, v33, s[30:31]
	v_add_f32_e32 v33, 0x40051340, v189
	v_max_f32_e32 v38, v32, v32
	v_max_f32_e32 v33, v38, v33
	v_cndmask_b32_e64 v32, v32, v33, s[34:35]
	ds_bpermute_b32 v33, v131, v32
	v_max_f32_e32 v32, v32, v32
	s_mul_hi_i32 s37, s46, s90
	s_mul_i32 s36, s46, s90
	s_lshl_b64 s[36:37], s[36:37], 2
	s_waitcnt lgkmcnt(0)
	v_max_f32_e32 v33, v33, v33
	v_max_f32_e32 v32, v32, v33
	ds_bpermute_b32 v33, v132, v32
	s_add_u32 s36, s33, s36
	s_addc_u32 s37, s50, s37
	scratch_store_dwordx4 off, v[206:209], off
	s_add_i32 s52, s52, 1
	s_waitcnt lgkmcnt(0)
	v_max_f32_e32 v33, v33, v33
	v_max_f32_e32 v41, v32, v33
	v_sub_f32_e32 v32, v34, v41
	v_mul_f32_e32 v33, 0x3fb8aa3b, v32
	v_fma_f32 v34, v32, s42, -v33
	v_rndne_f32_e32 v38, v33
	v_fmac_f32_e32 v34, 0x32a5705f, v32
	v_sub_f32_e32 v33, v33, v38
	v_add_f32_e32 v33, v33, v34
	v_exp_f32_e32 v33, v33
	v_cvt_i32_f32_e32 v34, v38
	v_cmp_ngt_f32_e32 vcc, s54, v32
	v_sub_f32_e32 v162, v162, v41
	s_add_i32 s46, s46, 64
	v_ldexp_f32 v33, v33, v34
	v_cndmask_b32_e32 v33, 0, v33, vcc
	v_cmp_nlt_f32_e32 vcc, s55, v32
	s_nop 1
	v_cndmask_b32_e32 v32, v148, v33, vcc
	v_cndmask_b32_e64 v34, 0, v32, s[18:19]
	v_sub_f32_e32 v32, v35, v41
	v_mul_f32_e32 v33, 0x3fb8aa3b, v32
	v_fma_f32 v35, v32, s42, -v33
	v_rndne_f32_e32 v38, v33
	v_fmac_f32_e32 v35, 0x32a5705f, v32
	v_sub_f32_e32 v33, v33, v38
	v_add_f32_e32 v33, v33, v35
	v_exp_f32_e32 v33, v33
	v_cvt_i32_f32_e32 v35, v38
	v_cmp_ngt_f32_e32 vcc, s54, v32
	v_ldexp_f32 v33, v33, v35
	s_nop 0
	v_cndmask_b32_e32 v33, 0, v33, vcc
	v_cmp_nlt_f32_e32 vcc, s55, v32
	s_nop 1
	v_cndmask_b32_e32 v32, v148, v33, vcc
	v_mov_b32_e32 v33, s53
	v_add_f32_e32 v38, v32, v34
	v_cndmask_b32_e64 v35, v33, v32, s[20:21]
	v_sub_f32_e32 v32, v36, v41
	v_mul_f32_e32 v36, 0x3fb8aa3b, v32
	v_cndmask_b32_e64 v33, v34, v38, s[20:21]
	v_fma_f32 v38, v32, s42, -v36
	v_rndne_f32_e32 v39, v36
	v_fmac_f32_e32 v38, 0x32a5705f, v32
	v_sub_f32_e32 v36, v36, v39
	v_add_f32_e32 v36, v36, v38
	v_exp_f32_e32 v36, v36
	v_cvt_i32_f32_e32 v38, v39
	v_cmp_ngt_f32_e32 vcc, s54, v32
	v_ldexp_f32 v36, v36, v38
	s_nop 0
	v_cndmask_b32_e32 v36, 0, v36, vcc
	v_cmp_nlt_f32_e32 vcc, s55, v32
	v_mov_b32_e32 v32, s53
	s_nop 0
	v_cndmask_b32_e32 v36, v148, v36, vcc
	v_add_f32_e32 v39, v33, v36
	v_cndmask_b32_e64 v38, v32, v36, s[22:23]
	v_cndmask_b32_e64 v32, v33, v39, s[22:23]
	v_sub_f32_e32 v33, v37, v41
	v_mul_f32_e32 v36, 0x3fb8aa3b, v33
	v_fma_f32 v37, v33, s42, -v36
	v_rndne_f32_e32 v39, v36
	v_fmac_f32_e32 v37, 0x32a5705f, v33
	v_sub_f32_e32 v36, v36, v39
	v_add_f32_e32 v36, v36, v37
	v_exp_f32_e32 v36, v36
	v_cvt_i32_f32_e32 v37, v39
	v_cmp_ngt_f32_e32 vcc, s54, v33
	v_ldexp_f32 v36, v36, v37
	s_nop 0
	v_cndmask_b32_e32 v36, 0, v36, vcc
	v_cmp_nlt_f32_e32 vcc, s55, v33
	v_mov_b32_e32 v33, s53
	s_nop 0
	v_cndmask_b32_e32 v36, v148, v36, vcc
	v_add_f32_e32 v37, v32, v36
	v_cndmask_b32_e64 v39, v33, v36, s[24:25]
	v_cndmask_b32_e64 v33, v32, v37, s[24:25]
	v_sub_f32_e32 v32, v186, v41
	v_mul_f32_e32 v36, 0x3fb8aa3b, v32
	v_fma_f32 v37, v32, s42, -v36
	v_rndne_f32_e32 v163, v36
	v_fmac_f32_e32 v37, 0x32a5705f, v32
	v_sub_f32_e32 v36, v36, v163
	v_add_f32_e32 v36, v36, v37
	v_exp_f32_e32 v36, v36
	v_cvt_i32_f32_e32 v37, v163
	v_cmp_ngt_f32_e32 vcc, s54, v32
	v_mov_b32_e32 v186, s43
	v_cvt_pk_f16_f32 v39, v38, v39
	v_ldexp_f32 v36, v36, v37
	v_cndmask_b32_e32 v36, 0, v36, vcc
	v_cmp_nlt_f32_e32 vcc, s55, v32
	v_mov_b32_e32 v32, s53
	v_cvt_pk_f16_f32 v38, v34, v35
	v_cndmask_b32_e32 v36, v148, v36, vcc
	v_add_f32_e32 v37, v36, v33
	v_cndmask_b32_e64 v32, v32, v36, s[26:27]
	v_cndmask_b32_e64 v36, v33, v37, s[26:27]
	v_sub_f32_e32 v33, v187, v41
	v_mul_f32_e32 v37, 0x3fb8aa3b, v33
	v_fma_f32 v163, v33, s42, -v37
	v_rndne_f32_e32 v166, v37
	v_fmac_f32_e32 v163, 0x32a5705f, v33
	v_sub_f32_e32 v37, v37, v166
	v_add_f32_e32 v37, v37, v163
	v_exp_f32_e32 v37, v37
	v_cvt_i32_f32_e32 v163, v166
	v_cmp_ngt_f32_e32 vcc, s54, v33
	v_ldexp_f32 v37, v37, v163
	s_nop 0
	v_cndmask_b32_e32 v37, 0, v37, vcc
	v_cmp_nlt_f32_e32 vcc, s55, v33
	v_mov_b32_e32 v33, s53
	s_nop 0
	v_cndmask_b32_e32 v37, v148, v37, vcc
	v_add_f32_e32 v163, v37, v36
	v_cndmask_b32_e64 v33, v33, v37, s[28:29]
	v_cndmask_b32_e64 v37, v36, v163, s[28:29]
	v_sub_f32_e32 v36, v188, v41
	v_mul_f32_e32 v163, 0x3fb8aa3b, v36
	v_fma_f32 v166, v36, s42, -v163
	v_rndne_f32_e32 v167, v163
	v_fmac_f32_e32 v166, 0x32a5705f, v36
	v_sub_f32_e32 v163, v163, v167
	v_add_f32_e32 v163, v163, v166
	v_exp_f32_e32 v163, v163
	v_cvt_i32_f32_e32 v166, v167
	v_cmp_ngt_f32_e32 vcc, s54, v36
	v_ldexp_f32 v163, v163, v166
	s_nop 0
	v_cndmask_b32_e32 v163, 0, v163, vcc
	v_cmp_nlt_f32_e32 vcc, s55, v36
	v_mov_b32_e32 v36, s53
	s_nop 0
	;; [unrolled: 20-line block ×3, first 2 shown]
	v_cndmask_b32_e32 v166, v148, v166, vcc
	v_add_f32_e32 v170, v166, v163
	v_cndmask_b32_e64 v167, v37, v166, s[34:35]
	v_cndmask_b32_e64 v37, v163, v170, s[34:35]
	v_mul_f32_e32 v163, 0x3fb8aa3b, v162
	v_fma_f32 v166, v162, s42, -v163
	v_rndne_f32_e32 v170, v163
	v_fmac_f32_e32 v166, 0x32a5705f, v162
	v_sub_f32_e32 v163, v163, v170
	v_add_f32_e32 v163, v163, v166
	v_exp_f32_e32 v163, v163
	v_cvt_i32_f32_e32 v166, v170
	v_cmp_ngt_f32_e32 vcc, s54, v162
	v_ldexp_f32 v163, v163, v166
	s_nop 0
	v_cndmask_b32_e32 v163, 0, v163, vcc
	v_cmp_nlt_f32_e32 vcc, s55, v162
	s_nop 1
	v_cndmask_b32_e32 v163, v148, v163, vcc
	v_cmp_le_f32_e32 vcc, s56, v162
	s_nop 1
	v_cndmask_b32_e32 v162, 0, v163, vcc
	v_fmac_f32_e32 v37, v104, v162
	v_cvt_f16_f32_e32 v104, v162
	v_cmp_lt_i32_e32 vcc, s52, v123
	s_and_b64 vcc, exec, vcc
	v_mul_u32_u24_e32 v104, 0x10001, v104
	v_pk_mul_f16 v170, v100, v104
	v_pk_mul_f16 v163, v101, v104
	v_lshl_add_u64 v[100:101], v[82:83], 2, s[36:37]
	v_lshl_add_u64 v[100:101], v[100:101], 0, v[44:45]
	v_cndmask_b32_e64 v177, v186, v101, s[38:39]
	v_cndmask_b32_e64 v176, v147, v100, s[38:39]
	v_lshl_add_u64 v[100:101], v[84:85], 2, s[36:37]
	v_lshl_add_u64 v[100:101], v[100:101], 0, v[44:45]
	v_cndmask_b32_e64 v183, v186, v101, s[4:5]
	v_cndmask_b32_e64 v182, v147, v100, s[4:5]
	;; [unrolled: 4-line block ×5, first 2 shown]
	v_lshl_add_u64 v[100:101], v[92:93], 2, s[36:37]
	v_lshl_add_u64 v[100:101], v[100:101], 0, v[44:45]
	v_pk_mul_f16 v171, v103, v104
	v_pk_mul_f16 v166, v102, v104
	;; [unrolled: 1-line block ×30, first 2 shown]
	v_cndmask_b32_e64 v105, v186, v101, s[12:13]
	v_cndmask_b32_e64 v104, v147, v100, s[12:13]
	v_lshl_add_u64 v[100:101], v[94:95], 2, s[36:37]
	v_lshl_add_u64 v[102:103], v[96:97], 2, s[36:37]
	;; [unrolled: 1-line block ×4, first 2 shown]
	v_cndmask_b32_e64 v101, v186, v101, s[14:15]
	v_cndmask_b32_e64 v103, v186, v103, s[16:17]
	flat_load_dwordx4 v[186:189], v[176:177]
	v_cndmask_b32_e64 v100, v147, v100, s[14:15]
	v_cndmask_b32_e64 v102, v147, v102, s[16:17]
	v_cvt_f32_f16_e32 v193, v184
	v_cvt_f32_f16_sdwa v198, v172 dst_sel:DWORD dst_unused:UNUSED_PAD src0_sel:WORD_1
	v_cvt_f32_f16_e32 v200, v157
	v_cvt_f32_f16_sdwa v157, v157 dst_sel:DWORD dst_unused:UNUSED_PAD src0_sel:WORD_1
	;; [unrolled: 2-line block ×6, first 2 shown]
	s_waitcnt vmcnt(0) lgkmcnt(0)
	ds_write_b128 v133, v[186:189]
	flat_load_dwordx4 v[186:189], v[182:183]
	s_waitcnt vmcnt(0) lgkmcnt(0)
	ds_write_b128 v134, v[186:189]
	flat_load_dwordx4 v[186:189], v[190:191]
	v_cvt_f32_f16_e32 v190, v180
	v_cvt_f32_f16_sdwa v191, v180 dst_sel:DWORD dst_unused:UNUSED_PAD src0_sel:WORD_1
	s_waitcnt vmcnt(0) lgkmcnt(0)
	ds_write_b128 v135, v[186:189]
	flat_load_dwordx4 v[186:189], v[194:195]
	v_cvt_f32_f16_sdwa v194, v184 dst_sel:DWORD dst_unused:UNUSED_PAD src0_sel:WORD_1
	v_cvt_f32_f16_e32 v195, v178
	s_waitcnt vmcnt(0) lgkmcnt(0)
	ds_write_b128 v136, v[186:189]
	flat_load_dwordx4 v[186:189], v[196:197]
	v_cvt_f32_f16_sdwa v196, v178 dst_sel:DWORD dst_unused:UNUSED_PAD src0_sel:WORD_1
	v_cvt_f32_f16_e32 v197, v172
	s_waitcnt vmcnt(0) lgkmcnt(0)
	ds_write_b128 v137, v[186:189]
	flat_load_dwordx4 v[186:189], v[104:105]
	v_cvt_f32_f16_e32 v104, v170
	v_cvt_f32_f16_sdwa v105, v170 dst_sel:DWORD dst_unused:UNUSED_PAD src0_sel:WORD_1
	v_accvgpr_write_b32 a2, v104
	v_accvgpr_write_b32 a3, v105
	s_waitcnt vmcnt(0) lgkmcnt(0)
	ds_write_b128 v138, v[186:189]
	flat_load_dwordx4 v[186:189], v[100:101]
	s_waitcnt vmcnt(0) lgkmcnt(0)
	ds_write_b128 v139, v[186:189]
	flat_load_dwordx4 v[100:103], v[102:103]
	v_cvt_f32_f16_e32 v186, v168
	v_cvt_f32_f16_sdwa v187, v168 dst_sel:DWORD dst_unused:UNUSED_PAD src0_sel:WORD_1
	v_cvt_f32_f16_e32 v188, v174
	v_cvt_f32_f16_sdwa v189, v174 dst_sel:DWORD dst_unused:UNUSED_PAD src0_sel:WORD_1
	s_waitcnt vmcnt(0) lgkmcnt(0)
	ds_write_b128 v140, v[100:103]
	s_waitcnt lgkmcnt(0)
	s_barrier
	ds_read_u16 v100, v143 offset:528
	ds_read_u16 v101, v143 offset:1056
	v_cvt_f32_f16_e32 v102, v171
	v_cvt_f32_f16_sdwa v103, v171 dst_sel:DWORD dst_unused:UNUSED_PAD src0_sel:WORD_1
	ds_read_u16 v170, v144
	ds_read_u16 v171, v144 offset:32
	v_accvgpr_write_b32 a0, v102
	v_accvgpr_write_b32 a1, v103
	s_waitcnt lgkmcnt(1)
	v_perm_b32 v101, v170, v101, s57
	ds_read_u16 v170, v143
	ds_read_u16 v176, v143 offset:32
	ds_read_u16 v102, v143 offset:16896
	;; [unrolled: 1-line block ×5, first 2 shown]
	s_waitcnt lgkmcnt(5)
	v_perm_b32 v100, v100, v170, s57
	s_nop 1
	v_mfma_f32_16x16x16_f16 a[0:3], v[100:101], v[38:39], a[0:3]
	s_nop 7
	v_accvgpr_read_b32 v34, a0
	v_accvgpr_read_b32 v35, a1
	v_accvgpr_read_b32 v100, a2
	v_accvgpr_read_b32 v101, a3
	v_cvt_f16_f32_e32 v34, v34
	v_cvt_f16_f32_e32 v35, v35
	;; [unrolled: 1-line block ×4, first 2 shown]
	v_cvt_f32_f16_e32 v170, v34
	v_cvt_f32_f16_e32 v177, v35
	v_cvt_f32_f16_e32 v182, v100
	v_cvt_f32_f16_e32 v183, v101
	s_waitcnt lgkmcnt(0)
	v_perm_b32 v101, v105, v104, s57
	v_perm_b32 v100, v103, v102, s57
	v_cvt_pk_f16_f32 v35, v36, v167
	v_cvt_pk_f16_f32 v34, v32, v33
	v_accvgpr_write_b32 a0, v170
	v_accvgpr_write_b32 a1, v177
	;; [unrolled: 1-line block ×4, first 2 shown]
	v_cvt_f32_f16_e32 v104, v166
	v_cvt_f32_f16_sdwa v105, v166 dst_sel:DWORD dst_unused:UNUSED_PAD src0_sel:WORD_1
	v_mfma_f32_16x16x16_f16 a[0:3], v[100:101], v[34:35], a[0:3]
	ds_read_u16 v101, v143 offset:560
	ds_read_u16 v102, v143 offset:1088
	v_cvt_f32_f16_e32 v166, v163
	v_cvt_f32_f16_sdwa v163, v163 dst_sel:DWORD dst_unused:UNUSED_PAD src0_sel:WORD_1
	v_cvt_f32_f16_e32 v182, v164
	v_cvt_f32_f16_sdwa v183, v164 dst_sel:DWORD dst_unused:UNUSED_PAD src0_sel:WORD_1
	s_waitcnt lgkmcnt(0)
	v_perm_b32 v103, v171, v102, s57
	v_perm_b32 v102, v101, v176, s57
	v_accvgpr_read_b32 v32, a0
	v_accvgpr_read_b32 v33, a1
	;; [unrolled: 1-line block ×4, first 2 shown]
	v_accvgpr_write_b32 a0, v104
	v_accvgpr_write_b32 a1, v105
	;; [unrolled: 1-line block ×4, first 2 shown]
	ds_read_u16 v105, v143 offset:16928
	ds_read_u16 v163, v143 offset:17456
	;; [unrolled: 1-line block ×4, first 2 shown]
	v_mfma_f32_16x16x16_f16 a[0:3], v[102:103], v[38:39], a[0:3]
	v_cvt_f32_f16_e32 v176, v161
	v_cvt_f32_f16_sdwa v161, v161 dst_sel:DWORD dst_unused:UNUSED_PAD src0_sel:WORD_1
	v_cvt_pk_f16_f32 v100, v36, v100
	s_nop 4
	v_accvgpr_read_b32 v101, a0
	v_accvgpr_read_b32 v102, a1
	;; [unrolled: 1-line block ×4, first 2 shown]
	v_cvt_f16_f32_e32 v101, v101
	v_cvt_f16_f32_e32 v102, v102
	v_cvt_f16_f32_e32 v103, v103
	v_cvt_f16_f32_e32 v104, v104
	v_cvt_f32_f16_e32 v101, v101
	v_cvt_f32_f16_e32 v170, v102
	;; [unrolled: 1-line block ×4, first 2 shown]
	s_waitcnt lgkmcnt(0)
	v_perm_b32 v103, v167, v166, s57
	v_perm_b32 v102, v163, v105, s57
	ds_read_u16 v105, v143 offset:64
	ds_read_u16 v166, v143 offset:592
	ds_read_u16 v163, v143 offset:1120
	ds_read_u16 v167, v144 offset:64
	v_accvgpr_write_b32 a0, v101
	v_accvgpr_write_b32 a1, v170
	;; [unrolled: 1-line block ×4, first 2 shown]
	v_cvt_f32_f16_e32 v170, v162
	v_cvt_f32_f16_sdwa v171, v162 dst_sel:DWORD dst_unused:UNUSED_PAD src0_sel:WORD_1
	v_mfma_f32_16x16x16_f16 a[0:3], v[102:103], v[34:35], a[0:3]
	s_waitcnt lgkmcnt(0)
	v_perm_b32 v163, v167, v163, s57
	v_perm_b32 v162, v166, v105, s57
	s_nop 4
	v_accvgpr_read_b32 v101, a0
	v_accvgpr_read_b32 v102, a1
	;; [unrolled: 1-line block ×4, first 2 shown]
	v_accvgpr_write_b32 a0, v170
	v_accvgpr_write_b32 a1, v171
	;; [unrolled: 1-line block ×4, first 2 shown]
	ds_read_u16 v166, v143 offset:16960
	ds_read_u16 v167, v143 offset:17488
	;; [unrolled: 1-line block ×4, first 2 shown]
	v_mfma_f32_16x16x16_f16 a[0:3], v[162:163], v[38:39], a[0:3]
	v_cvt_pk_f16_f32 v102, v101, v102
	v_cvt_pk_f16_f32 v101, v103, v104
	;; [unrolled: 1-line block ×3, first 2 shown]
	s_nop 4
	v_accvgpr_read_b32 v105, a0
	v_accvgpr_read_b32 v161, a1
	v_accvgpr_read_b32 v162, a2
	v_accvgpr_read_b32 v163, a3
	v_cvt_f16_f32_e32 v105, v105
	v_cvt_f16_f32_e32 v161, v161
	v_cvt_f16_f32_e32 v162, v162
	v_cvt_f16_f32_e32 v163, v163
	v_cvt_f32_f16_e32 v105, v105
	v_cvt_f32_f16_e32 v161, v161
	v_cvt_f32_f16_e32 v176, v162
	v_cvt_f32_f16_e32 v177, v163
	s_waitcnt lgkmcnt(0)
	v_perm_b32 v163, v171, v170, s57
	v_perm_b32 v162, v167, v166, s57
	ds_read_u16 v166, v143 offset:96
	ds_read_u16 v167, v143 offset:624
	ds_read_u16 v170, v143 offset:1152
	ds_read_u16 v171, v144 offset:96
	v_accvgpr_write_b32 a0, v105
	v_accvgpr_write_b32 a1, v161
	v_accvgpr_write_b32 a2, v176
	v_accvgpr_write_b32 a3, v177
	v_cvt_f32_f16_e32 v176, v165
	v_cvt_f32_f16_sdwa v177, v165 dst_sel:DWORD dst_unused:UNUSED_PAD src0_sel:WORD_1
	v_mfma_f32_16x16x16_f16 a[0:3], v[162:163], v[34:35], a[0:3]
	s_waitcnt lgkmcnt(0)
	v_perm_b32 v165, v171, v170, s57
	v_perm_b32 v164, v167, v166, s57
	s_nop 4
	v_accvgpr_read_b32 v105, a0
	v_accvgpr_read_b32 v161, a1
	v_accvgpr_read_b32 v162, a2
	v_accvgpr_read_b32 v163, a3
	v_accvgpr_write_b32 a0, v176
	v_accvgpr_write_b32 a1, v177
	v_accvgpr_write_b32 a2, v182
	v_accvgpr_write_b32 a3, v183
	ds_read_u16 v170, v143 offset:16992
	ds_read_u16 v171, v143 offset:17520
	ds_read_u16 v176, v143 offset:18048
	ds_read_u16 v177, v144 offset:16992
	v_mfma_f32_16x16x16_f16 a[0:3], v[164:165], v[38:39], a[0:3]
	v_cvt_pk_f16_f32 v161, v105, v161
	v_cvt_pk_f16_f32 v105, v162, v163
	s_nop 5
	v_accvgpr_read_b32 v164, a0
	v_accvgpr_read_b32 v165, a1
	v_accvgpr_read_b32 v166, a2
	v_accvgpr_read_b32 v167, a3
	v_cvt_f16_f32_e32 v164, v164
	v_cvt_f16_f32_e32 v165, v165
	v_cvt_f16_f32_e32 v166, v166
	v_cvt_f16_f32_e32 v167, v167
	v_cvt_f32_f16_e32 v182, v164
	v_cvt_f32_f16_e32 v183, v165
	v_cvt_f32_f16_e32 v166, v166
	v_cvt_f32_f16_e32 v167, v167
	s_waitcnt lgkmcnt(0)
	v_perm_b32 v165, v177, v176, s57
	v_perm_b32 v164, v171, v170, s57
	ds_read_u16 v170, v143 offset:128
	ds_read_u16 v171, v143 offset:656
	ds_read_u16 v176, v143 offset:1184
	ds_read_u16 v177, v144 offset:128
	v_accvgpr_write_b32 a0, v182
	v_accvgpr_write_b32 a1, v183
	v_accvgpr_write_b32 a2, v166
	v_accvgpr_write_b32 a3, v167
	v_cvt_f32_f16_e32 v182, v169
	v_cvt_f32_f16_sdwa v183, v169 dst_sel:DWORD dst_unused:UNUSED_PAD src0_sel:WORD_1
	v_mfma_f32_16x16x16_f16 a[0:3], v[164:165], v[34:35], a[0:3]
	s_waitcnt lgkmcnt(0)
	v_perm_b32 v169, v177, v176, s57
	v_perm_b32 v168, v171, v170, s57
	s_nop 4
	v_accvgpr_read_b32 v164, a0
	v_accvgpr_read_b32 v165, a1
	v_accvgpr_read_b32 v166, a2
	v_accvgpr_read_b32 v167, a3
	v_accvgpr_write_b32 a0, v182
	v_accvgpr_write_b32 a1, v183
	v_accvgpr_write_b32 a2, v186
	v_accvgpr_write_b32 a3, v187
	ds_read_u16 v176, v143 offset:17024
	ds_read_u16 v177, v143 offset:17552
	ds_read_u16 v182, v143 offset:18080
	ds_read_u16 v183, v144 offset:17024
	v_mfma_f32_16x16x16_f16 a[0:3], v[168:169], v[38:39], a[0:3]
	v_cvt_pk_f16_f32 v165, v164, v165
	v_cvt_pk_f16_f32 v164, v166, v167
	;; [unrolled: 46-line block ×7, first 2 shown]
	s_nop 5
	v_accvgpr_read_b32 v172, a0
	v_accvgpr_read_b32 v173, a1
	;; [unrolled: 1-line block ×4, first 2 shown]
	v_cvt_f16_f32_e32 v172, v172
	v_cvt_f16_f32_e32 v173, v173
	;; [unrolled: 1-line block ×4, first 2 shown]
	v_cvt_f32_f16_e32 v197, v172
	v_cvt_f32_f16_e32 v198, v173
	;; [unrolled: 1-line block ×4, first 2 shown]
	s_waitcnt lgkmcnt(0)
	v_perm_b32 v173, v196, v195, s57
	v_perm_b32 v172, v194, v193, s57
	ds_read_u16 v193, v143 offset:320
	ds_read_u16 v194, v143 offset:848
	;; [unrolled: 1-line block ×4, first 2 shown]
	v_accvgpr_write_b32 a0, v197
	v_accvgpr_write_b32 a1, v198
	;; [unrolled: 1-line block ×4, first 2 shown]
	v_cvt_f32_f16_e32 v197, v160
	v_cvt_f32_f16_sdwa v160, v160 dst_sel:DWORD dst_unused:UNUSED_PAD src0_sel:WORD_1
	v_mfma_f32_16x16x16_f16 a[0:3], v[172:173], v[34:35], a[0:3]
	v_cvt_f32_f16_e32 v198, v159
	v_cvt_f32_f16_sdwa v159, v159 dst_sel:DWORD dst_unused:UNUSED_PAD src0_sel:WORD_1
	s_waitcnt lgkmcnt(0)
	v_perm_b32 v195, v196, v195, s57
	v_perm_b32 v194, v194, v193, s57
	s_nop 2
	v_accvgpr_read_b32 v172, a0
	v_accvgpr_read_b32 v173, a1
	v_accvgpr_read_b32 v190, a2
	v_accvgpr_read_b32 v191, a3
	v_accvgpr_write_b32 a0, v197
	v_accvgpr_write_b32 a1, v160
	v_accvgpr_write_b32 a2, v198
	v_accvgpr_write_b32 a3, v159
	v_cvt_pk_f16_f32 v173, v172, v173
	v_cvt_pk_f16_f32 v172, v190, v191
	v_mfma_f32_16x16x16_f16 a[0:3], v[194:195], v[38:39], a[0:3]
	ds_read_u16 v196, v143 offset:17216
	ds_read_u16 v197, v143 offset:17744
	ds_read_u16 v195, v143 offset:18272
	ds_read_u16 v198, v144 offset:17216
	s_waitcnt lgkmcnt(0)
	v_perm_b32 v195, v198, v195, s57
	s_nop 1
	v_accvgpr_read_b32 v159, a0
	v_accvgpr_read_b32 v160, a1
	v_accvgpr_read_b32 v193, a2
	v_accvgpr_read_b32 v194, a3
	v_cvt_f16_f32_e32 v159, v159
	v_cvt_f16_f32_e32 v160, v160
	v_cvt_f16_f32_e32 v193, v193
	v_cvt_f16_f32_e32 v194, v194
	v_cvt_f32_f16_e32 v159, v159
	v_cvt_f32_f16_e32 v160, v160
	v_cvt_f32_f16_e32 v193, v193
	v_cvt_f32_f16_e32 v199, v194
	v_perm_b32 v194, v197, v196, s57
	v_accvgpr_write_b32 a0, v159
	v_accvgpr_write_b32 a1, v160
	v_accvgpr_write_b32 a2, v193
	v_accvgpr_write_b32 a3, v199
	v_cvt_f32_f16_e32 v199, v158
	v_cvt_f32_f16_sdwa v158, v158 dst_sel:DWORD dst_unused:UNUSED_PAD src0_sel:WORD_1
	v_mfma_f32_16x16x16_f16 a[0:3], v[194:195], v[34:35], a[0:3]
	ds_read_u16 v195, v143 offset:352
	ds_read_u16 v196, v143 offset:880
	ds_read_u16 v197, v143 offset:1408
	ds_read_u16 v198, v144 offset:352
	s_waitcnt lgkmcnt(2)
	v_perm_b32 v196, v196, v195, s57
	s_waitcnt lgkmcnt(0)
	v_perm_b32 v197, v198, v197, s57
	v_accvgpr_read_b32 v159, a0
	v_accvgpr_read_b32 v160, a1
	v_accvgpr_read_b32 v193, a2
	v_accvgpr_read_b32 v194, a3
	v_accvgpr_write_b32 a0, v199
	v_accvgpr_write_b32 a1, v158
	v_accvgpr_write_b32 a2, v200
	v_accvgpr_write_b32 a3, v157
	v_cvt_pk_f16_f32 v160, v159, v160
	v_cvt_pk_f16_f32 v159, v193, v194
	v_mfma_f32_16x16x16_f16 a[0:3], v[196:197], v[38:39], a[0:3]
	ds_read_u16 v198, v143 offset:17248
	ds_read_u16 v199, v143 offset:17776
	ds_read_u16 v197, v143 offset:18304
	ds_read_u16 v200, v144 offset:17248
	s_waitcnt lgkmcnt(0)
	v_perm_b32 v197, v200, v197, s57
	s_nop 1
	v_accvgpr_read_b32 v157, a0
	v_accvgpr_read_b32 v158, a1
	v_accvgpr_read_b32 v195, a2
	v_accvgpr_read_b32 v196, a3
	v_cvt_f16_f32_e32 v157, v157
	v_cvt_f16_f32_e32 v158, v158
	v_cvt_f16_f32_e32 v195, v195
	v_cvt_f16_f32_e32 v196, v196
	v_cvt_f32_f16_e32 v157, v157
	v_cvt_f32_f16_e32 v158, v158
	v_cvt_f32_f16_e32 v195, v195
	v_cvt_f32_f16_e32 v201, v196
	v_perm_b32 v196, v199, v198, s57
	v_accvgpr_write_b32 a0, v157
	v_accvgpr_write_b32 a1, v158
	v_accvgpr_write_b32 a2, v195
	v_accvgpr_write_b32 a3, v201
	v_cvt_f32_f16_e32 v201, v156
	v_cvt_f32_f16_sdwa v156, v156 dst_sel:DWORD dst_unused:UNUSED_PAD src0_sel:WORD_1
	v_mfma_f32_16x16x16_f16 a[0:3], v[196:197], v[34:35], a[0:3]
	ds_read_u16 v197, v143 offset:384
	ds_read_u16 v198, v143 offset:912
	ds_read_u16 v199, v143 offset:1440
	ds_read_u16 v200, v144 offset:384
	s_waitcnt lgkmcnt(2)
	v_perm_b32 v198, v198, v197, s57
	s_waitcnt lgkmcnt(0)
	v_perm_b32 v199, v200, v199, s57
	v_accvgpr_read_b32 v157, a0
	v_accvgpr_read_b32 v158, a1
	v_accvgpr_read_b32 v195, a2
	v_accvgpr_read_b32 v196, a3
	v_accvgpr_write_b32 a0, v201
	v_accvgpr_write_b32 a1, v156
	v_accvgpr_write_b32 a2, v202
	v_accvgpr_write_b32 a3, v155
	v_cvt_pk_f16_f32 v158, v157, v158
	v_cvt_pk_f16_f32 v157, v195, v196
	v_mfma_f32_16x16x16_f16 a[0:3], v[198:199], v[38:39], a[0:3]
	ds_read_u16 v200, v143 offset:17280
	ds_read_u16 v201, v143 offset:17808
	ds_read_u16 v199, v143 offset:18336
	ds_read_u16 v202, v144 offset:17280
	s_waitcnt lgkmcnt(0)
	v_perm_b32 v199, v202, v199, s57
	s_nop 1
	v_accvgpr_read_b32 v155, a0
	v_accvgpr_read_b32 v156, a1
	v_accvgpr_read_b32 v197, a2
	v_accvgpr_read_b32 v198, a3
	v_cvt_f16_f32_e32 v155, v155
	v_cvt_f16_f32_e32 v156, v156
	v_cvt_f16_f32_e32 v197, v197
	v_cvt_f16_f32_e32 v198, v198
	v_cvt_f32_f16_e32 v155, v155
	v_cvt_f32_f16_e32 v156, v156
	v_cvt_f32_f16_e32 v197, v197
	v_cvt_f32_f16_e32 v203, v198
	v_perm_b32 v198, v201, v200, s57
	v_accvgpr_write_b32 a0, v155
	v_accvgpr_write_b32 a1, v156
	v_accvgpr_write_b32 a2, v197
	v_accvgpr_write_b32 a3, v203
	v_cvt_f32_f16_e32 v203, v154
	v_cvt_f32_f16_sdwa v154, v154 dst_sel:DWORD dst_unused:UNUSED_PAD src0_sel:WORD_1
	v_mfma_f32_16x16x16_f16 a[0:3], v[198:199], v[34:35], a[0:3]
	ds_read_u16 v199, v143 offset:416
	ds_read_u16 v200, v143 offset:944
	ds_read_u16 v201, v143 offset:1472
	ds_read_u16 v202, v144 offset:416
	s_waitcnt lgkmcnt(2)
	v_perm_b32 v200, v200, v199, s57
	s_waitcnt lgkmcnt(0)
	v_perm_b32 v201, v202, v201, s57
	v_accvgpr_read_b32 v155, a0
	v_accvgpr_read_b32 v156, a1
	v_accvgpr_read_b32 v197, a2
	v_accvgpr_read_b32 v198, a3
	v_accvgpr_write_b32 a0, v203
	v_accvgpr_write_b32 a1, v154
	v_accvgpr_write_b32 a2, v204
	v_accvgpr_write_b32 a3, v153
	v_cvt_pk_f16_f32 v156, v155, v156
	v_cvt_pk_f16_f32 v155, v197, v198
	v_mfma_f32_16x16x16_f16 a[0:3], v[200:201], v[38:39], a[0:3]
	ds_read_u16 v202, v143 offset:17312
	ds_read_u16 v203, v143 offset:17840
	ds_read_u16 v201, v143 offset:18368
	ds_read_u16 v204, v144 offset:17312
	s_waitcnt lgkmcnt(0)
	v_perm_b32 v201, v204, v201, s57
	s_nop 1
	v_accvgpr_read_b32 v153, a0
	v_accvgpr_read_b32 v154, a1
	v_accvgpr_read_b32 v199, a2
	v_accvgpr_read_b32 v200, a3
	v_cvt_f16_f32_e32 v153, v153
	v_cvt_f16_f32_e32 v154, v154
	v_cvt_f16_f32_e32 v199, v199
	v_cvt_f16_f32_e32 v200, v200
	v_cvt_f32_f16_e32 v153, v153
	v_cvt_f32_f16_e32 v154, v154
	v_cvt_f32_f16_e32 v199, v199
	v_cvt_f32_f16_e32 v205, v200
	v_perm_b32 v200, v203, v202, s57
	v_accvgpr_write_b32 a0, v153
	v_accvgpr_write_b32 a1, v154
	v_accvgpr_write_b32 a2, v199
	v_accvgpr_write_b32 a3, v205
	v_cvt_f32_f16_e32 v205, v152
	v_cvt_f32_f16_sdwa v152, v152 dst_sel:DWORD dst_unused:UNUSED_PAD src0_sel:WORD_1
	v_mfma_f32_16x16x16_f16 a[0:3], v[200:201], v[34:35], a[0:3]
	ds_read_u16 v201, v143 offset:448
	ds_read_u16 v202, v143 offset:976
	ds_read_u16 v203, v143 offset:1504
	ds_read_u16 v204, v144 offset:448
	s_waitcnt lgkmcnt(2)
	v_perm_b32 v202, v202, v201, s57
	s_waitcnt lgkmcnt(0)
	v_perm_b32 v203, v204, v203, s57
	v_accvgpr_read_b32 v153, a0
	v_accvgpr_read_b32 v154, a1
	v_accvgpr_read_b32 v199, a2
	v_accvgpr_read_b32 v200, a3
	v_accvgpr_write_b32 a0, v205
	v_accvgpr_write_b32 a1, v152
	v_accvgpr_write_b32 a2, v210
	v_accvgpr_write_b32 a3, v151
	v_cvt_pk_f16_f32 v154, v153, v154
	v_cvt_pk_f16_f32 v153, v199, v200
	v_mfma_f32_16x16x16_f16 a[0:3], v[202:203], v[38:39], a[0:3]
	ds_read_u16 v204, v143 offset:17344
	ds_read_u16 v205, v143 offset:17872
	ds_read_u16 v203, v143 offset:18400
	ds_read_u16 v210, v144 offset:17344
	s_waitcnt lgkmcnt(0)
	v_perm_b32 v203, v210, v203, s57
	s_nop 1
	v_accvgpr_read_b32 v151, a0
	v_accvgpr_read_b32 v152, a1
	v_accvgpr_read_b32 v201, a2
	v_accvgpr_read_b32 v202, a3
	v_cvt_f16_f32_e32 v151, v151
	v_cvt_f16_f32_e32 v152, v152
	v_cvt_f16_f32_e32 v201, v201
	v_cvt_f16_f32_e32 v202, v202
	v_cvt_f32_f16_e32 v151, v151
	v_cvt_f32_f16_e32 v152, v152
	v_cvt_f32_f16_e32 v201, v201
	v_cvt_f32_f16_e32 v211, v202
	v_perm_b32 v202, v205, v204, s57
	v_accvgpr_write_b32 a0, v151
	v_accvgpr_write_b32 a1, v152
	v_accvgpr_write_b32 a2, v201
	v_accvgpr_write_b32 a3, v211
	v_cvt_f32_f16_e32 v211, v150
	v_cvt_f32_f16_sdwa v150, v150 dst_sel:DWORD dst_unused:UNUSED_PAD src0_sel:WORD_1
	v_mfma_f32_16x16x16_f16 a[0:3], v[202:203], v[34:35], a[0:3]
	ds_read_u16 v203, v143 offset:480
	ds_read_u16 v204, v143 offset:1008
	ds_read_u16 v205, v143 offset:1536
	ds_read_u16 v210, v144 offset:480
	s_waitcnt lgkmcnt(2)
	v_perm_b32 v204, v204, v203, s57
	s_waitcnt lgkmcnt(0)
	v_perm_b32 v205, v210, v205, s57
	v_accvgpr_read_b32 v151, a0
	v_accvgpr_read_b32 v152, a1
	;; [unrolled: 1-line block ×4, first 2 shown]
	v_accvgpr_write_b32 a0, v211
	v_accvgpr_write_b32 a1, v150
	;; [unrolled: 1-line block ×4, first 2 shown]
	v_cvt_pk_f16_f32 v152, v151, v152
	v_cvt_pk_f16_f32 v151, v201, v202
	v_mfma_f32_16x16x16_f16 a[0:3], v[204:205], v[38:39], a[0:3]
	s_nop 7
	v_accvgpr_read_b32 v150, a3
	v_accvgpr_read_b32 v38, a0
	;; [unrolled: 1-line block ×4, first 2 shown]
	v_cvt_f16_f32_e32 v203, v150
	ds_read_u16 v150, v143 offset:17376
	ds_read_u16 v204, v143 offset:17904
	;; [unrolled: 1-line block ×4, first 2 shown]
	v_cvt_f16_f32_e32 v38, v38
	v_cvt_f16_f32_e32 v39, v39
	;; [unrolled: 1-line block ×3, first 2 shown]
	v_cvt_f32_f16_e32 v203, v203
	v_cvt_f32_f16_e32 v211, v38
	v_cvt_f32_f16_e32 v212, v39
	v_cvt_f32_f16_e32 v149, v149
	s_waitcnt lgkmcnt(0)
	v_perm_b32 v39, v210, v205, s57
	v_perm_b32 v38, v204, v150, s57
	v_accvgpr_write_b32 a0, v211
	v_accvgpr_write_b32 a1, v212
	;; [unrolled: 1-line block ×4, first 2 shown]
	s_barrier
	s_nop 0
	v_mfma_f32_16x16x16_f16 a[0:3], v[38:39], v[34:35], a[0:3]
	s_nop 7
	v_accvgpr_read_b32 v34, a0
	v_accvgpr_read_b32 v35, a1
	;; [unrolled: 1-line block ×4, first 2 shown]
	v_cvt_pk_f16_f32 v150, v34, v35
	v_cvt_pk_f16_f32 v149, v38, v39
	s_cbranch_vccz .LBB29_371
; %bb.369:                              ;   in Loop: Header=BB29_360 Depth=1
	v_mov_b32_e32 v104, v37
	v_mov_b32_e32 v162, v41
	s_branch .LBB29_360
.LBB29_370:
	v_mov_b32_e32 v41, 0xfeffffff
	v_mov_b32_e32 v37, 0
	;; [unrolled: 1-line block ×34, first 2 shown]
	s_branch .LBB29_372
.LBB29_371:
	s_mov_b32 s12, s2
.LBB29_372:
	s_lshl_b32 s16, s52, 6
	v_readlane_b32 s0, v254, 4
	s_sub_i32 s23, s0, s16
	s_cmp_lg_u64 s[40:41], 0
	s_cselect_b64 s[18:19], -1, 0
	s_ashr_i32 s17, s16, 31
	s_cmp_eq_u64 s[40:41], 0
	v_readlane_b32 s1, v254, 5
	s_cbranch_scc1 .LBB29_390
; %bb.373:
	s_lshl_b64 s[0:1], s[16:17], 1
	s_add_u32 s0, s40, s0
	s_addc_u32 s1, s41, s1
	v_mov_b32_e32 v43, 0
	v_cmp_gt_i32_e32 vcc, s23, v64
	v_lshl_add_u64 v[32:33], s[0:1], 0, v[42:43]
	v_mov_b32_e32 v35, 0
	s_and_saveexec_b64 s[0:1], vcc
	s_cbranch_execz .LBB29_375
; %bb.374:
	v_readlane_b32 s4, v254, 10
	v_readlane_b32 s5, v254, 11
	s_nop 0
	v_mul_hi_u32 v34, s4, v113
	v_add_u32_e32 v34, v113, v34
	v_lshrrev_b32_e32 v34, s5, v34
	v_mul_lo_u32 v34, v34, s96
	v_sub_u32_e32 v34, v113, v34
	v_mad_i64_i32 v[34:35], s[4:5], v34, s12, 0
	v_lshl_add_u64 v[34:35], v[34:35], 1, v[32:33]
	global_load_ushort v35, v[34:35], off
.LBB29_375:
	s_or_b64 exec, exec, s[0:1]
	s_movk_i32 s0, 0x90
	v_mad_u32_u24 v34, v192, s0, 0
	v_lshl_add_u32 v36, v64, 1, v34
	s_waitcnt vmcnt(0)
	ds_write_b16 v36, v35 offset:33792
	s_and_saveexec_b64 s[0:1], vcc
	s_cbranch_execz .LBB29_377
; %bb.376:
	v_readlane_b32 s4, v254, 10
	v_readlane_b32 s5, v254, 11
	s_nop 0
	v_mul_hi_u32 v35, s4, v115
	v_add_u32_e32 v35, v115, v35
	v_lshrrev_b32_e32 v35, s5, v35
	v_mul_lo_u32 v35, v35, s96
	v_sub_u32_e32 v35, v115, v35
	v_mad_i64_i32 v[38:39], s[4:5], v35, s12, 0
	v_lshl_add_u64 v[38:39], v[38:39], 1, v[32:33]
	global_load_ushort v43, v[38:39], off
.LBB29_377:
	s_or_b64 exec, exec, s[0:1]
	v_add_u32_e32 v34, 0x240, v34
	v_lshl_add_u32 v35, v64, 1, v34
	s_waitcnt vmcnt(0)
	ds_write_b16 v35, v43 offset:33792
	v_mov_b32_e32 v35, 0
	v_mov_b32_e32 v36, 0
	s_and_saveexec_b64 s[0:1], vcc
	s_cbranch_execz .LBB29_379
; %bb.378:
	v_readlane_b32 s4, v254, 10
	v_readlane_b32 s5, v254, 11
	s_nop 0
	v_mul_hi_u32 v36, s4, v116
	v_add_u32_e32 v36, v116, v36
	v_lshrrev_b32_e32 v36, s5, v36
	v_mul_lo_u32 v36, v36, s96
	v_sub_u32_e32 v36, v116, v36
	v_mad_i64_i32 v[38:39], s[4:5], v36, s12, 0
	v_lshl_add_u64 v[38:39], v[38:39], 1, v[32:33]
	global_load_ushort v36, v[38:39], off
.LBB29_379:
	s_or_b64 exec, exec, s[0:1]
	v_add_u32_e32 v34, 0x240, v34
	v_lshl_add_u32 v38, v64, 1, v34
	s_waitcnt vmcnt(0)
	ds_write_b16 v38, v36 offset:33792
	s_and_saveexec_b64 s[0:1], vcc
	s_cbranch_execz .LBB29_381
; %bb.380:
	v_readlane_b32 s4, v254, 10
	v_readlane_b32 s5, v254, 11
	s_nop 0
	v_mul_hi_u32 v35, s4, v117
	v_add_u32_e32 v35, v117, v35
	v_lshrrev_b32_e32 v35, s5, v35
	v_mul_lo_u32 v35, v35, s96
	v_sub_u32_e32 v35, v117, v35
	v_mad_i64_i32 v[38:39], s[4:5], v35, s12, 0
	v_lshl_add_u64 v[38:39], v[38:39], 1, v[32:33]
	global_load_ushort v35, v[38:39], off
.LBB29_381:
	s_or_b64 exec, exec, s[0:1]
	v_add_u32_e32 v34, 0x240, v34
	v_lshl_add_u32 v36, v64, 1, v34
	s_waitcnt vmcnt(0)
	ds_write_b16 v36, v35 offset:33792
	v_mov_b32_e32 v35, 0
	v_mov_b32_e32 v36, 0
	s_and_saveexec_b64 s[0:1], vcc
	s_cbranch_execz .LBB29_383
; %bb.382:
	v_readlane_b32 s4, v254, 10
	v_readlane_b32 s5, v254, 11
	s_nop 0
	v_mul_hi_u32 v36, s4, v118
	v_add_u32_e32 v36, v118, v36
	v_lshrrev_b32_e32 v36, s5, v36
	v_mul_lo_u32 v36, v36, s96
	v_sub_u32_e32 v36, v118, v36
	v_mad_i64_i32 v[38:39], s[4:5], v36, s12, 0
	v_lshl_add_u64 v[38:39], v[38:39], 1, v[32:33]
	global_load_ushort v36, v[38:39], off
.LBB29_383:
	s_or_b64 exec, exec, s[0:1]
	v_add_u32_e32 v34, 0x240, v34
	;; [unrolled: 42-line block ×3, first 2 shown]
	v_lshl_add_u32 v34, v64, 1, v34
	s_waitcnt vmcnt(0)
	ds_write_b16 v34, v36 offset:33792
	s_and_saveexec_b64 s[0:1], vcc
	s_cbranch_execz .LBB29_389
; %bb.388:
	v_readlane_b32 s4, v254, 10
	v_readlane_b32 s5, v254, 11
	s_nop 0
	v_mul_hi_u32 v35, s4, v121
	v_add_u32_e32 v35, v121, v35
	v_lshrrev_b32_e32 v35, s5, v35
	v_mul_lo_u32 v35, v35, s96
	v_sub_u32_e32 v35, v121, v35
	v_mad_i64_i32 v[38:39], s[4:5], v35, s12, 0
	v_lshl_add_u64 v[32:33], v[38:39], 1, v[32:33]
	global_load_ushort v35, v[32:33], off
.LBB29_389:
	s_or_b64 exec, exec, s[0:1]
	s_waitcnt vmcnt(0)
	ds_write_b16 v34, v35 offset:34368
.LBB29_390:
	s_mul_hi_i32 s5, s16, s62
	s_mul_i32 s4, s16, s62
	s_lshl_b64 s[4:5], s[4:5], 2
	v_lshl_add_u32 v34, v192, 1, v122
	s_add_u32 s4, s3, s4
	v_mul_lo_u32 v38, s62, v34
	s_addc_u32 s5, s51, s5
	v_and_b32_e32 v32, 0x7c, v65
	v_ashrrev_i32_e32 v39, 31, v38
	s_mov_b64 s[0:1], src_private_base
	v_mov_b32_e32 v33, 0
	v_lshlrev_b32_e32 v32, 2, v32
	v_lshl_add_u64 v[42:43], v[38:39], 2, s[4:5]
	v_lshl_add_u64 v[42:43], v[42:43], 0, v[32:33]
	v_mov_b32_e32 v35, s1
	v_cmp_gt_i32_e64 s[8:9], s23, v34
	v_mov_b32_e32 v48, 0
	v_mov_b32_e32 v44, v33
	;; [unrolled: 1-line block ×5, first 2 shown]
	v_cndmask_b32_e64 v43, v35, v43, s[8:9]
	v_cndmask_b32_e64 v42, v48, v42, s[8:9]
	scratch_store_dwordx4 off, v[44:47], off
	flat_load_dwordx4 v[42:45], v[42:43]
	s_lshl_b32 s2, s62, 3
	v_add_u32_e32 v38, s2, v38
	v_ashrrev_i32_e32 v39, 31, v38
	v_mul_u32_u24_e32 v36, 0x210, v34
	v_add_u32_e32 v49, 8, v34
	v_lshl_add_u64 v[46:47], v[38:39], 2, s[4:5]
	v_add3_u32 v36, 0, v36, v32
	v_lshl_add_u64 v[46:47], v[46:47], 0, v[32:33]
	v_cmp_gt_i32_e64 s[10:11], s23, v49
	v_add_u32_e32 v38, s2, v38
	v_ashrrev_i32_e32 v39, 31, v38
	v_cndmask_b32_e64 v47, v35, v47, s[10:11]
	v_cndmask_b32_e64 v46, v48, v46, s[10:11]
	v_add_u32_e32 v49, 16, v34
	v_cmp_gt_i32_e64 s[12:13], s23, v49
	v_add_u32_e32 v49, 24, v34
	v_cmp_gt_i32_e64 s[14:15], s23, v49
	;; [unrolled: 2-line block ×5, first 2 shown]
	s_and_b64 vcc, exec, s[18:19]
	s_waitcnt vmcnt(0) lgkmcnt(0)
	ds_write_b128 v36, v[42:45]
	flat_load_dwordx4 v[42:45], v[46:47]
	v_lshl_add_u64 v[46:47], v[38:39], 2, s[4:5]
	v_lshl_add_u64 v[46:47], v[46:47], 0, v[32:33]
	v_cndmask_b32_e64 v47, v35, v47, s[12:13]
	v_cndmask_b32_e64 v46, v48, v46, s[12:13]
	v_add_u32_e32 v38, s2, v38
	v_ashrrev_i32_e32 v39, 31, v38
	s_waitcnt vmcnt(0) lgkmcnt(0)
	ds_write_b128 v36, v[42:45] offset:4224
	flat_load_dwordx4 v[42:45], v[46:47]
	v_lshl_add_u64 v[46:47], v[38:39], 2, s[4:5]
	v_lshl_add_u64 v[46:47], v[46:47], 0, v[32:33]
	v_cndmask_b32_e64 v47, v35, v47, s[14:15]
	v_cndmask_b32_e64 v46, v48, v46, s[14:15]
	v_add_u32_e32 v38, s2, v38
	v_ashrrev_i32_e32 v39, 31, v38
	s_waitcnt vmcnt(0) lgkmcnt(0)
	ds_write_b128 v36, v[42:45] offset:8448
	;; [unrolled: 9-line block ×4, first 2 shown]
	flat_load_dwordx4 v[42:45], v[46:47]
	v_lshl_add_u64 v[46:47], v[38:39], 2, s[4:5]
	v_lshl_add_u64 v[46:47], v[46:47], 0, v[32:33]
	v_cndmask_b32_e64 v47, v35, v47, s[20:21]
	v_cndmask_b32_e64 v46, v48, v46, s[20:21]
	v_add_u32_e32 v38, s2, v38
	v_ashrrev_i32_e32 v39, 31, v38
	v_lshl_add_u64 v[38:39], v[38:39], 2, s[4:5]
	v_lshl_add_u64 v[38:39], v[38:39], 0, v[32:33]
	v_and_b32_e32 v33, 16, v213
	s_waitcnt vmcnt(0) lgkmcnt(0)
	ds_write_b128 v36, v[42:45] offset:21120
	flat_load_dwordx4 v[42:45], v[46:47]
	v_add_u32_e32 v46, 56, v34
	v_cmp_gt_i32_e64 s[4:5], s23, v46
	s_waitcnt vmcnt(0) lgkmcnt(0)
	ds_write_b128 v36, v[42:45] offset:25344
	v_cndmask_b32_e64 v39, v35, v39, s[4:5]
	v_cndmask_b32_e64 v38, v48, v38, s[4:5]
	flat_load_dwordx4 v[42:45], v[38:39]
	v_add_u32_e32 v35, 0, v114
	v_mul_u32_u24_e32 v38, 0x210, v33
	v_add3_u32 v35, v35, v107, v38
	v_add_u32_e32 v38, 0x4000, v35
	s_waitcnt vmcnt(0) lgkmcnt(0)
	ds_write_b128 v36, v[42:45] offset:29568
	s_waitcnt lgkmcnt(0)
	s_barrier
	ds_read2_b64 v[42:45], v35 offset1:4
	ds_read2_b64 v[46:49], v38 offset0:64 offset1:68
	s_waitcnt lgkmcnt(1)
	v_mfma_f32_16x16x16_f16 a[0:3], v[42:43], v[28:29], 0
	s_waitcnt lgkmcnt(0)
	v_mfma_f32_16x16x16_f16 a[4:7], v[46:47], v[28:29], 0
	v_mfma_f32_16x16x16_f16 a[0:3], v[44:45], v[30:31], a[0:3]
	ds_read2_b64 v[42:45], v38 offset0:72 offset1:76
	v_mfma_f32_16x16x16_f16 a[4:7], v[48:49], v[30:31], a[4:7]
	ds_read2_b64 v[28:31], v35 offset0:8 offset1:12
	s_waitcnt lgkmcnt(0)
	v_mfma_f32_16x16x16_f16 a[0:3], v[28:29], v[24:25], a[0:3]
	v_mfma_f32_16x16x16_f16 a[4:7], v[42:43], v[24:25], a[4:7]
	v_mfma_f32_16x16x16_f16 a[0:3], v[30:31], v[26:27], a[0:3]
	ds_read2_b64 v[28:31], v38 offset0:80 offset1:84
	v_mfma_f32_16x16x16_f16 a[4:7], v[44:45], v[26:27], a[4:7]
	ds_read2_b64 v[24:27], v35 offset0:16 offset1:20
	s_waitcnt lgkmcnt(0)
	v_mfma_f32_16x16x16_f16 a[0:3], v[24:25], v[20:21], a[0:3]
	;; [unrolled: 7-line block ×6, first 2 shown]
	v_and_b32_e32 v9, 0xfc, v110
	v_add_u32_e32 v8, v9, v33
	v_mfma_f32_16x16x16_f16 a[4:7], v[12:13], v[4:5], a[4:7]
	v_mfma_f32_16x16x16_f16 a[0:3], v[10:11], v[6:7], a[0:3]
	v_add_u32_e32 v11, 32, v8
	v_mfma_f32_16x16x16_f16 a[4:7], v[14:15], v[6:7], a[4:7]
	ds_read2_b64 v[4:7], v35 offset0:56 offset1:60
	ds_read2_b64 v[12:15], v38 offset0:120 offset1:124
	s_waitcnt lgkmcnt(0)
	v_mfma_f32_16x16x16_f16 a[0:3], v[4:5], v[0:1], a[0:3]
	s_barrier
	v_mfma_f32_16x16x16_f16 a[4:7], v[12:13], v[0:1], a[4:7]
	v_add_u32_e32 v12, 34, v8
	v_mfma_f32_16x16x16_f16 a[0:3], v[6:7], v[2:3], a[0:3]
	v_mfma_f32_16x16x16_f16 a[4:7], v[14:15], v[2:3], a[4:7]
	s_cbranch_vccz .LBB29_392
; %bb.391:
	s_movk_i32 s2, 0x90
	v_mad_u32_u24 v16, v112, s2, 0
	v_lshlrev_b32_e32 v10, 1, v8
	s_mov_b32 s2, 0x8400
	v_add3_u32 v10, v16, v10, s2
	v_add_u32_e32 v13, 32, v8
	ds_read2_b32 v[14:15], v10 offset1:1
	v_lshl_add_u32 v17, v13, 1, v16
	v_add_u32_e32 v10, 34, v8
	v_lshl_add_u32 v16, v10, 1, v16
	ds_read_b32 v19, v17 offset:33792
	ds_read_b32 v21, v16 offset:33792
	s_waitcnt lgkmcnt(2)
	v_cvt_f32_f16_e32 v16, v14
	v_cvt_f32_f16_sdwa v17, v14 dst_sel:DWORD dst_unused:UNUSED_PAD src0_sel:WORD_1
	v_cvt_f32_f16_e32 v14, v15
	v_cvt_f32_f16_sdwa v15, v15 dst_sel:DWORD dst_unused:UNUSED_PAD src0_sel:WORD_1
	s_waitcnt lgkmcnt(1)
	v_cvt_f32_f16_e32 v18, v19
	s_waitcnt lgkmcnt(0)
	v_cvt_f32_f16_e32 v20, v21
	v_cvt_f32_f16_sdwa v21, v21 dst_sel:DWORD dst_unused:UNUSED_PAD src0_sel:WORD_1
	v_cvt_f32_f16_sdwa v19, v19 dst_sel:DWORD dst_unused:UNUSED_PAD src0_sel:WORD_1
	v_accvgpr_read_b32 v7, a3
	v_accvgpr_read_b32 v0, a4
	;; [unrolled: 1-line block ×8, first 2 shown]
	v_pk_fma_f32 v[6:7], v[40:41], v[14:15], v[6:7] op_sel_hi:[0,1,1]
	v_pk_fma_f32 v[4:5], v[40:41], v[16:17], v[4:5] op_sel_hi:[0,1,1]
	;; [unrolled: 1-line block ×4, first 2 shown]
	s_mov_b64 s[2:3], 0
	s_branch .LBB29_393
.LBB29_392:
	s_mov_b64 s[2:3], -1
                                        ; implicit-def: $vgpr4_vgpr5_vgpr6_vgpr7
                                        ; implicit-def: $vgpr0_vgpr1_vgpr2_vgpr3
                                        ; implicit-def: $vgpr13
                                        ; implicit-def: $vgpr10
.LBB29_393:
	v_mov_b64_e32 v[24:25], v[6:7]
	v_mov_b64_e32 v[20:21], v[2:3]
	;; [unrolled: 1-line block ×4, first 2 shown]
	v_add_u32_e32 v5, 0x1080, v36
	v_add_u32_e32 v4, 0x2100, v36
	v_add_u32_e32 v3, 0x3180, v36
	v_add_u32_e32 v2, 0x4200, v36
	v_add_u32_e32 v1, 0x5280, v36
	v_add_u32_e32 v0, 0x6300, v36
	s_andn2_b64 vcc, exec, s[2:3]
	v_add_u32_e32 v17, 0x7380, v36
	s_cbranch_vccnz .LBB29_395
; %bb.394:
	v_accvgpr_read_b32 v21, a7
	v_accvgpr_read_b32 v25, a3
	v_mov_b32_e32 v10, v12
	v_mov_b32_e32 v13, v11
	v_accvgpr_read_b32 v20, a6
	v_accvgpr_read_b32 v19, a5
	;; [unrolled: 1-line block ×6, first 2 shown]
.LBB29_395:
	s_mul_hi_i32 s17, s16, s90
	s_mul_i32 s16, s16, s90
	s_lshl_b64 s[16:17], s[16:17], 2
	s_mov_b64 s[2:3], src_private_base
	s_add_u32 s16, s33, s16
	v_mul_lo_u32 v6, s90, v34
	s_addc_u32 s17, s50, s17
	v_ashrrev_i32_e32 v7, 31, v6
	s_lshl_b32 s2, s90, 3
	v_lshl_add_u64 v[14:15], v[6:7], 2, s[16:17]
	v_add_u32_e32 v6, s2, v6
	v_ashrrev_i32_e32 v7, 31, v6
	v_lshl_add_u64 v[26:27], v[6:7], 2, s[16:17]
	v_add_u32_e32 v6, s2, v6
	v_mov_b32_e32 v33, 0
	v_ashrrev_i32_e32 v7, 31, v6
	v_lshl_add_u64 v[30:31], v[26:27], 0, v[32:33]
	v_lshl_add_u64 v[26:27], v[6:7], 2, s[16:17]
	v_add_u32_e32 v6, s2, v6
	v_ashrrev_i32_e32 v7, 31, v6
	v_lshl_add_u64 v[38:39], v[26:27], 0, v[32:33]
	v_lshl_add_u64 v[26:27], v[6:7], 2, s[16:17]
	v_add_u32_e32 v6, s2, v6
	;; [unrolled: 4-line block ×5, first 2 shown]
	v_ashrrev_i32_e32 v7, 31, v6
	v_lshl_add_u64 v[6:7], v[6:7], 2, s[16:17]
	v_lshl_add_u64 v[14:15], v[14:15], 0, v[32:33]
	v_mov_b32_e32 v40, s3
	v_mov_b32_e32 v52, 0
	v_lshl_add_u64 v[48:49], v[26:27], 0, v[32:33]
	v_lshl_add_u64 v[50:51], v[6:7], 0, v[32:33]
	v_mov_b32_e32 v32, v33
	v_mov_b32_e32 v34, v33
	;; [unrolled: 1-line block ×3, first 2 shown]
	v_cndmask_b32_e64 v15, v40, v15, s[8:9]
	v_cndmask_b32_e64 v14, v52, v14, s[8:9]
	scratch_store_dwordx4 off, v[32:35], off
	flat_load_dwordx4 v[26:29], v[14:15]
	v_cndmask_b32_e64 v7, v40, v31, s[10:11]
	v_cndmask_b32_e64 v6, v52, v30, s[10:11]
	v_or_b32_e32 v30, 2, v8
	v_or_b32_e32 v31, 3, v8
	v_cmp_gt_u32_e64 s[16:17], s23, v31
	v_cndmask_b32_e64 v31, v40, v47, s[0:1]
	v_max_f32_e32 v11, v41, v41
	v_add_f32_e32 v35, 0x40051340, v22
	v_max_f32_e32 v35, v11, v35
	v_cmp_gt_u32_e64 s[18:19], s23, v8
	v_add_u32_e32 v32, 33, v8
	v_add_u32_e32 v33, 35, v8
	s_mov_b32 s8, 0
	s_movk_i32 s9, 0x420
	v_mov_b32_e32 v15, s8
	v_mov_b32_e32 v14, s8
	v_mov_b32_e32 v16, s8
	v_mbcnt_hi_u32_b32 v34, -1, v111
	v_add_f32_e32 v53, 0x40051340, v19
	v_and_b32_e32 v56, 64, v34
	v_xor_b32_e32 v57, 32, v34
	v_cmp_gt_u32_e64 s[10:11], s23, v32
	v_mul_u32_u24_e32 v9, 0x210, v9
	v_xor_b32_e32 v58, 16, v34
	v_add_f32_e32 v54, 0x40051340, v20
	v_add_f32_e32 v55, 0x40051340, v21
	s_mov_b32 s26, 0x3fb8aa3b
	v_or_b32_e32 v12, 3, v110
	v_mul_u32_u24_e32 v12, 0x210, v12
	v_cndmask_b32_e64 v32, v52, v48, s[20:21]
	s_mov_b32 s25, 0xc2ce8ed0
	s_mov_b32 s24, 0x42b17218
	;; [unrolled: 1-line block ×4, first 2 shown]
	s_movk_i32 s22, 0x210
	s_waitcnt vmcnt(0) lgkmcnt(0)
	ds_write_b128 v36, v[26:29]
	flat_load_dwordx4 v[26:29], v[6:7]
	v_cndmask_b32_e64 v7, v40, v39, s[12:13]
	v_cndmask_b32_e64 v6, v52, v38, s[12:13]
	v_add_f32_e32 v38, 0x40051340, v23
	v_add_f32_e32 v39, 0x40051340, v24
	v_mov_b32_e32 v36, 0x7f800000
	s_waitcnt vmcnt(0) lgkmcnt(0)
	ds_write_b128 v5, v[26:29]
	flat_load_dwordx4 v[26:29], v[6:7]
	v_cndmask_b32_e64 v7, v40, v43, s[14:15]
	v_cndmask_b32_e64 v6, v52, v42, s[14:15]
	v_cmp_gt_u32_e64 s[14:15], s23, v30
	v_cndmask_b32_e64 v30, v52, v46, s[0:1]
	v_add_f32_e32 v42, 0x40051340, v25
	v_add_f32_e32 v43, 0x40051340, v18
	s_waitcnt vmcnt(0) lgkmcnt(0)
	ds_write_b128 v4, v[26:29]
	flat_load_dwordx4 v[4:7], v[6:7]
	v_cndmask_b32_e64 v27, v40, v45, s[6:7]
	v_cndmask_b32_e64 v26, v52, v44, s[6:7]
	v_or_b32_e32 v28, 1, v8
	v_cndmask_b32_e64 v8, v41, v35, s[18:19]
	v_max_f32_e32 v35, v8, v8
	v_max_f32_e32 v35, v35, v38
	v_cmp_gt_u32_e64 s[12:13], s23, v28
	v_mov_b32_e32 v29, s8
	v_mad_u32_u24 v44, v109, s9, 0
	v_cndmask_b32_e64 v8, v8, v35, s[12:13]
	v_max_f32_e32 v28, v8, v8
	v_max_f32_e32 v28, v28, v39
	v_cndmask_b32_e64 v8, v8, v28, s[14:15]
	v_max_f32_e32 v28, v8, v8
	v_max_f32_e32 v28, v28, v42
	;; [unrolled: 3-line block ×3, first 2 shown]
	v_add_u32_e32 v45, 64, v56
	v_cmp_lt_i32_e32 vcc, v57, v45
	v_add3_u32 v11, v44, v9, v108
	v_cmp_gt_u32_e64 s[6:7], s23, v33
	v_cndmask_b32_e32 v9, v34, v57, vcc
	v_cmp_lt_i32_e32 vcc, v58, v45
	v_lshlrev_b32_e32 v9, 2, v9
	v_add3_u32 v12, v44, v12, v108
	v_cndmask_b32_e32 v34, v34, v58, vcc
	v_cmp_gt_u32_e32 vcc, s23, v10
	v_cndmask_b32_e64 v33, v40, v49, s[20:21]
	v_cndmask_b32_e64 v35, v40, v51, s[4:5]
	s_waitcnt vmcnt(0) lgkmcnt(0)
	ds_write_b128 v3, v[4:7]
	flat_load_dwordx4 v[4:7], v[26:27]
	v_mov_b32_e32 v3, s8
	v_mov_b32_e32 v27, s8
	;; [unrolled: 1-line block ×3, first 2 shown]
	v_cmp_gt_u32_e64 s[8:9], s23, v13
	s_waitcnt vmcnt(0) lgkmcnt(0)
	ds_write_b128 v2, v[4:7]
	flat_load_dwordx4 v[4:7], v[30:31]
	v_cndmask_b32_e64 v8, v8, v28, s[8:9]
	v_max_f32_e32 v13, v8, v8
	v_max_f32_e32 v13, v13, v53
	v_cndmask_b32_e64 v8, v8, v13, s[10:11]
	v_max_f32_e32 v13, v8, v8
	v_max_f32_e32 v13, v13, v54
	v_cndmask_b32_e32 v8, v8, v13, vcc
	v_max_f32_e32 v10, v8, v8
	v_max_f32_e32 v10, v10, v55
	v_cndmask_b32_e64 v10, v8, v10, s[6:7]
	ds_bpermute_b32 v13, v9, v10
	v_max_f32_e32 v10, v10, v10
	v_lshlrev_b32_e32 v8, 2, v34
	v_cndmask_b32_e64 v34, v52, v50, s[4:5]
	s_waitcnt lgkmcnt(0)
	v_max_f32_e32 v13, v13, v13
	v_max_f32_e32 v10, v10, v13
	ds_bpermute_b32 v13, v8, v10
	s_waitcnt lgkmcnt(0)
	v_max_f32_e32 v13, v13, v13
	v_max_f32_e32 v10, v10, v13
	v_sub_f32_e32 v13, v22, v10
	v_sub_f32_e32 v22, v23, v10
	v_mul_f32_e32 v28, 0x3fb8aa3b, v13
	v_sub_f32_e32 v23, v24, v10
	v_mul_f32_e32 v38, 0x3fb8aa3b, v22
	v_fma_f32 v46, v13, s26, -v28
	v_rndne_f32_e32 v2, v28
	v_sub_f32_e32 v24, v25, v10
	v_sub_f32_e32 v18, v18, v10
	;; [unrolled: 1-line block ×5, first 2 shown]
	v_mul_f32_e32 v39, 0x3fb8aa3b, v23
	v_fma_f32 v30, v22, s26, -v38
	v_rndne_f32_e32 v31, v38
	v_fmac_f32_e32 v46, 0x32a5705f, v13
	v_sub_f32_e32 v28, v28, v2
	v_sub_f32_e32 v25, v41, v10
	v_mul_f32_e32 v40, 0x3fb8aa3b, v24
	v_mul_f32_e32 v41, 0x3fb8aa3b, v18
	;; [unrolled: 1-line block ×5, first 2 shown]
	v_fma_f32 v47, v23, s26, -v39
	v_rndne_f32_e32 v48, v39
	v_fmac_f32_e32 v30, 0x32a5705f, v22
	v_sub_f32_e32 v38, v38, v31
	v_add_f32_e32 v28, v28, v46
	v_mul_f32_e32 v45, 0x3fb8aa3b, v25
	v_fma_f32 v49, v24, s26, -v40
	v_rndne_f32_e32 v50, v40
	v_fma_f32 v51, v18, s26, -v41
	v_rndne_f32_e32 v52, v41
	;; [unrolled: 2-line block ×5, first 2 shown]
	v_cvt_i32_f32_e32 v2, v2
	v_fmac_f32_e32 v47, 0x32a5705f, v23
	v_sub_f32_e32 v39, v39, v48
	v_add_f32_e32 v30, v38, v30
	v_exp_f32_e32 v28, v28
	v_fma_f32 v59, v25, s26, -v45
	v_rndne_f32_e32 v60, v45
	v_cvt_i32_f32_e32 v31, v31
	v_fmac_f32_e32 v49, 0x32a5705f, v24
	v_sub_f32_e32 v40, v40, v50
	v_fmac_f32_e32 v51, 0x32a5705f, v18
	v_sub_f32_e32 v41, v41, v52
	v_fmac_f32_e32 v53, 0x32a5705f, v19
	v_sub_f32_e32 v42, v42, v54
	v_fmac_f32_e32 v55, 0x32a5705f, v20
	v_sub_f32_e32 v43, v43, v56
	v_fmac_f32_e32 v57, 0x32a5705f, v21
	v_sub_f32_e32 v44, v44, v58
	v_add_f32_e32 v38, v39, v47
	v_exp_f32_e32 v30, v30
	v_cvt_i32_f32_e32 v48, v48
	v_fmac_f32_e32 v59, 0x32a5705f, v25
	v_sub_f32_e32 v45, v45, v60
	v_add_f32_e32 v39, v40, v49
	v_add_f32_e32 v40, v41, v51
	;; [unrolled: 1-line block ×5, first 2 shown]
	v_exp_f32_e32 v38, v38
	v_cvt_i32_f32_e32 v50, v50
	v_cvt_i32_f32_e32 v54, v54
	;; [unrolled: 1-line block ×3, first 2 shown]
	v_add_f32_e32 v44, v45, v59
	v_exp_f32_e32 v39, v39
	v_exp_f32_e32 v41, v41
	;; [unrolled: 1-line block ×3, first 2 shown]
	v_cvt_i32_f32_e32 v52, v52
	v_cvt_i32_f32_e32 v56, v56
	;; [unrolled: 1-line block ×3, first 2 shown]
	v_exp_f32_e32 v40, v40
	v_exp_f32_e32 v42, v42
	;; [unrolled: 1-line block ×3, first 2 shown]
	v_ldexp_f32 v2, v28, v2
	v_cmp_ngt_f32_e64 s[0:1], s25, v13
	v_ldexp_f32 v28, v30, v31
	v_ldexp_f32 v30, v38, v48
	v_cndmask_b32_e64 v2, 0, v2, s[0:1]
	v_cmp_ngt_f32_e64 s[0:1], s25, v22
	v_ldexp_f32 v31, v39, v50
	v_ldexp_f32 v39, v41, v54
	v_cndmask_b32_e64 v28, 0, v28, s[0:1]
	v_cmp_ngt_f32_e64 s[0:1], s25, v23
	v_ldexp_f32 v41, v43, v58
	s_waitcnt vmcnt(0)
	ds_write_b128 v1, v[4:7]
	v_cndmask_b32_e64 v43, 0, v30, s[0:1]
	v_cmp_ngt_f32_e64 s[0:1], s25, v24
	v_ldexp_f32 v38, v40, v52
	v_ldexp_f32 v40, v42, v56
	;; [unrolled: 1-line block ×3, first 2 shown]
	v_cndmask_b32_e64 v44, 0, v31, s[0:1]
	flat_load_dwordx4 v[30:33], v[32:33]
	v_cmp_ngt_f32_e64 s[0:1], s25, v18
	s_waitcnt vmcnt(0) lgkmcnt(0)
	ds_write_b128 v0, v[30:33]
	v_cndmask_b32_e64 v1, 0, v38, s[0:1]
	v_cmp_ngt_f32_e64 s[0:1], s25, v19
	s_nop 1
	v_cndmask_b32_e64 v4, 0, v39, s[0:1]
	v_cmp_ngt_f32_e64 s[0:1], s25, v20
	s_nop 1
	;; [unrolled: 3-line block ×4, first 2 shown]
	v_cndmask_b32_e64 v7, 0, v42, s[0:1]
	v_cmp_nlt_f32_e64 s[0:1], s24, v13
	s_nop 1
	v_cndmask_b32_e64 v2, v36, v2, s[0:1]
	v_cmp_nlt_f32_e64 s[0:1], s24, v22
	v_cndmask_b32_e64 v2, 0, v2, s[18:19]
	s_nop 0
	v_cndmask_b32_e64 v13, v36, v28, s[0:1]
	v_cmp_nlt_f32_e64 s[0:1], s24, v23
	s_nop 1
	v_cndmask_b32_e64 v22, v36, v43, s[0:1]
	v_cmp_nlt_f32_e64 s[0:1], s24, v24
	;; [unrolled: 3-line block ×4, first 2 shown]
	v_cndmask_b32_e64 v1, v15, v13, s[12:13]
	v_add_f32_e32 v13, v13, v2
	v_cndmask_b32_e64 v38, v36, v4, s[0:1]
	v_cmp_nlt_f32_e64 s[0:1], s24, v20
	v_cndmask_b32_e64 v4, v14, v22, s[14:15]
	v_cndmask_b32_e64 v14, v16, v28, s[8:9]
	;; [unrolled: 1-line block ×3, first 2 shown]
	v_cmp_nlt_f32_e64 s[0:1], s24, v21
	v_cndmask_b32_e32 v16, v26, v39, vcc
	s_nop 0
	v_cndmask_b32_e64 v40, v36, v6, s[0:1]
	v_cmp_nlt_f32_e64 s[0:1], s24, v25
	v_cndmask_b32_e64 v6, v3, v23, s[16:17]
	v_cndmask_b32_e64 v3, v27, v38, s[10:11]
	;; [unrolled: 1-line block ×3, first 2 shown]
	v_cvt_pk_f16_f32 v7, v4, v6
	v_cvt_pk_f16_f32 v6, v2, v1
	v_cndmask_b32_e64 v1, v2, v13, s[12:13]
	v_add_f32_e32 v2, v1, v22
	v_cndmask_b32_e64 v1, v1, v2, s[14:15]
	v_add_f32_e32 v2, v1, v23
	v_cvt_pk_f16_f32 v4, v14, v3
	v_cndmask_b32_e64 v41, v1, v2, s[16:17]
	flat_load_dwordx4 v[0:3], v[34:35]
	v_cmp_le_f32_e64 s[0:1], s3, v25
	v_add_f32_e32 v28, v28, v41
	v_cndmask_b32_e64 v15, v29, v40, s[6:7]
	v_cndmask_b32_e64 v36, 0, v5, s[0:1]
	v_cvt_f16_f32_e32 v18, v36
	v_cndmask_b32_e64 v28, v41, v28, s[8:9]
	v_add_f32_e32 v38, v38, v28
	v_cndmask_b32_e64 v28, v28, v38, s[10:11]
	v_mul_u32_u24_e32 v13, 0x10001, v18
	v_pk_mul_f16 v29, v103, v13
	v_pk_mul_f16 v42, v100, v13
	v_cvt_f32_f16_e32 v33, v29
	v_pk_mul_f16 v43, v102, v13
	v_pk_mul_f16 v44, v101, v13
	v_pk_mul_f16 v45, v161, v13
	v_pk_mul_f16 v46, v105, v13
	v_pk_mul_f16 v47, v165, v13
	v_pk_mul_f16 v48, v164, v13
	v_pk_mul_f16 v49, v169, v13
	v_pk_mul_f16 v50, v168, v13
	v_pk_mul_f16 v51, v175, v13
	v_pk_mul_f16 v52, v174, v13
	v_pk_mul_f16 v53, v181, v13
	v_pk_mul_f16 v54, v180, v13
	v_pk_mul_f16 v55, v185, v13
	v_pk_mul_f16 v56, v184, v13
	v_cvt_f32_f16_sdwa v34, v29 dst_sel:DWORD dst_unused:UNUSED_PAD src0_sel:WORD_1
	v_cvt_f32_f16_e32 v35, v42
	v_cvt_f32_f16_sdwa v42, v42 dst_sel:DWORD dst_unused:UNUSED_PAD src0_sel:WORD_1
	v_cvt_f32_f16_e32 v59, v43
	;; [unrolled: 2-line block ×15, first 2 shown]
	v_cvt_f32_f16_sdwa v56, v56 dst_sel:DWORD dst_unused:UNUSED_PAD src0_sel:WORD_1
	v_add_f32_e32 v38, v39, v28
	v_cndmask_b32_e32 v28, v28, v38, vcc
	v_accvgpr_write_b32 a0, v33
	v_add_f32_e32 v33, v40, v28
	v_pk_mul_f16 v57, v179, v13
	v_pk_mul_f16 v58, v178, v13
	v_cndmask_b32_e64 v28, v28, v33, s[6:7]
	v_cvt_f32_f16_e32 v29, v57
	v_cvt_f32_f16_sdwa v30, v57 dst_sel:DWORD dst_unused:UNUSED_PAD src0_sel:WORD_1
	v_cvt_f32_f16_e32 v31, v58
	v_cvt_f32_f16_sdwa v32, v58 dst_sel:DWORD dst_unused:UNUSED_PAD src0_sel:WORD_1
	v_accvgpr_write_b32 a1, v34
	v_accvgpr_write_b32 a2, v35
	;; [unrolled: 1-line block ×31, first 2 shown]
	v_fmac_f32_e32 v28, v37, v36
	s_waitcnt vmcnt(0) lgkmcnt(0)
	ds_write_b128 v17, v[0:3]
	s_waitcnt lgkmcnt(0)
	s_barrier
	ds_read_u16 v3, v11
	ds_read_u16 v17, v11 offset:32
	ds_read_u16 v33, v11 offset:64
	;; [unrolled: 1-line block ×23, first 2 shown]
	ds_read_u16 v36, v12
	ds_read_u16 v40, v12 offset:32
	ds_read_u16 v44, v12 offset:64
	;; [unrolled: 1-line block ×55, first 2 shown]
	s_waitcnt lgkmcnt(14)
	v_perm_b32 v39, v40, v39, s2
	v_perm_b32 v38, v38, v17, s2
	;; [unrolled: 1-line block ×4, first 2 shown]
	v_mfma_f32_16x16x16_f16 a[4:7], v[38:39], v[6:7], a[4:7]
	v_perm_b32 v38, v49, v48, s2
	v_perm_b32 v49, v63, v58, s2
	;; [unrolled: 1-line block ×6, first 2 shown]
	v_mfma_f32_16x16x16_f16 a[0:3], v[34:35], v[6:7], a[0:3]
	v_perm_b32 v35, v61, v56, s2
	v_perm_b32 v34, v47, v46, s2
	v_perm_b32 v44, v76, v68, s2
	v_mfma_f32_16x16x16_f16 a[20:23], v[48:49], v[6:7], a[20:23]
	v_perm_b32 v49, v67, v60, s2
	v_perm_b32 v48, v55, v52, s2
	v_perm_b32 v46, v77, v69, s2
	;; [unrolled: 4-line block ×3, first 2 shown]
	v_mfma_f32_16x16x16_f16 a[8:11], v[42:43], v[6:7], a[8:11]
	v_perm_b32 v42, v78, v70, s2
	v_accvgpr_read_b32 v3, a0
	v_accvgpr_read_b32 v17, a1
	v_mfma_f32_16x16x16_f16 a[12:15], v[34:35], v[6:7], a[12:15]
	v_perm_b32 v34, v79, v71, s2
	v_accvgpr_read_b32 v33, a2
	v_accvgpr_read_b32 v52, a5
	v_mfma_f32_16x16x16_f16 a[28:31], v[48:49], v[6:7], a[28:31]
	v_accvgpr_read_b32 v48, a3
	v_accvgpr_read_b32 v49, a4
	;; [unrolled: 1-line block ×3, first 2 shown]
	v_mfma_f32_16x16x16_f16 a[24:27], v[38:39], v[6:7], a[24:27]
	v_perm_b32 v38, v81, v73, s2
	v_accvgpr_read_b32 v55, a7
	v_accvgpr_read_b32 v56, a8
	v_accvgpr_read_b32 v57, a9
	v_accvgpr_read_b32 v58, a10
	v_accvgpr_read_b32 v59, a11
	v_accvgpr_read_b32 v60, a12
	v_accvgpr_read_b32 v61, a13
	v_accvgpr_read_b32 v62, a14
	v_accvgpr_read_b32 v63, a15
	v_accvgpr_read_b32 v66, a16
	v_accvgpr_read_b32 v67, a17
	v_accvgpr_read_b32 v68, a18
	v_accvgpr_read_b32 v69, a19
	v_accvgpr_read_b32 v70, a20
	v_accvgpr_read_b32 v71, a21
	v_accvgpr_read_b32 v72, a22
	v_accvgpr_read_b32 v73, a23
	v_accvgpr_read_b32 v78, a28
	v_accvgpr_read_b32 v79, a29
	v_accvgpr_read_b32 v80, a30
	v_accvgpr_read_b32 v81, a31
	v_cvt_f16_f32_e32 v3, v3
	v_cvt_f16_f32_e32 v17, v17
	;; [unrolled: 1-line block ×28, first 2 shown]
	v_perm_b32 v37, v89, v37, s2
	v_perm_b32 v36, v74, v41, s2
	;; [unrolled: 1-line block ×9, first 2 shown]
	v_cvt_f32_f16_e32 v3, v3
	v_cvt_f32_f16_e32 v17, v17
	;; [unrolled: 1-line block ×28, first 2 shown]
	v_cvt_pk_f16_f32 v5, v16, v15
	v_accvgpr_write_b32 a0, v3
	v_accvgpr_write_b32 a1, v17
	;; [unrolled: 1-line block ×28, first 2 shown]
	s_waitcnt lgkmcnt(7)
	v_perm_b32 v53, v102, v97, s2
	v_mfma_f32_16x16x16_f16 a[0:3], v[36:37], v[4:5], a[0:3]
	v_accvgpr_read_b32 v74, a24
	v_accvgpr_read_b32 v75, a25
	;; [unrolled: 1-line block ×3, first 2 shown]
	v_mfma_f32_16x16x16_f16 a[4:7], v[40:41], v[4:5], a[4:7]
	v_accvgpr_read_b32 v77, a27
	v_accvgpr_write_b32 a32, v29
	v_accvgpr_write_b32 a33, v30
	v_mfma_f32_16x16x16_f16 a[8:11], v[44:45], v[4:5], a[8:11]
	v_accvgpr_write_b32 a34, v31
	v_accvgpr_write_b32 a35, v32
	v_cvt_f16_f32_e32 v74, v74
	v_mfma_f32_16x16x16_f16 a[12:15], v[46:47], v[4:5], a[12:15]
	v_cvt_f16_f32_e32 v75, v75
	v_cvt_f16_f32_e32 v76, v76
	;; [unrolled: 1-line block ×3, first 2 shown]
	v_mfma_f32_16x16x16_f16 a[16:19], v[42:43], v[4:5], a[16:19]
	v_perm_b32 v51, v95, v87, s2
	v_cvt_f32_f16_e32 v74, v74
	v_cvt_f32_f16_e32 v75, v75
	v_mfma_f32_16x16x16_f16 a[20:23], v[34:35], v[4:5], a[20:23]
	v_cvt_f32_f16_e32 v76, v76
	v_cvt_f32_f16_e32 v77, v77
	v_accvgpr_write_b32 a24, v74
	v_mfma_f32_16x16x16_f16 a[28:31], v[38:39], v[4:5], a[28:31]
	ds_read_u16 v3, v11 offset:256
	ds_read_u16 v17, v11 offset:288
	;; [unrolled: 1-line block ×16, first 2 shown]
	s_waitcnt lgkmcnt(7)
	v_perm_b32 v52, v39, v3, s2
	v_accvgpr_write_b32 a25, v75
	v_accvgpr_write_b32 a26, v76
	v_mfma_f32_16x16x16_f16 a[32:35], v[52:53], v[6:7], a[32:35]
	v_accvgpr_write_b32 a27, v77
	v_pk_mul_f16 v27, v173, v13
	v_pk_mul_f16 v26, v172, v13
	v_mfma_f32_16x16x16_f16 a[24:27], v[50:51], v[4:5], a[24:27]
	v_pk_mul_f16 v25, v160, v13
	v_pk_mul_f16 v24, v159, v13
	s_nop 1
	v_accvgpr_read_b32 v30, a34
	v_accvgpr_read_b32 v31, a35
	v_cvt_f16_f32_e32 v30, v30
	v_cvt_f16_f32_e32 v31, v31
	v_accvgpr_read_b32 v3, a32
	v_accvgpr_read_b32 v29, a33
	v_cvt_f16_f32_e32 v3, v3
	v_cvt_f16_f32_e32 v29, v29
	v_cvt_f32_f16_e32 v32, v30
	v_cvt_f32_f16_e32 v39, v31
	ds_read_u16 v30, v11 offset:18208
	ds_read_u16 v47, v11 offset:18240
	;; [unrolled: 1-line block ×16, first 2 shown]
	s_waitcnt lgkmcnt(7)
	v_perm_b32 v31, v31, v30, s2
	ds_read_u16 v30, v11 offset:17152
	ds_read_u16 v60, v11 offset:17184
	;; [unrolled: 1-line block ×16, first 2 shown]
	v_cvt_f32_f16_e32 v3, v3
	v_cvt_f32_f16_e32 v29, v29
	s_waitcnt lgkmcnt(7)
	v_perm_b32 v30, v69, v30, s2
	v_accvgpr_write_b32 a34, v32
	v_accvgpr_write_b32 a32, v3
	;; [unrolled: 1-line block ×4, first 2 shown]
	v_cvt_f32_f16_e32 v3, v27
	v_cvt_f32_f16_sdwa v29, v27 dst_sel:DWORD dst_unused:UNUSED_PAD src0_sel:WORD_1
	v_mfma_f32_16x16x16_f16 a[32:35], v[30:31], v[4:5], a[32:35]
	v_cvt_f32_f16_e32 v30, v26
	v_cvt_f32_f16_sdwa v31, v26 dst_sel:DWORD dst_unused:UNUSED_PAD src0_sel:WORD_1
	v_perm_b32 v27, v103, v0, s2
	v_perm_b32 v26, v40, v17, s2
	v_accvgpr_write_b32 a36, v3
	v_accvgpr_write_b32 a37, v29
	;; [unrolled: 1-line block ×4, first 2 shown]
	v_perm_b32 v1, v104, v1, s2
	v_pk_mul_f16 v23, v158, v13
	v_mfma_f32_16x16x16_f16 a[36:39], v[26:27], v[6:7], a[36:39]
	v_pk_mul_f16 v22, v157, v13
	v_pk_mul_f16 v21, v156, v13
	;; [unrolled: 1-line block ×8, first 2 shown]
	v_accvgpr_read_b32 v0, a36
	v_accvgpr_read_b32 v3, a37
	;; [unrolled: 1-line block ×3, first 2 shown]
	v_cvt_f16_f32_e32 v0, v0
	v_cvt_f16_f32_e32 v3, v3
	;; [unrolled: 1-line block ×3, first 2 shown]
	v_pk_mul_f16 v13, v149, v13
	v_cvt_f32_f16_e32 v0, v0
	v_cvt_f32_f16_e32 v3, v3
	;; [unrolled: 1-line block ×3, first 2 shown]
	v_accvgpr_read_b32 v26, a39
	v_accvgpr_write_b32 a36, v0
	v_accvgpr_write_b32 a37, v3
	;; [unrolled: 1-line block ×3, first 2 shown]
	v_cvt_f32_f16_e32 v3, v25
	v_cvt_f32_f16_sdwa v17, v25 dst_sel:DWORD dst_unused:UNUSED_PAD src0_sel:WORD_1
	v_cvt_f32_f16_e32 v25, v24
	v_cvt_f32_f16_sdwa v24, v24 dst_sel:DWORD dst_unused:UNUSED_PAD src0_sel:WORD_1
	v_perm_b32 v0, v41, v33, s2
	v_accvgpr_write_b32 a40, v3
	v_accvgpr_write_b32 a41, v17
	;; [unrolled: 1-line block ×4, first 2 shown]
	v_cvt_f16_f32_e32 v26, v26
	v_perm_b32 v27, v54, v47, s2
	v_mfma_f32_16x16x16_f16 a[40:43], v[0:1], v[6:7], a[40:43]
	v_cmp_gt_u32_e64 s[0:1], 16, v64
	v_cvt_f32_f16_e32 v29, v26
	s_waitcnt lgkmcnt(6)
	v_perm_b32 v26, v70, v60, s2
	s_waitcnt lgkmcnt(0)
	s_barrier
	v_accvgpr_write_b32 a39, v29
	s_nop 0
	v_accvgpr_read_b32 v0, a40
	v_accvgpr_read_b32 v1, a41
	;; [unrolled: 1-line block ×4, first 2 shown]
	v_cvt_f16_f32_e32 v0, v0
	v_cvt_f16_f32_e32 v1, v1
	;; [unrolled: 1-line block ×4, first 2 shown]
	v_cvt_f32_f16_e32 v24, v0
	v_cvt_f32_f16_e32 v25, v1
	;; [unrolled: 1-line block ×4, first 2 shown]
	v_perm_b32 v1, v55, v48, s2
	v_perm_b32 v0, v71, v61, s2
	v_accvgpr_write_b32 a40, v24
	v_accvgpr_write_b32 a41, v25
	;; [unrolled: 1-line block ×4, first 2 shown]
	v_cvt_f32_f16_e32 v3, v23
	v_cvt_f32_f16_sdwa v17, v23 dst_sel:DWORD dst_unused:UNUSED_PAD src0_sel:WORD_1
	v_mfma_f32_16x16x16_f16 a[40:43], v[0:1], v[4:5], a[40:43]
	v_cvt_f32_f16_e32 v23, v22
	v_cvt_f32_f16_sdwa v22, v22 dst_sel:DWORD dst_unused:UNUSED_PAD src0_sel:WORD_1
	v_perm_b32 v1, v105, v2, s2
	v_perm_b32 v0, v42, v34, s2
	v_accvgpr_write_b32 a44, v3
	v_accvgpr_write_b32 a45, v17
	;; [unrolled: 1-line block ×4, first 2 shown]
	v_mfma_f32_16x16x16_f16 a[36:39], v[26:27], v[4:5], a[36:39]
	s_nop 0
	v_mfma_f32_16x16x16_f16 a[44:47], v[0:1], v[6:7], a[44:47]
	s_nop 7
	v_accvgpr_read_b32 v0, a44
	v_accvgpr_read_b32 v1, a45
	v_accvgpr_read_b32 v2, a46
	v_accvgpr_read_b32 v3, a47
	v_cvt_f16_f32_e32 v0, v0
	v_cvt_f16_f32_e32 v1, v1
	v_cvt_f16_f32_e32 v2, v2
	v_cvt_f16_f32_e32 v3, v3
	v_cvt_f32_f16_e32 v17, v0
	v_cvt_f32_f16_e32 v22, v1
	v_cvt_f32_f16_e32 v2, v2
	v_cvt_f32_f16_e32 v3, v3
	v_perm_b32 v1, v56, v49, s2
	v_perm_b32 v0, v72, v62, s2
	v_accvgpr_write_b32 a44, v17
	v_accvgpr_write_b32 a45, v22
	v_accvgpr_write_b32 a46, v2
	v_accvgpr_write_b32 a47, v3
	v_cvt_f32_f16_e32 v2, v21
	v_cvt_f32_f16_sdwa v3, v21 dst_sel:DWORD dst_unused:UNUSED_PAD src0_sel:WORD_1
	v_mfma_f32_16x16x16_f16 a[44:47], v[0:1], v[4:5], a[44:47]
	v_cvt_f32_f16_e32 v17, v20
	v_cvt_f32_f16_sdwa v20, v20 dst_sel:DWORD dst_unused:UNUSED_PAD src0_sel:WORD_1
	v_perm_b32 v1, v108, v98, s2
	v_perm_b32 v0, v43, v35, s2
	v_accvgpr_write_b32 a48, v2
	v_accvgpr_write_b32 a49, v3
	v_accvgpr_write_b32 a50, v17
	v_accvgpr_write_b32 a51, v20
	s_nop 1
	v_mfma_f32_16x16x16_f16 a[48:51], v[0:1], v[6:7], a[48:51]
	s_nop 7
	v_accvgpr_read_b32 v0, a48
	v_accvgpr_read_b32 v1, a49
	v_accvgpr_read_b32 v2, a50
	v_accvgpr_read_b32 v3, a51
	v_cvt_f16_f32_e32 v0, v0
	v_cvt_f16_f32_e32 v1, v1
	v_cvt_f16_f32_e32 v2, v2
	v_cvt_f16_f32_e32 v3, v3
	v_cvt_f32_f16_e32 v17, v0
	v_cvt_f32_f16_e32 v20, v1
	v_cvt_f32_f16_e32 v2, v2
	v_cvt_f32_f16_e32 v3, v3
	v_perm_b32 v1, v57, v50, s2
	v_perm_b32 v0, v73, v63, s2
	v_accvgpr_write_b32 a48, v17
	v_accvgpr_write_b32 a49, v20
	v_accvgpr_write_b32 a50, v2
	v_accvgpr_write_b32 a51, v3
	v_cvt_f32_f16_e32 v2, v19
	v_cvt_f32_f16_sdwa v3, v19 dst_sel:DWORD dst_unused:UNUSED_PAD src0_sel:WORD_1
	v_mfma_f32_16x16x16_f16 a[48:51], v[0:1], v[4:5], a[48:51]
	v_cvt_f32_f16_e32 v17, v18
	v_cvt_f32_f16_sdwa v18, v18 dst_sel:DWORD dst_unused:UNUSED_PAD src0_sel:WORD_1
	v_perm_b32 v1, v109, v99, s2
	v_perm_b32 v0, v44, v36, s2
	v_accvgpr_write_b32 a52, v2
	v_accvgpr_write_b32 a53, v3
	v_accvgpr_write_b32 a54, v17
	v_accvgpr_write_b32 a55, v18
	;; [unrolled: 32-line block ×4, first 2 shown]
	s_nop 1
	v_mfma_f32_16x16x16_f16 a[60:63], v[0:1], v[6:7], a[60:63]
	s_nop 7
	v_accvgpr_read_b32 v0, a60
	v_cvt_f16_f32_e32 v0, v0
	v_accvgpr_read_b32 v1, a61
	v_accvgpr_read_b32 v2, a62
	;; [unrolled: 1-line block ×3, first 2 shown]
	v_cvt_f16_f32_e32 v1, v1
	v_cvt_f16_f32_e32 v2, v2
	;; [unrolled: 1-line block ×3, first 2 shown]
	v_cvt_f32_f16_e32 v6, v0
	v_cvt_f32_f16_e32 v7, v1
	v_cvt_f32_f16_e32 v2, v2
	v_cvt_f32_f16_e32 v3, v3
	v_perm_b32 v1, v12, v53, s2
	v_perm_b32 v0, v11, v68, s2
	v_accvgpr_write_b32 a60, v6
	ds_bpermute_b32 v6, v9, v28
	v_accvgpr_write_b32 a61, v7
	v_accvgpr_write_b32 a62, v2
	;; [unrolled: 1-line block ×3, first 2 shown]
	s_nop 1
	v_mfma_f32_16x16x16_f16 a[60:63], v[0:1], v[4:5], a[60:63]
	s_waitcnt lgkmcnt(0)
	v_add_f32_e32 v0, v28, v6
	ds_bpermute_b32 v1, v8, v0
	s_and_saveexec_b64 s[2:3], s[0:1]
	s_cbranch_execz .LBB29_397
; %bb.396:
	s_waitcnt lgkmcnt(0)
	v_add_f32_e32 v0, v0, v1
	v_or_b32_e32 v1, v213, v64
	v_mad_u32_u24 v1, v1, s22, 0
	ds_write2_b32 v1, v10, v0 offset0:128 offset1:129
.LBB29_397:
	s_or_b64 exec, exec, s[2:3]
	v_and_b32_e32 v0, 1, v192
	v_cmp_eq_u32_e32 vcc, 0, v0
	v_cmp_eq_u32_e64 s[4:5], 1, v0
	s_waitcnt lgkmcnt(0)
	s_barrier
	s_and_saveexec_b64 s[2:3], s[4:5]
	s_xor_b64 s[2:3], exec, s[2:3]
	s_cbranch_execz .LBB29_399
; %bb.398:
	s_barrier
                                        ; implicit-def: $vgpr214
                                        ; implicit-def: $vgpr8
.LBB29_399:
	s_or_saveexec_b64 s[2:3], s[2:3]
	v_readlane_b32 s4, v254, 26
	v_readlane_b32 s14, v254, 36
	v_readlane_b32 s15, v254, 37
	v_readlane_b32 s18, v254, 40
	v_readlane_b32 s19, v254, 41
	s_mov_b64 s[14:15], s[18:19]
	v_readlane_b32 s5, v254, 27
	v_readlane_b32 s6, v254, 28
	;; [unrolled: 1-line block ×11, first 2 shown]
	s_xor_b64 exec, exec, s[2:3]
	s_cbranch_execz .LBB29_405
; %bb.400:
	v_and_or_b32 v1, v64, 31, v213
	s_movk_i32 s4, 0x210
	v_mad_u32_u24 v0, v1, s4, 0
	ds_read_b64 v[4:5], v0 offset:512
	s_mov_b32 s4, 0x3fb8aa3b
	s_mov_b32 s6, 0x42b17218
	s_waitcnt lgkmcnt(0)
	s_barrier
	ds_bpermute_b32 v0, v8, v4
	v_max_f32_e32 v2, v4, v4
	s_waitcnt lgkmcnt(0)
	v_max_f32_e32 v0, v0, v0
	v_max_f32_e32 v0, v2, v0
	v_sub_f32_e32 v2, v4, v0
	v_mul_f32_e32 v3, 0x3fb8aa3b, v2
	v_fma_f32 v4, v2, s4, -v3
	v_rndne_f32_e32 v6, v3
	v_fmamk_f32 v4, v2, 0x32a5705f, v4
	v_sub_f32_e32 v3, v3, v6
	v_add_f32_e32 v3, v3, v4
	v_cvt_i32_f32_e32 v6, v6
	v_exp_f32_e32 v3, v3
	s_mov_b32 s4, 0xc2ce8ed0
	v_cmp_ngt_f32_e64 s[4:5], s4, v2
	v_mov_b32_e32 v4, 0x7f800000
	v_ldexp_f32 v3, v3, v6
	v_cndmask_b32_e64 v3, 0, v3, s[4:5]
	v_cmp_nlt_f32_e64 s[4:5], s6, v2
	s_nop 1
	v_cndmask_b32_e64 v2, v4, v3, s[4:5]
	v_mul_f32_e32 v3, v5, v2
	ds_bpermute_b32 v3, v8, v3
	v_cmp_gt_u32_e64 s[4:5], 32, v64
	s_waitcnt lgkmcnt(0)
	v_fmac_f32_e32 v3, v5, v2
	s_and_saveexec_b64 s[6:7], s[4:5]
; %bb.401:
	v_mul_u32_u24_e32 v1, 0x210, v1
	v_add_u32_e32 v1, 0, v1
	ds_write_b64 v1, v[2:3] offset:512
; %bb.402:
	s_or_b64 exec, exec, s[6:7]
	s_and_saveexec_b64 s[4:5], s[0:1]
	s_cbranch_execz .LBB29_404
; %bb.403:
	s_add_i32 s0, s61, s60
	s_lshl_b32 s0, s0, 5
	s_mov_b32 s1, 0
	s_lshl_b64 s[0:1], s[0:1], 3
	s_add_u32 s0, s14, s0
	v_or_b32_e32 v1, v214, v64
	s_addc_u32 s1, s15, s1
	v_lshlrev_b32_e32 v2, 3, v1
	v_mov_b32_e32 v1, v3
	global_store_dwordx2 v2, v[0:1], s[0:1]
.LBB29_404:
	s_or_b64 exec, exec, s[4:5]
.LBB29_405:
	s_or_b64 exec, exec, s[2:3]
	v_accvgpr_read_b32 v0, a60
	v_accvgpr_read_b32 v1, a61
	;; [unrolled: 1-line block ×3, first 2 shown]
	v_cvt_pk_f16_f32 v0, v0, v1
	v_or_b32_e32 v1, v213, v106
	v_accvgpr_read_b32 v62, a2
	v_accvgpr_read_b32 v61, a1
	;; [unrolled: 1-line block ×17, first 2 shown]
	v_mul_u32_u24_e32 v1, 0x210, v1
	v_accvgpr_read_b32 v58, a6
	v_accvgpr_read_b32 v57, a5
	v_accvgpr_read_b32 v56, a4
	v_accvgpr_read_b32 v54, a10
	v_accvgpr_read_b32 v53, a9
	v_accvgpr_read_b32 v52, a8
	v_accvgpr_read_b32 v50, a14
	v_accvgpr_read_b32 v49, a13
	v_accvgpr_read_b32 v48, a12
	v_accvgpr_read_b32 v46, a18
	v_accvgpr_read_b32 v45, a17
	v_accvgpr_read_b32 v44, a16
	v_accvgpr_read_b32 v42, a22
	v_accvgpr_read_b32 v41, a21
	v_accvgpr_read_b32 v40, a20
	v_accvgpr_read_b32 v38, a26
	v_accvgpr_read_b32 v37, a25
	v_accvgpr_read_b32 v36, a24
	v_accvgpr_read_b32 v34, a30
	v_accvgpr_read_b32 v33, a29
	v_accvgpr_read_b32 v32, a28
	v_accvgpr_read_b32 v29, a33
	v_accvgpr_read_b32 v30, a34
	v_accvgpr_read_b32 v31, a35
	v_accvgpr_read_b32 v25, a37
	v_accvgpr_read_b32 v26, a38
	v_accvgpr_read_b32 v27, a39
	v_accvgpr_read_b32 v21, a41
	v_accvgpr_read_b32 v22, a42
	v_accvgpr_read_b32 v23, a43
	v_accvgpr_read_b32 v17, a45
	v_accvgpr_read_b32 v18, a46
	v_accvgpr_read_b32 v19, a47
	v_accvgpr_read_b32 v13, a49
	v_accvgpr_read_b32 v14, a50
	v_accvgpr_read_b32 v15, a51
	v_accvgpr_read_b32 v9, a53
	v_accvgpr_read_b32 v10, a54
	v_accvgpr_read_b32 v11, a55
	v_accvgpr_read_b32 v5, a57
	v_accvgpr_read_b32 v6, a58
	v_accvgpr_read_b32 v7, a59
	v_accvgpr_read_b32 v2, a62
	v_accvgpr_read_b32 v3, a63
	v_cvt_pk_f16_f32 v62, v62, v63
	v_cvt_pk_f16_f32 v60, v60, v61
	s_movk_i32 s4, 0x210
	s_mov_b32 s3, 0
	v_add3_u32 v1, 0, v1, v107
	v_cvt_pk_f16_f32 v58, v58, v59
	v_cvt_pk_f16_f32 v56, v56, v57
	v_cvt_pk_f16_f32 v54, v54, v55
	v_cvt_pk_f16_f32 v52, v52, v53
	v_cvt_pk_f16_f32 v50, v50, v51
	v_cvt_pk_f16_f32 v48, v48, v49
	v_cvt_pk_f16_f32 v46, v46, v47
	v_cvt_pk_f16_f32 v44, v44, v45
	v_cvt_pk_f16_f32 v42, v42, v43
	v_cvt_pk_f16_f32 v40, v40, v41
	v_cvt_pk_f16_f32 v38, v38, v39
	v_cvt_pk_f16_f32 v36, v36, v37
	v_cvt_pk_f16_f32 v34, v34, v35
	v_cvt_pk_f16_f32 v32, v32, v33
	v_cvt_pk_f16_f32 v30, v30, v31
	v_cvt_pk_f16_f32 v28, v28, v29
	v_cvt_pk_f16_f32 v26, v26, v27
	v_cvt_pk_f16_f32 v24, v24, v25
	v_cvt_pk_f16_f32 v22, v22, v23
	v_cvt_pk_f16_f32 v20, v20, v21
	v_cvt_pk_f16_f32 v18, v18, v19
	v_cvt_pk_f16_f32 v16, v16, v17
	v_cvt_pk_f16_f32 v14, v14, v15
	v_cvt_pk_f16_f32 v12, v12, v13
	v_cvt_pk_f16_f32 v10, v10, v11
	v_cvt_pk_f16_f32 v8, v8, v9
	v_cvt_pk_f16_f32 v6, v6, v7
	v_cvt_pk_f16_f32 v4, v4, v5
	v_cvt_pk_f16_f32 v2, v2, v3
	ds_write2_b32 v1, v60, v62 offset1:1
	ds_write2_b32 v1, v56, v58 offset0:8 offset1:9
	ds_write2_b32 v1, v52, v54 offset0:16 offset1:17
	;; [unrolled: 1-line block ×15, first 2 shown]
	s_waitcnt lgkmcnt(0)
	s_barrier
	s_and_saveexec_b64 s[0:1], vcc
	s_cbranch_execz .LBB29_407
; %bb.406:
	s_lshl_b32 s2, s60, 12
	s_lshl_b64 s[6:7], s[2:3], 3
	s_add_u32 s5, s14, s6
	s_addc_u32 s6, s15, s7
	s_lshl_b32 s2, s61, 6
	s_lshl_b64 s[2:3], s[2:3], 3
	s_add_u32 s2, s5, s2
	v_bfe_u32 v1, v192, 1, 4
	s_movk_i32 s5, 0x3e0
	v_and_or_b32 v2, v192, s5, v1
	v_mad_u32_u24 v6, v2, s4, 0
	v_add_u32_e32 v4, v6, v65
	ds_read2st64_b32 v[2:3], v4 offset1:1
	ds_read2st64_b32 v[4:5], v4 offset0:33 offset1:34
	ds_read2st64_b32 v[6:7], v6 offset0:2 offset1:35
	v_lshrrev_b32_e32 v0, 1, v192
	v_lshlrev_b32_e32 v12, 6, v192
	s_waitcnt lgkmcnt(2)
	v_cvt_f32_f16_e32 v8, v2
	v_cvt_f32_f16_sdwa v9, v2 dst_sel:DWORD dst_unused:UNUSED_PAD src0_sel:WORD_1
	s_waitcnt lgkmcnt(1)
	v_cvt_f32_f16_e32 v10, v4
	v_cvt_f32_f16_sdwa v11, v4 dst_sel:DWORD dst_unused:UNUSED_PAD src0_sel:WORD_1
	s_waitcnt lgkmcnt(0)
	v_mov_b32_e32 v2, v7
	v_pk_fma_f32 v[8:9], v[6:7], v[8:9], 0 op_sel_hi:[0,1,0]
	s_addc_u32 s3, s6, s3
	v_add_lshl_u32 v12, v64, v12, 3
	v_pk_fma_f32 v[8:9], v[2:3], v[10:11], v[8:9] op_sel_hi:[0,1,1]
	v_add_u32_e32 v13, 2, v0
	global_store_dwordx2 v12, v[8:9], s[2:3]
	v_cvt_f32_f16_e32 v8, v3
	v_cvt_f32_f16_sdwa v9, v3 dst_sel:DWORD dst_unused:UNUSED_PAD src0_sel:WORD_1
	v_lshlrev_b32_e32 v3, 1, v13
	v_and_b32_e32 v7, 15, v13
	s_movk_i32 s5, 0x7e0
	v_and_or_b32 v3, v3, s5, v7
	v_mad_u32_u24 v14, v3, s4, 0
	v_add_u32_e32 v15, v14, v65
	v_cvt_f32_f16_e32 v4, v5
	v_cvt_f32_f16_sdwa v5, v5 dst_sel:DWORD dst_unused:UNUSED_PAD src0_sel:WORD_1
	ds_read2st64_b32 v[10:11], v15 offset1:1
	v_pk_fma_f32 v[6:7], v[6:7], v[8:9], 0 op_sel_hi:[0,1,0]
	v_pk_fma_f32 v[2:3], v[2:3], v[4:5], v[6:7] op_sel_hi:[0,1,1]
	ds_read2st64_b32 v[4:5], v14 offset0:2 offset1:35
	ds_read2st64_b32 v[6:7], v15 offset0:33 offset1:34
	s_waitcnt lgkmcnt(2)
	v_cvt_f32_f16_e32 v8, v10
	v_cvt_f32_f16_sdwa v9, v10 dst_sel:DWORD dst_unused:UNUSED_PAD src0_sel:WORD_1
	global_store_dwordx2 v12, v[2:3], s[2:3] offset:512
	v_lshlrev_b32_e32 v2, 7, v13
	v_add_lshl_u32 v14, v64, v2, 3
	s_waitcnt lgkmcnt(1)
	v_pk_fma_f32 v[2:3], v[4:5], v[8:9], 0 op_sel_hi:[0,1,0]
	s_waitcnt lgkmcnt(0)
	v_cvt_f32_f16_e32 v8, v6
	v_cvt_f32_f16_sdwa v9, v6 dst_sel:DWORD dst_unused:UNUSED_PAD src0_sel:WORD_1
	v_cvt_f32_f16_e32 v10, v11
	v_cvt_f32_f16_sdwa v11, v11 dst_sel:DWORD dst_unused:UNUSED_PAD src0_sel:WORD_1
	v_cvt_f32_f16_e32 v12, v7
	v_cvt_f32_f16_sdwa v13, v7 dst_sel:DWORD dst_unused:UNUSED_PAD src0_sel:WORD_1
	v_mov_b32_e32 v6, v5
	v_pk_fma_f32 v[2:3], v[6:7], v[8:9], v[2:3] op_sel_hi:[0,1,1]
	global_store_dwordx2 v14, v[2:3], s[2:3]
	v_pk_fma_f32 v[2:3], v[4:5], v[10:11], 0 op_sel_hi:[0,1,0]
	v_pk_fma_f32 v[2:3], v[6:7], v[12:13], v[2:3] op_sel_hi:[0,1,1]
	v_add_u32_e32 v6, 4, v0
	v_lshlrev_b32_e32 v4, 1, v6
	v_and_b32_e32 v5, 15, v6
	v_and_or_b32 v4, v4, s5, v5
	v_mad_u32_u24 v7, v4, s4, 0
	v_add_u32_e32 v8, v7, v65
	ds_read2st64_b32 v[4:5], v8 offset1:1
	global_store_dwordx2 v14, v[2:3], s[2:3] offset:512
	ds_read2st64_b32 v[2:3], v8 offset0:33 offset1:34
	v_lshlrev_b32_e32 v12, 7, v6
	ds_read2st64_b32 v[6:7], v7 offset0:2 offset1:35
	s_waitcnt lgkmcnt(2)
	v_cvt_f32_f16_e32 v8, v4
	v_cvt_f32_f16_sdwa v9, v4 dst_sel:DWORD dst_unused:UNUSED_PAD src0_sel:WORD_1
	s_waitcnt lgkmcnt(1)
	v_cvt_f32_f16_e32 v10, v2
	v_cvt_f32_f16_sdwa v11, v2 dst_sel:DWORD dst_unused:UNUSED_PAD src0_sel:WORD_1
	s_waitcnt lgkmcnt(0)
	v_mov_b32_e32 v2, v7
	v_pk_fma_f32 v[8:9], v[6:7], v[8:9], 0 op_sel_hi:[0,1,0]
	v_add_lshl_u32 v12, v64, v12, 3
	v_pk_fma_f32 v[8:9], v[2:3], v[10:11], v[8:9] op_sel_hi:[0,1,1]
	v_add_u32_e32 v13, 6, v0
	global_store_dwordx2 v12, v[8:9], s[2:3]
	v_cvt_f32_f16_e32 v8, v3
	v_cvt_f32_f16_sdwa v9, v3 dst_sel:DWORD dst_unused:UNUSED_PAD src0_sel:WORD_1
	v_lshlrev_b32_e32 v3, 1, v13
	v_and_b32_e32 v7, 15, v13
	v_and_or_b32 v3, v3, s5, v7
	v_mad_u32_u24 v7, v3, s4, 0
	v_cvt_f32_f16_e32 v4, v5
	v_cvt_f32_f16_sdwa v5, v5 dst_sel:DWORD dst_unused:UNUSED_PAD src0_sel:WORD_1
	v_add_u32_e32 v14, v7, v65
	ds_read2st64_b32 v[10:11], v14 offset1:1
	v_pk_fma_f32 v[4:5], v[6:7], v[4:5], 0 op_sel_hi:[0,1,0]
	v_pk_fma_f32 v[2:3], v[2:3], v[8:9], v[4:5] op_sel_hi:[0,1,1]
	ds_read2st64_b32 v[4:5], v7 offset0:2 offset1:35
	ds_read2st64_b32 v[6:7], v14 offset0:33 offset1:34
	s_waitcnt lgkmcnt(2)
	v_cvt_f32_f16_e32 v8, v10
	v_cvt_f32_f16_sdwa v9, v10 dst_sel:DWORD dst_unused:UNUSED_PAD src0_sel:WORD_1
	global_store_dwordx2 v12, v[2:3], s[2:3] offset:512
	v_lshlrev_b32_e32 v2, 7, v13
	v_add_lshl_u32 v14, v64, v2, 3
	s_waitcnt lgkmcnt(1)
	v_pk_fma_f32 v[2:3], v[4:5], v[8:9], 0 op_sel_hi:[0,1,0]
	s_waitcnt lgkmcnt(0)
	v_cvt_f32_f16_e32 v8, v6
	v_cvt_f32_f16_sdwa v9, v6 dst_sel:DWORD dst_unused:UNUSED_PAD src0_sel:WORD_1
	v_cvt_f32_f16_e32 v10, v11
	v_cvt_f32_f16_sdwa v11, v11 dst_sel:DWORD dst_unused:UNUSED_PAD src0_sel:WORD_1
	v_cvt_f32_f16_e32 v12, v7
	v_cvt_f32_f16_sdwa v13, v7 dst_sel:DWORD dst_unused:UNUSED_PAD src0_sel:WORD_1
	v_mov_b32_e32 v6, v5
	v_pk_fma_f32 v[2:3], v[6:7], v[8:9], v[2:3] op_sel_hi:[0,1,1]
	global_store_dwordx2 v14, v[2:3], s[2:3]
	v_pk_fma_f32 v[2:3], v[4:5], v[10:11], 0 op_sel_hi:[0,1,0]
	v_pk_fma_f32 v[2:3], v[6:7], v[12:13], v[2:3] op_sel_hi:[0,1,1]
	v_add_u32_e32 v6, 8, v0
	v_lshlrev_b32_e32 v4, 1, v6
	v_and_b32_e32 v5, 15, v6
	v_and_or_b32 v4, v4, s5, v5
	v_mad_u32_u24 v7, v4, s4, 0
	v_add_u32_e32 v8, v7, v65
	ds_read2st64_b32 v[4:5], v8 offset1:1
	global_store_dwordx2 v14, v[2:3], s[2:3] offset:512
	ds_read2st64_b32 v[2:3], v8 offset0:33 offset1:34
	v_lshlrev_b32_e32 v12, 7, v6
	ds_read2st64_b32 v[6:7], v7 offset0:2 offset1:35
	s_waitcnt lgkmcnt(2)
	v_cvt_f32_f16_e32 v8, v4
	v_cvt_f32_f16_sdwa v9, v4 dst_sel:DWORD dst_unused:UNUSED_PAD src0_sel:WORD_1
	s_waitcnt lgkmcnt(1)
	v_cvt_f32_f16_e32 v10, v2
	v_cvt_f32_f16_sdwa v11, v2 dst_sel:DWORD dst_unused:UNUSED_PAD src0_sel:WORD_1
	s_waitcnt lgkmcnt(0)
	v_mov_b32_e32 v2, v7
	v_pk_fma_f32 v[8:9], v[6:7], v[8:9], 0 op_sel_hi:[0,1,0]
	v_add_lshl_u32 v12, v64, v12, 3
	v_pk_fma_f32 v[8:9], v[2:3], v[10:11], v[8:9] op_sel_hi:[0,1,1]
	v_add_u32_e32 v13, 10, v0
	global_store_dwordx2 v12, v[8:9], s[2:3]
	v_cvt_f32_f16_e32 v8, v3
	v_cvt_f32_f16_sdwa v9, v3 dst_sel:DWORD dst_unused:UNUSED_PAD src0_sel:WORD_1
	v_lshlrev_b32_e32 v3, 1, v13
	v_and_b32_e32 v7, 15, v13
	v_and_or_b32 v3, v3, s5, v7
	v_mad_u32_u24 v7, v3, s4, 0
	v_cvt_f32_f16_e32 v4, v5
	v_cvt_f32_f16_sdwa v5, v5 dst_sel:DWORD dst_unused:UNUSED_PAD src0_sel:WORD_1
	v_add_u32_e32 v14, v7, v65
	;; [unrolled: 58-line block ×3, first 2 shown]
	ds_read2st64_b32 v[10:11], v14 offset1:1
	v_pk_fma_f32 v[4:5], v[6:7], v[4:5], 0 op_sel_hi:[0,1,0]
	v_pk_fma_f32 v[2:3], v[2:3], v[8:9], v[4:5] op_sel_hi:[0,1,1]
	ds_read2st64_b32 v[4:5], v7 offset0:2 offset1:35
	ds_read2st64_b32 v[6:7], v14 offset0:33 offset1:34
	s_waitcnt lgkmcnt(2)
	v_cvt_f32_f16_e32 v8, v10
	v_cvt_f32_f16_sdwa v9, v10 dst_sel:DWORD dst_unused:UNUSED_PAD src0_sel:WORD_1
	global_store_dwordx2 v12, v[2:3], s[2:3] offset:512
	v_lshlrev_b32_e32 v2, 7, v13
	v_add_lshl_u32 v14, v64, v2, 3
	s_waitcnt lgkmcnt(1)
	v_pk_fma_f32 v[2:3], v[4:5], v[8:9], 0 op_sel_hi:[0,1,0]
	s_waitcnt lgkmcnt(0)
	v_cvt_f32_f16_e32 v8, v6
	v_cvt_f32_f16_sdwa v9, v6 dst_sel:DWORD dst_unused:UNUSED_PAD src0_sel:WORD_1
	v_cvt_f32_f16_e32 v10, v11
	v_cvt_f32_f16_sdwa v11, v11 dst_sel:DWORD dst_unused:UNUSED_PAD src0_sel:WORD_1
	;; [unrolled: 2-line block ×3, first 2 shown]
	v_mov_b32_e32 v6, v5
	v_pk_fma_f32 v[2:3], v[6:7], v[8:9], v[2:3] op_sel_hi:[0,1,1]
	global_store_dwordx2 v14, v[2:3], s[2:3]
	v_pk_fma_f32 v[2:3], v[4:5], v[10:11], 0 op_sel_hi:[0,1,0]
	v_pk_fma_f32 v[2:3], v[6:7], v[12:13], v[2:3] op_sel_hi:[0,1,1]
	v_add_u32_e32 v6, 16, v0
	v_lshlrev_b32_e32 v4, 1, v6
	v_and_or_b32 v1, v4, s5, v1
	v_mad_u32_u24 v1, v1, s4, 0
	v_add_u32_e32 v7, v1, v65
	ds_read2st64_b32 v[4:5], v7 offset1:1
	global_store_dwordx2 v14, v[2:3], s[2:3] offset:512
	ds_read2st64_b32 v[2:3], v7 offset0:33 offset1:34
	v_lshlrev_b32_e32 v12, 7, v6
	ds_read2st64_b32 v[6:7], v1 offset0:2 offset1:35
	s_waitcnt lgkmcnt(2)
	v_cvt_f32_f16_e32 v8, v4
	v_cvt_f32_f16_sdwa v9, v4 dst_sel:DWORD dst_unused:UNUSED_PAD src0_sel:WORD_1
	s_waitcnt lgkmcnt(1)
	v_cvt_f32_f16_e32 v10, v2
	v_cvt_f32_f16_sdwa v11, v2 dst_sel:DWORD dst_unused:UNUSED_PAD src0_sel:WORD_1
	s_waitcnt lgkmcnt(0)
	v_mov_b32_e32 v2, v7
	v_pk_fma_f32 v[8:9], v[6:7], v[8:9], 0 op_sel_hi:[0,1,0]
	v_add_lshl_u32 v1, v64, v12, 3
	v_pk_fma_f32 v[8:9], v[2:3], v[10:11], v[8:9] op_sel_hi:[0,1,1]
	v_add_u32_e32 v12, 18, v0
	global_store_dwordx2 v1, v[8:9], s[2:3]
	v_cvt_f32_f16_e32 v8, v3
	v_cvt_f32_f16_sdwa v9, v3 dst_sel:DWORD dst_unused:UNUSED_PAD src0_sel:WORD_1
	v_lshlrev_b32_e32 v3, 1, v12
	v_and_b32_e32 v7, 15, v12
	v_and_or_b32 v3, v3, s5, v7
	v_mad_u32_u24 v7, v3, s4, 0
	v_cvt_f32_f16_e32 v4, v5
	v_cvt_f32_f16_sdwa v5, v5 dst_sel:DWORD dst_unused:UNUSED_PAD src0_sel:WORD_1
	v_add_u32_e32 v13, v7, v65
	ds_read2st64_b32 v[10:11], v13 offset1:1
	v_pk_fma_f32 v[4:5], v[6:7], v[4:5], 0 op_sel_hi:[0,1,0]
	v_pk_fma_f32 v[2:3], v[2:3], v[8:9], v[4:5] op_sel_hi:[0,1,1]
	ds_read2st64_b32 v[4:5], v7 offset0:2 offset1:35
	ds_read2st64_b32 v[6:7], v13 offset0:33 offset1:34
	s_waitcnt lgkmcnt(2)
	v_cvt_f32_f16_e32 v8, v10
	v_cvt_f32_f16_sdwa v9, v10 dst_sel:DWORD dst_unused:UNUSED_PAD src0_sel:WORD_1
	global_store_dwordx2 v1, v[2:3], s[2:3] offset:512
	v_cvt_f32_f16_e32 v10, v11
	v_cvt_f32_f16_sdwa v11, v11 dst_sel:DWORD dst_unused:UNUSED_PAD src0_sel:WORD_1
	s_waitcnt lgkmcnt(1)
	v_pk_fma_f32 v[2:3], v[4:5], v[8:9], 0 op_sel_hi:[0,1,0]
	s_waitcnt lgkmcnt(0)
	v_cvt_f32_f16_e32 v8, v6
	v_cvt_f32_f16_sdwa v9, v6 dst_sel:DWORD dst_unused:UNUSED_PAD src0_sel:WORD_1
	v_lshlrev_b32_e32 v1, 7, v12
	v_cvt_f32_f16_e32 v12, v7
	v_cvt_f32_f16_sdwa v13, v7 dst_sel:DWORD dst_unused:UNUSED_PAD src0_sel:WORD_1
	v_mov_b32_e32 v6, v5
	v_add_lshl_u32 v1, v64, v1, 3
	v_pk_fma_f32 v[2:3], v[6:7], v[8:9], v[2:3] op_sel_hi:[0,1,1]
	global_store_dwordx2 v1, v[2:3], s[2:3]
	v_pk_fma_f32 v[2:3], v[4:5], v[10:11], 0 op_sel_hi:[0,1,0]
	v_pk_fma_f32 v[2:3], v[6:7], v[12:13], v[2:3] op_sel_hi:[0,1,1]
	v_add_u32_e32 v6, 20, v0
	v_lshlrev_b32_e32 v4, 1, v6
	v_and_b32_e32 v5, 15, v6
	v_and_or_b32 v4, v4, s5, v5
	v_mad_u32_u24 v7, v4, s4, 0
	v_add_u32_e32 v8, v7, v65
	ds_read2st64_b32 v[4:5], v8 offset1:1
	global_store_dwordx2 v1, v[2:3], s[2:3] offset:512
	ds_read2st64_b32 v[2:3], v8 offset0:33 offset1:34
	v_lshlrev_b32_e32 v1, 7, v6
	ds_read2st64_b32 v[6:7], v7 offset0:2 offset1:35
	s_waitcnt lgkmcnt(2)
	v_cvt_f32_f16_e32 v8, v4
	v_cvt_f32_f16_sdwa v9, v4 dst_sel:DWORD dst_unused:UNUSED_PAD src0_sel:WORD_1
	s_waitcnt lgkmcnt(1)
	v_cvt_f32_f16_e32 v10, v2
	v_cvt_f32_f16_sdwa v11, v2 dst_sel:DWORD dst_unused:UNUSED_PAD src0_sel:WORD_1
	s_waitcnt lgkmcnt(0)
	v_mov_b32_e32 v2, v7
	v_pk_fma_f32 v[8:9], v[6:7], v[8:9], 0 op_sel_hi:[0,1,0]
	v_add_lshl_u32 v1, v64, v1, 3
	v_pk_fma_f32 v[8:9], v[2:3], v[10:11], v[8:9] op_sel_hi:[0,1,1]
	v_add_u32_e32 v12, 22, v0
	global_store_dwordx2 v1, v[8:9], s[2:3]
	v_cvt_f32_f16_e32 v8, v3
	v_cvt_f32_f16_sdwa v9, v3 dst_sel:DWORD dst_unused:UNUSED_PAD src0_sel:WORD_1
	v_lshlrev_b32_e32 v3, 1, v12
	v_and_b32_e32 v7, 15, v12
	v_and_or_b32 v3, v3, s5, v7
	v_mad_u32_u24 v7, v3, s4, 0
	v_cvt_f32_f16_e32 v4, v5
	v_cvt_f32_f16_sdwa v5, v5 dst_sel:DWORD dst_unused:UNUSED_PAD src0_sel:WORD_1
	v_add_u32_e32 v13, v7, v65
	ds_read2st64_b32 v[10:11], v13 offset1:1
	v_pk_fma_f32 v[4:5], v[6:7], v[4:5], 0 op_sel_hi:[0,1,0]
	v_pk_fma_f32 v[2:3], v[2:3], v[8:9], v[4:5] op_sel_hi:[0,1,1]
	ds_read2st64_b32 v[4:5], v7 offset0:2 offset1:35
	ds_read2st64_b32 v[6:7], v13 offset0:33 offset1:34
	s_waitcnt lgkmcnt(2)
	v_cvt_f32_f16_e32 v8, v10
	v_cvt_f32_f16_sdwa v9, v10 dst_sel:DWORD dst_unused:UNUSED_PAD src0_sel:WORD_1
	global_store_dwordx2 v1, v[2:3], s[2:3] offset:512
	v_cvt_f32_f16_e32 v10, v11
	v_cvt_f32_f16_sdwa v11, v11 dst_sel:DWORD dst_unused:UNUSED_PAD src0_sel:WORD_1
	s_waitcnt lgkmcnt(1)
	v_pk_fma_f32 v[2:3], v[4:5], v[8:9], 0 op_sel_hi:[0,1,0]
	s_waitcnt lgkmcnt(0)
	v_cvt_f32_f16_e32 v8, v6
	v_cvt_f32_f16_sdwa v9, v6 dst_sel:DWORD dst_unused:UNUSED_PAD src0_sel:WORD_1
	v_lshlrev_b32_e32 v1, 7, v12
	v_cvt_f32_f16_e32 v12, v7
	v_cvt_f32_f16_sdwa v13, v7 dst_sel:DWORD dst_unused:UNUSED_PAD src0_sel:WORD_1
	v_mov_b32_e32 v6, v5
	v_add_lshl_u32 v1, v64, v1, 3
	v_pk_fma_f32 v[2:3], v[6:7], v[8:9], v[2:3] op_sel_hi:[0,1,1]
	global_store_dwordx2 v1, v[2:3], s[2:3]
	v_pk_fma_f32 v[2:3], v[4:5], v[10:11], 0 op_sel_hi:[0,1,0]
	v_pk_fma_f32 v[2:3], v[6:7], v[12:13], v[2:3] op_sel_hi:[0,1,1]
	v_add_u32_e32 v6, 24, v0
	v_lshlrev_b32_e32 v4, 1, v6
	v_and_b32_e32 v5, 15, v6
	v_and_or_b32 v4, v4, s5, v5
	v_mad_u32_u24 v7, v4, s4, 0
	v_add_u32_e32 v8, v7, v65
	ds_read2st64_b32 v[4:5], v8 offset1:1
	global_store_dwordx2 v1, v[2:3], s[2:3] offset:512
	ds_read2st64_b32 v[2:3], v8 offset0:33 offset1:34
	v_lshlrev_b32_e32 v1, 7, v6
	ds_read2st64_b32 v[6:7], v7 offset0:2 offset1:35
	s_waitcnt lgkmcnt(2)
	v_cvt_f32_f16_e32 v8, v4
	v_cvt_f32_f16_sdwa v9, v4 dst_sel:DWORD dst_unused:UNUSED_PAD src0_sel:WORD_1
	s_waitcnt lgkmcnt(1)
	v_cvt_f32_f16_e32 v10, v2
	v_cvt_f32_f16_sdwa v11, v2 dst_sel:DWORD dst_unused:UNUSED_PAD src0_sel:WORD_1
	s_waitcnt lgkmcnt(0)
	v_mov_b32_e32 v2, v7
	v_pk_fma_f32 v[8:9], v[6:7], v[8:9], 0 op_sel_hi:[0,1,0]
	v_add_lshl_u32 v1, v64, v1, 3
	v_pk_fma_f32 v[8:9], v[2:3], v[10:11], v[8:9] op_sel_hi:[0,1,1]
	v_add_u32_e32 v12, 26, v0
	global_store_dwordx2 v1, v[8:9], s[2:3]
	v_cvt_f32_f16_e32 v8, v3
	v_cvt_f32_f16_sdwa v9, v3 dst_sel:DWORD dst_unused:UNUSED_PAD src0_sel:WORD_1
	v_lshlrev_b32_e32 v3, 1, v12
	v_and_b32_e32 v7, 15, v12
	v_and_or_b32 v3, v3, s5, v7
	v_mad_u32_u24 v7, v3, s4, 0
	v_cvt_f32_f16_e32 v4, v5
	v_cvt_f32_f16_sdwa v5, v5 dst_sel:DWORD dst_unused:UNUSED_PAD src0_sel:WORD_1
	v_add_u32_e32 v13, v7, v65
	ds_read2st64_b32 v[10:11], v13 offset1:1
	v_pk_fma_f32 v[4:5], v[6:7], v[4:5], 0 op_sel_hi:[0,1,0]
	v_pk_fma_f32 v[2:3], v[2:3], v[8:9], v[4:5] op_sel_hi:[0,1,1]
	ds_read2st64_b32 v[4:5], v7 offset0:2 offset1:35
	ds_read2st64_b32 v[6:7], v13 offset0:33 offset1:34
	s_waitcnt lgkmcnt(2)
	v_cvt_f32_f16_e32 v8, v10
	v_cvt_f32_f16_sdwa v9, v10 dst_sel:DWORD dst_unused:UNUSED_PAD src0_sel:WORD_1
	global_store_dwordx2 v1, v[2:3], s[2:3] offset:512
	v_cvt_f32_f16_e32 v10, v11
	v_cvt_f32_f16_sdwa v11, v11 dst_sel:DWORD dst_unused:UNUSED_PAD src0_sel:WORD_1
	s_waitcnt lgkmcnt(1)
	v_pk_fma_f32 v[2:3], v[4:5], v[8:9], 0 op_sel_hi:[0,1,0]
	s_waitcnt lgkmcnt(0)
	v_cvt_f32_f16_e32 v8, v6
	v_cvt_f32_f16_sdwa v9, v6 dst_sel:DWORD dst_unused:UNUSED_PAD src0_sel:WORD_1
	v_lshlrev_b32_e32 v1, 7, v12
	v_cvt_f32_f16_e32 v12, v7
	v_cvt_f32_f16_sdwa v13, v7 dst_sel:DWORD dst_unused:UNUSED_PAD src0_sel:WORD_1
	v_mov_b32_e32 v6, v5
	v_add_lshl_u32 v1, v64, v1, 3
	v_pk_fma_f32 v[2:3], v[6:7], v[8:9], v[2:3] op_sel_hi:[0,1,1]
	global_store_dwordx2 v1, v[2:3], s[2:3]
	v_pk_fma_f32 v[2:3], v[4:5], v[10:11], 0 op_sel_hi:[0,1,0]
	v_pk_fma_f32 v[2:3], v[6:7], v[12:13], v[2:3] op_sel_hi:[0,1,1]
	v_add_u32_e32 v6, 28, v0
	v_lshlrev_b32_e32 v4, 1, v6
	v_and_b32_e32 v5, 15, v6
	v_and_or_b32 v4, v4, s5, v5
	v_mad_u32_u24 v7, v4, s4, 0
	v_add_u32_e32 v8, v7, v65
	ds_read2st64_b32 v[4:5], v8 offset1:1
	global_store_dwordx2 v1, v[2:3], s[2:3] offset:512
	ds_read2st64_b32 v[2:3], v8 offset0:33 offset1:34
	v_lshlrev_b32_e32 v1, 7, v6
	ds_read2st64_b32 v[6:7], v7 offset0:2 offset1:35
	s_waitcnt lgkmcnt(2)
	v_cvt_f32_f16_e32 v8, v4
	v_cvt_f32_f16_sdwa v9, v4 dst_sel:DWORD dst_unused:UNUSED_PAD src0_sel:WORD_1
	s_waitcnt lgkmcnt(1)
	v_cvt_f32_f16_e32 v10, v2
	v_cvt_f32_f16_sdwa v11, v2 dst_sel:DWORD dst_unused:UNUSED_PAD src0_sel:WORD_1
	s_waitcnt lgkmcnt(0)
	v_mov_b32_e32 v2, v7
	v_pk_fma_f32 v[8:9], v[6:7], v[8:9], 0 op_sel_hi:[0,1,0]
	v_add_lshl_u32 v12, v64, v1, 3
	v_pk_fma_f32 v[8:9], v[2:3], v[10:11], v[8:9] op_sel_hi:[0,1,1]
	v_add_u32_e32 v10, 30, v0
	v_lshlrev_b32_e32 v0, 1, v10
	v_and_b32_e32 v1, 15, v10
	v_and_or_b32 v0, v0, s5, v1
	v_mad_u32_u24 v7, v0, s4, 0
	v_cvt_f32_f16_e32 v4, v5
	v_cvt_f32_f16_sdwa v5, v5 dst_sel:DWORD dst_unused:UNUSED_PAD src0_sel:WORD_1
	v_add_u32_e32 v11, v7, v65
	global_store_dwordx2 v12, v[8:9], s[2:3]
	v_cvt_f32_f16_e32 v8, v3
	v_cvt_f32_f16_sdwa v9, v3 dst_sel:DWORD dst_unused:UNUSED_PAD src0_sel:WORD_1
	ds_read2st64_b32 v[0:1], v11 offset1:1
	v_pk_fma_f32 v[4:5], v[6:7], v[4:5], 0 op_sel_hi:[0,1,0]
	v_pk_fma_f32 v[2:3], v[2:3], v[8:9], v[4:5] op_sel_hi:[0,1,1]
	ds_read2st64_b32 v[4:5], v7 offset0:2 offset1:35
	ds_read2st64_b32 v[6:7], v11 offset0:33 offset1:34
	s_waitcnt lgkmcnt(2)
	v_cvt_f32_f16_e32 v8, v0
	v_cvt_f32_f16_sdwa v9, v0 dst_sel:DWORD dst_unused:UNUSED_PAD src0_sel:WORD_1
	global_store_dwordx2 v12, v[2:3], s[2:3] offset:512
	v_lshlrev_b32_e32 v0, 7, v10
	v_cvt_f32_f16_e32 v10, v1
	s_waitcnt lgkmcnt(1)
	v_pk_fma_f32 v[2:3], v[4:5], v[8:9], 0 op_sel_hi:[0,1,0]
	s_waitcnt lgkmcnt(0)
	v_cvt_f32_f16_e32 v8, v6
	v_cvt_f32_f16_sdwa v9, v6 dst_sel:DWORD dst_unused:UNUSED_PAD src0_sel:WORD_1
	v_cvt_f32_f16_sdwa v11, v1 dst_sel:DWORD dst_unused:UNUSED_PAD src0_sel:WORD_1
	v_cvt_f32_f16_e32 v6, v7
	v_cvt_f32_f16_sdwa v7, v7 dst_sel:DWORD dst_unused:UNUSED_PAD src0_sel:WORD_1
	v_add_lshl_u32 v12, v64, v0, 3
	v_mov_b32_e32 v0, v5
	v_pk_fma_f32 v[2:3], v[0:1], v[8:9], v[2:3] op_sel_hi:[0,1,1]
	global_store_dwordx2 v12, v[2:3], s[2:3]
	v_pk_fma_f32 v[2:3], v[4:5], v[10:11], 0 op_sel_hi:[0,1,0]
	v_pk_fma_f32 v[0:1], v[0:1], v[6:7], v[2:3] op_sel_hi:[0,1,1]
	global_store_dwordx2 v12, v[0:1], s[2:3] offset:512
.LBB29_407:
	s_or_b64 exec, exec, s[0:1]
	s_barrier
	s_endpgm
	.section	.rodata,"a",@progbits
	.p2align	6, 0x0
	.amdhsa_kernel _ZL18flash_attn_ext_f16ILi256ELi256ELi32ELi1ELb0ELb0EEvPKcS1_S1_S1_S1_PKiPfP15HIP_vector_typeIfLj2EEffffjfiS5_IjLj3EEiiiiiiiiiiiliiliiiiil
		.amdhsa_group_segment_fixed_size 0
		.amdhsa_private_segment_fixed_size 32
		.amdhsa_kernarg_size 464
		.amdhsa_user_sgpr_count 2
		.amdhsa_user_sgpr_dispatch_ptr 0
		.amdhsa_user_sgpr_queue_ptr 0
		.amdhsa_user_sgpr_kernarg_segment_ptr 1
		.amdhsa_user_sgpr_dispatch_id 0
		.amdhsa_user_sgpr_kernarg_preload_length 0
		.amdhsa_user_sgpr_kernarg_preload_offset 0
		.amdhsa_user_sgpr_private_segment_size 0
		.amdhsa_uses_dynamic_stack 0
		.amdhsa_enable_private_segment 1
		.amdhsa_system_sgpr_workgroup_id_x 1
		.amdhsa_system_sgpr_workgroup_id_y 0
		.amdhsa_system_sgpr_workgroup_id_z 0
		.amdhsa_system_sgpr_workgroup_info 0
		.amdhsa_system_vgpr_workitem_id 1
		.amdhsa_next_free_vgpr 388
		.amdhsa_next_free_sgpr 100
		.amdhsa_accum_offset 256
		.amdhsa_reserve_vcc 1
		.amdhsa_float_round_mode_32 0
		.amdhsa_float_round_mode_16_64 0
		.amdhsa_float_denorm_mode_32 3
		.amdhsa_float_denorm_mode_16_64 3
		.amdhsa_dx10_clamp 1
		.amdhsa_ieee_mode 1
		.amdhsa_fp16_overflow 0
		.amdhsa_tg_split 0
		.amdhsa_exception_fp_ieee_invalid_op 0
		.amdhsa_exception_fp_denorm_src 0
		.amdhsa_exception_fp_ieee_div_zero 0
		.amdhsa_exception_fp_ieee_overflow 0
		.amdhsa_exception_fp_ieee_underflow 0
		.amdhsa_exception_fp_ieee_inexact 0
		.amdhsa_exception_int_div_zero 0
	.end_amdhsa_kernel
	.section	.text._ZL18flash_attn_ext_f16ILi256ELi256ELi32ELi1ELb0ELb0EEvPKcS1_S1_S1_S1_PKiPfP15HIP_vector_typeIfLj2EEffffjfiS5_IjLj3EEiiiiiiiiiiiliiliiiiil,"axG",@progbits,_ZL18flash_attn_ext_f16ILi256ELi256ELi32ELi1ELb0ELb0EEvPKcS1_S1_S1_S1_PKiPfP15HIP_vector_typeIfLj2EEffffjfiS5_IjLj3EEiiiiiiiiiiiliiliiiiil,comdat
.Lfunc_end29:
	.size	_ZL18flash_attn_ext_f16ILi256ELi256ELi32ELi1ELb0ELb0EEvPKcS1_S1_S1_S1_PKiPfP15HIP_vector_typeIfLj2EEffffjfiS5_IjLj3EEiiiiiiiiiiiliiliiiiil, .Lfunc_end29-_ZL18flash_attn_ext_f16ILi256ELi256ELi32ELi1ELb0ELb0EEvPKcS1_S1_S1_S1_PKiPfP15HIP_vector_typeIfLj2EEffffjfiS5_IjLj3EEiiiiiiiiiiiliiliiiiil
                                        ; -- End function
	.set _ZL18flash_attn_ext_f16ILi256ELi256ELi32ELi1ELb0ELb0EEvPKcS1_S1_S1_S1_PKiPfP15HIP_vector_typeIfLj2EEffffjfiS5_IjLj3EEiiiiiiiiiiiliiliiiiil.num_vgpr, 256
	.set _ZL18flash_attn_ext_f16ILi256ELi256ELi32ELi1ELb0ELb0EEvPKcS1_S1_S1_S1_PKiPfP15HIP_vector_typeIfLj2EEffffjfiS5_IjLj3EEiiiiiiiiiiiliiliiiiil.num_agpr, 132
	.set _ZL18flash_attn_ext_f16ILi256ELi256ELi32ELi1ELb0ELb0EEvPKcS1_S1_S1_S1_PKiPfP15HIP_vector_typeIfLj2EEffffjfiS5_IjLj3EEiiiiiiiiiiiliiliiiiil.numbered_sgpr, 100
	.set _ZL18flash_attn_ext_f16ILi256ELi256ELi32ELi1ELb0ELb0EEvPKcS1_S1_S1_S1_PKiPfP15HIP_vector_typeIfLj2EEffffjfiS5_IjLj3EEiiiiiiiiiiiliiliiiiil.num_named_barrier, 0
	.set _ZL18flash_attn_ext_f16ILi256ELi256ELi32ELi1ELb0ELb0EEvPKcS1_S1_S1_S1_PKiPfP15HIP_vector_typeIfLj2EEffffjfiS5_IjLj3EEiiiiiiiiiiiliiliiiiil.private_seg_size, 32
	.set _ZL18flash_attn_ext_f16ILi256ELi256ELi32ELi1ELb0ELb0EEvPKcS1_S1_S1_S1_PKiPfP15HIP_vector_typeIfLj2EEffffjfiS5_IjLj3EEiiiiiiiiiiiliiliiiiil.uses_vcc, 1
	.set _ZL18flash_attn_ext_f16ILi256ELi256ELi32ELi1ELb0ELb0EEvPKcS1_S1_S1_S1_PKiPfP15HIP_vector_typeIfLj2EEffffjfiS5_IjLj3EEiiiiiiiiiiiliiliiiiil.uses_flat_scratch, 0
	.set _ZL18flash_attn_ext_f16ILi256ELi256ELi32ELi1ELb0ELb0EEvPKcS1_S1_S1_S1_PKiPfP15HIP_vector_typeIfLj2EEffffjfiS5_IjLj3EEiiiiiiiiiiiliiliiiiil.has_dyn_sized_stack, 0
	.set _ZL18flash_attn_ext_f16ILi256ELi256ELi32ELi1ELb0ELb0EEvPKcS1_S1_S1_S1_PKiPfP15HIP_vector_typeIfLj2EEffffjfiS5_IjLj3EEiiiiiiiiiiiliiliiiiil.has_recursion, 0
	.set _ZL18flash_attn_ext_f16ILi256ELi256ELi32ELi1ELb0ELb0EEvPKcS1_S1_S1_S1_PKiPfP15HIP_vector_typeIfLj2EEffffjfiS5_IjLj3EEiiiiiiiiiiiliiliiiiil.has_indirect_call, 0
	.section	.AMDGPU.csdata,"",@progbits
; Kernel info:
; codeLenInByte = 92532
; TotalNumSgprs: 106
; NumVgprs: 256
; NumAgprs: 132
; TotalNumVgprs: 388
; ScratchSize: 32
; MemoryBound: 0
; FloatMode: 240
; IeeeMode: 1
; LDSByteSize: 0 bytes/workgroup (compile time only)
; SGPRBlocks: 13
; VGPRBlocks: 48
; NumSGPRsForWavesPerEU: 106
; NumVGPRsForWavesPerEU: 388
; AccumOffset: 256
; Occupancy: 1
; WaveLimiterHint : 1
; COMPUTE_PGM_RSRC2:SCRATCH_EN: 1
; COMPUTE_PGM_RSRC2:USER_SGPR: 2
; COMPUTE_PGM_RSRC2:TRAP_HANDLER: 0
; COMPUTE_PGM_RSRC2:TGID_X_EN: 1
; COMPUTE_PGM_RSRC2:TGID_Y_EN: 0
; COMPUTE_PGM_RSRC2:TGID_Z_EN: 0
; COMPUTE_PGM_RSRC2:TIDIG_COMP_CNT: 1
; COMPUTE_PGM_RSRC3_GFX90A:ACCUM_OFFSET: 63
; COMPUTE_PGM_RSRC3_GFX90A:TG_SPLIT: 0
	.section	.text._ZL18flash_attn_ext_f16ILi256ELi256ELi32ELi1ELb1ELb0EEvPKcS1_S1_S1_S1_PKiPfP15HIP_vector_typeIfLj2EEffffjfiS5_IjLj3EEiiiiiiiiiiiliiliiiiil,"axG",@progbits,_ZL18flash_attn_ext_f16ILi256ELi256ELi32ELi1ELb1ELb0EEvPKcS1_S1_S1_S1_PKiPfP15HIP_vector_typeIfLj2EEffffjfiS5_IjLj3EEiiiiiiiiiiiliiliiiiil,comdat
	.globl	_ZL18flash_attn_ext_f16ILi256ELi256ELi32ELi1ELb1ELb0EEvPKcS1_S1_S1_S1_PKiPfP15HIP_vector_typeIfLj2EEffffjfiS5_IjLj3EEiiiiiiiiiiiliiliiiiil ; -- Begin function _ZL18flash_attn_ext_f16ILi256ELi256ELi32ELi1ELb1ELb0EEvPKcS1_S1_S1_S1_PKiPfP15HIP_vector_typeIfLj2EEffffjfiS5_IjLj3EEiiiiiiiiiiiliiliiiiil
	.p2align	8
	.type	_ZL18flash_attn_ext_f16ILi256ELi256ELi32ELi1ELb1ELb0EEvPKcS1_S1_S1_S1_PKiPfP15HIP_vector_typeIfLj2EEffffjfiS5_IjLj3EEiiiiiiiiiiiliiliiiiil,@function
_ZL18flash_attn_ext_f16ILi256ELi256ELi32ELi1ELb1ELb0EEvPKcS1_S1_S1_S1_PKiPfP15HIP_vector_typeIfLj2EEffffjfiS5_IjLj3EEiiiiiiiiiiiliiliiiiil: ; @_ZL18flash_attn_ext_f16ILi256ELi256ELi32ELi1ELb1ELb0EEvPKcS1_S1_S1_S1_PKiPfP15HIP_vector_typeIfLj2EEffffjfiS5_IjLj3EEiiiiiiiiiiiliiliiiiil
; %bb.0:
	s_load_dwordx2 s[10:11], s[0:1], 0x80
	s_load_dwordx4 s[96:99], s[0:1], 0x64
	s_mov_b32 s70, s2
	v_mov_b32_e32 v24, v0
                                        ; implicit-def: $vgpr254 : SGPR spill to VGPR lane
	s_load_dword s63, s[0:1], 0xd0
	s_waitcnt lgkmcnt(0)
	s_abs_i32 s2, s11
	v_cvt_f32_u32_e32 v0, s2
	s_sub_i32 s6, 0, s2
	s_abs_i32 s5, s97
	s_xor_b32 s3, s97, s11
	v_rcp_iflag_f32_e32 v0, v0
	s_ashr_i32 s3, s3, 31
	s_mov_b32 s4, 0
	v_mul_f32_e32 v0, 0x4f7ffffe, v0
	v_cvt_u32_f32_e32 v0, v0
	s_nop 0
	v_readfirstlane_b32 s7, v0
	s_mul_i32 s6, s6, s7
	s_mul_hi_u32 s6, s7, s6
	s_add_i32 s7, s7, s6
	s_mul_hi_u32 s6, s5, s7
	s_mul_i32 s7, s6, s2
	s_sub_i32 s5, s5, s7
	s_add_i32 s8, s6, 1
	s_sub_i32 s7, s5, s2
	s_cmp_ge_u32 s5, s2
	s_cselect_b32 s6, s8, s6
	s_cselect_b32 s5, s7, s5
	s_add_i32 s7, s6, 1
	s_cmp_ge_u32 s5, s2
	s_cselect_b32 s2, s7, s6
	s_add_i32 s5, s10, 63
	s_xor_b32 s2, s2, s3
	s_ashr_i32 s6, s5, 31
	s_sub_i32 s3, s2, s3
	s_lshr_b32 s2, s6, 26
	s_add_i32 s5, s5, s2
	s_add_i32 s2, s96, 31
	s_lshr_b32 s2, s2, 5
	s_ashr_i32 s33, s5, 6
	v_writelane_b32 v254, s2, 0
	s_mul_i32 s2, s2, s33
	v_writelane_b32 v254, s3, 1
	v_writelane_b32 v254, s2, 2
	s_mul_i32 s3, s2, s3
	s_mov_b32 s2, s10
	v_writelane_b32 v254, s2, 3
	s_nop 1
	v_writelane_b32 v254, s3, 4
	s_mul_i32 s2, s3, s11
	s_mul_i32 s10, s2, s98
	v_writelane_b32 v254, s3, 5
	s_ashr_i32 s8, s10, 31
	v_writelane_b32 v254, s2, 6
	s_mul_i32 s2, s8, s70
	s_mul_hi_u32 s3, s10, s70
	s_add_i32 s5, s3, s2
	s_cmp_lg_u64 s[4:5], 0
	s_mul_i32 s9, s10, s70
	s_cbranch_scc0 .LBB30_2
; %bb.1:
	s_add_u32 s2, s63, 0
	s_addc_u32 s3, 0, 0
	s_xor_b64 s[6:7], s[2:3], 0
	v_cvt_f32_u32_e32 v0, s6
	v_cvt_f32_u32_e32 v1, s7
	s_sub_u32 s4, 0, s6
	s_subb_u32 s11, 0, s7
	s_mov_b64 s[2:3], 0
	v_fmamk_f32 v0, v1, 0x4f800000, v0
	v_rcp_f32_e32 v0, v0
	s_nop 0
	v_mul_f32_e32 v0, 0x5f7ffffc, v0
	v_mul_f32_e32 v1, 0x2f800000, v0
	v_trunc_f32_e32 v1, v1
	v_fmamk_f32 v0, v1, 0xcf800000, v0
	v_cvt_u32_f32_e32 v1, v1
	v_cvt_u32_f32_e32 v0, v0
	v_readfirstlane_b32 s14, v1
	v_readfirstlane_b32 s12, v0
	s_mul_i32 s13, s4, s14
	s_mul_hi_u32 s16, s4, s12
	s_mul_i32 s15, s11, s12
	s_add_i32 s13, s16, s13
	s_add_i32 s13, s13, s15
	s_mul_i32 s17, s4, s12
	s_mul_i32 s16, s12, s13
	s_mul_hi_u32 s18, s12, s17
	s_mul_hi_u32 s15, s12, s13
	s_add_u32 s16, s18, s16
	s_addc_u32 s15, 0, s15
	s_mul_hi_u32 s19, s14, s17
	s_mul_i32 s17, s14, s17
	s_add_u32 s16, s16, s17
	s_mul_hi_u32 s18, s14, s13
	s_addc_u32 s15, s15, s19
	s_addc_u32 s16, s18, 0
	s_mul_i32 s13, s14, s13
	s_add_u32 s13, s15, s13
	s_addc_u32 s15, 0, s16
	s_add_u32 s16, s12, s13
	s_cselect_b64 s[12:13], -1, 0
	s_cmp_lg_u64 s[12:13], 0
	s_addc_u32 s14, s14, s15
	s_mul_i32 s12, s4, s14
	s_mul_hi_u32 s13, s4, s16
	s_add_i32 s12, s13, s12
	s_mul_i32 s11, s11, s16
	s_add_i32 s12, s12, s11
	s_mul_i32 s4, s4, s16
	s_mul_hi_u32 s13, s14, s4
	s_mul_i32 s15, s14, s4
	s_mul_i32 s18, s16, s12
	s_mul_hi_u32 s4, s16, s4
	s_mul_hi_u32 s17, s16, s12
	s_add_u32 s4, s4, s18
	s_addc_u32 s17, 0, s17
	s_add_u32 s4, s4, s15
	s_mul_hi_u32 s11, s14, s12
	s_addc_u32 s4, s17, s13
	s_addc_u32 s11, s11, 0
	s_mul_i32 s12, s14, s12
	s_add_u32 s4, s4, s12
	s_addc_u32 s11, 0, s11
	s_add_u32 s15, s16, s4
	s_cselect_b64 s[12:13], -1, 0
	s_cmp_lg_u64 s[12:13], 0
	s_addc_u32 s11, s14, s11
	s_ashr_i32 s12, s5, 31
	s_add_u32 s4, s9, s12
	s_mov_b32 s13, s12
	s_addc_u32 s5, s5, s12
	s_xor_b64 s[4:5], s[4:5], s[12:13]
	s_mul_i32 s16, s4, s11
	s_mul_hi_u32 s17, s4, s15
	s_mul_hi_u32 s14, s4, s11
	s_add_u32 s16, s17, s16
	s_addc_u32 s14, 0, s14
	s_mul_hi_u32 s18, s5, s15
	s_mul_i32 s15, s5, s15
	s_add_u32 s15, s16, s15
	s_mul_hi_u32 s17, s5, s11
	s_addc_u32 s14, s14, s18
	s_addc_u32 s15, s17, 0
	s_mul_i32 s11, s5, s11
	s_add_u32 s11, s14, s11
	s_addc_u32 s18, 0, s15
	s_mul_i32 s14, s6, s18
	s_mul_hi_u32 s15, s6, s11
	s_add_i32 s14, s15, s14
	s_mul_i32 s15, s7, s11
	s_add_i32 s19, s14, s15
	s_sub_i32 s16, s5, s19
	s_mul_i32 s14, s6, s11
	s_sub_u32 s4, s4, s14
	s_cselect_b64 s[14:15], -1, 0
	s_cmp_lg_u64 s[14:15], 0
	s_subb_u32 s20, s16, s7
	s_sub_u32 s21, s4, s6
	s_cselect_b64 s[16:17], -1, 0
	s_cmp_lg_u64 s[16:17], 0
	s_subb_u32 s16, s20, 0
	s_cmp_ge_u32 s16, s7
	s_cselect_b32 s17, -1, 0
	s_cmp_ge_u32 s21, s6
	s_cselect_b32 s20, -1, 0
	s_cmp_eq_u32 s16, s7
	s_cselect_b32 s16, s20, s17
	s_add_u32 s17, s11, 1
	s_addc_u32 s20, s18, 0
	s_add_u32 s21, s11, 2
	s_addc_u32 s22, s18, 0
	s_cmp_lg_u32 s16, 0
	s_cselect_b32 s16, s21, s17
	s_cselect_b32 s17, s22, s20
	s_cmp_lg_u64 s[14:15], 0
	s_subb_u32 s5, s5, s19
	s_cmp_ge_u32 s5, s7
	s_cselect_b32 s14, -1, 0
	s_cmp_ge_u32 s4, s6
	s_cselect_b32 s4, -1, 0
	s_cmp_eq_u32 s5, s7
	s_cselect_b32 s4, s4, s14
	s_cmp_lg_u32 s4, 0
	s_cselect_b32 s5, s17, s18
	s_cselect_b32 s4, s16, s11
	s_xor_b64 s[6:7], s[12:13], 0
	s_xor_b64 s[4:5], s[4:5], s[6:7]
	s_sub_u32 s4, s4, s6
	s_branch .LBB30_3
.LBB30_2:
	s_mov_b64 s[2:3], -1
                                        ; implicit-def: $sgpr4_sgpr5
.LBB30_3:
	s_load_dwordx2 s[6:7], s[0:1], 0x74
	v_cvt_f32_u32_e32 v0, s63
	s_andn2_b64 vcc, exec, s[2:3]
	s_waitcnt lgkmcnt(0)
	v_writelane_b32 v254, s6, 7
	s_nop 1
	v_writelane_b32 v254, s7, 8
	s_cbranch_vccnz .LBB30_5
; %bb.4:
	v_rcp_iflag_f32_e32 v1, v0
	s_sub_i32 s2, 0, s63
	v_mul_f32_e32 v1, 0x4f7ffffe, v1
	v_cvt_u32_f32_e32 v1, v1
	s_nop 0
	v_readfirstlane_b32 s3, v1
	s_mul_i32 s2, s2, s3
	s_mul_hi_u32 s2, s3, s2
	s_add_i32 s3, s3, s2
	s_mul_hi_u32 s2, s9, s3
	s_mul_i32 s4, s2, s63
	s_sub_i32 s4, s9, s4
	s_add_i32 s3, s2, 1
	s_sub_i32 s5, s4, s63
	s_cmp_ge_u32 s4, s63
	s_cselect_b32 s2, s3, s2
	s_cselect_b32 s4, s5, s4
	s_add_i32 s3, s2, 1
	s_cmp_ge_u32 s4, s63
	s_cselect_b32 s4, s3, s2
.LBB30_5:
	s_add_i32 s2, s70, 1
	s_mul_i32 s3, s8, s2
	s_mul_hi_u32 s5, s10, s2
	s_add_i32 s9, s5, s3
	s_mov_b32 s8, 0
	s_cmp_lg_u64 s[8:9], 0
	s_mul_i32 s5, s10, s2
	s_cbranch_scc0 .LBB30_536
; %bb.6:
	s_add_u32 s2, s63, 0
	s_addc_u32 s3, 0, 0
	s_xor_b64 s[6:7], s[2:3], 0
	v_cvt_f32_u32_e32 v1, s6
	v_cvt_f32_u32_e32 v2, s7
	s_sub_u32 s8, 0, s6
	s_subb_u32 s12, 0, s7
	v_fmamk_f32 v1, v2, 0x4f800000, v1
	v_rcp_f32_e32 v1, v1
	s_nop 0
	v_mul_f32_e32 v1, 0x5f7ffffc, v1
	v_mul_f32_e32 v2, 0x2f800000, v1
	v_trunc_f32_e32 v2, v2
	v_fmamk_f32 v1, v2, 0xcf800000, v1
	v_cvt_u32_f32_e32 v2, v2
	v_cvt_u32_f32_e32 v1, v1
	v_readfirstlane_b32 s13, v2
	v_readfirstlane_b32 s10, v1
	s_mul_i32 s11, s8, s13
	s_mul_hi_u32 s15, s8, s10
	s_mul_i32 s14, s12, s10
	s_add_i32 s11, s15, s11
	s_add_i32 s11, s11, s14
	s_mul_i32 s16, s8, s10
	s_mul_i32 s15, s10, s11
	s_mul_hi_u32 s17, s10, s16
	s_mul_hi_u32 s14, s10, s11
	s_add_u32 s15, s17, s15
	s_addc_u32 s14, 0, s14
	s_mul_hi_u32 s18, s13, s16
	s_mul_i32 s16, s13, s16
	s_add_u32 s15, s15, s16
	s_mul_hi_u32 s17, s13, s11
	s_addc_u32 s14, s14, s18
	s_addc_u32 s15, s17, 0
	s_mul_i32 s11, s13, s11
	s_add_u32 s11, s14, s11
	s_addc_u32 s14, 0, s15
	s_add_u32 s15, s10, s11
	s_cselect_b64 s[10:11], -1, 0
	s_cmp_lg_u64 s[10:11], 0
	s_addc_u32 s13, s13, s14
	s_mul_i32 s10, s8, s13
	s_mul_hi_u32 s11, s8, s15
	s_add_i32 s10, s11, s10
	s_mul_i32 s12, s12, s15
	s_add_i32 s10, s10, s12
	s_mul_i32 s8, s8, s15
	s_mul_hi_u32 s12, s13, s8
	s_mul_i32 s14, s13, s8
	s_mul_i32 s17, s15, s10
	s_mul_hi_u32 s8, s15, s8
	s_mul_hi_u32 s16, s15, s10
	s_add_u32 s8, s8, s17
	s_addc_u32 s16, 0, s16
	s_add_u32 s8, s8, s14
	s_mul_hi_u32 s11, s13, s10
	s_addc_u32 s8, s16, s12
	s_addc_u32 s11, s11, 0
	s_mul_i32 s10, s13, s10
	s_add_u32 s8, s8, s10
	s_addc_u32 s12, 0, s11
	s_add_u32 s14, s15, s8
	s_cselect_b64 s[10:11], -1, 0
	s_cmp_lg_u64 s[10:11], 0
	s_addc_u32 s12, s13, s12
	s_ashr_i32 s10, s9, 31
	s_add_u32 s8, s5, s10
	s_mov_b32 s11, s10
	s_addc_u32 s9, s9, s10
	s_xor_b64 s[8:9], s[8:9], s[10:11]
	s_mul_i32 s15, s8, s12
	s_mul_hi_u32 s16, s8, s14
	s_mul_hi_u32 s13, s8, s12
	s_add_u32 s15, s16, s15
	s_addc_u32 s13, 0, s13
	s_mul_hi_u32 s17, s9, s14
	s_mul_i32 s14, s9, s14
	s_add_u32 s14, s15, s14
	s_mul_hi_u32 s16, s9, s12
	s_addc_u32 s13, s13, s17
	s_addc_u32 s14, s16, 0
	s_mul_i32 s12, s9, s12
	s_add_u32 s16, s13, s12
	s_addc_u32 s17, 0, s14
	s_mul_i32 s12, s6, s17
	s_mul_hi_u32 s13, s6, s16
	s_add_i32 s12, s13, s12
	s_mul_i32 s13, s7, s16
	s_add_i32 s18, s12, s13
	s_sub_i32 s14, s9, s18
	s_mul_i32 s12, s6, s16
	s_sub_u32 s8, s8, s12
	s_cselect_b64 s[12:13], -1, 0
	s_cmp_lg_u64 s[12:13], 0
	s_subb_u32 s19, s14, s7
	s_sub_u32 s20, s8, s6
	s_cselect_b64 s[14:15], -1, 0
	s_cmp_lg_u64 s[14:15], 0
	s_subb_u32 s14, s19, 0
	s_cmp_ge_u32 s14, s7
	s_cselect_b32 s15, -1, 0
	s_cmp_ge_u32 s20, s6
	s_cselect_b32 s19, -1, 0
	s_cmp_eq_u32 s14, s7
	s_cselect_b32 s14, s19, s15
	s_add_u32 s15, s16, 1
	s_addc_u32 s19, s17, 0
	s_add_u32 s20, s16, 2
	s_addc_u32 s21, s17, 0
	s_cmp_lg_u32 s14, 0
	s_cselect_b32 s14, s20, s15
	s_cselect_b32 s15, s21, s19
	s_cmp_lg_u64 s[12:13], 0
	s_subb_u32 s9, s9, s18
	s_cmp_ge_u32 s9, s7
	s_cselect_b32 s12, -1, 0
	s_cmp_ge_u32 s8, s6
	s_cselect_b32 s6, -1, 0
	s_cmp_eq_u32 s9, s7
	s_cselect_b32 s6, s6, s12
	s_cmp_lg_u32 s6, 0
	s_cselect_b32 s7, s15, s17
	s_cselect_b32 s6, s14, s16
	s_xor_b64 s[8:9], s[10:11], 0
	s_xor_b64 s[6:7], s[6:7], s[8:9]
	s_sub_u32 s6, s6, s8
	s_subb_u32 s7, s7, s9
	s_load_dwordx2 s[68:69], s[0:1], 0x5c
	v_mov_b64_e32 v[50:51], s[6:7]
	s_cbranch_execnz .LBB30_8
.LBB30_7:
	v_rcp_iflag_f32_e32 v0, v0
	s_sub_i32 s2, 0, s63
	v_mul_f32_e32 v0, 0x4f7ffffe, v0
	v_cvt_u32_f32_e32 v0, v0
	v_mul_lo_u32 v1, s2, v0
	v_mul_hi_u32 v1, v0, v1
	v_add_u32_e32 v0, v0, v1
	v_mul_hi_u32 v0, s5, v0
	v_mul_lo_u32 v2, v0, s63
	v_sub_u32_e32 v2, s5, v2
	v_add_u32_e32 v1, 1, v0
	v_subrev_u32_e32 v3, s63, v2
	v_cmp_le_u32_e32 vcc, s63, v2
	s_nop 1
	v_cndmask_b32_e32 v2, v2, v3, vcc
	v_cndmask_b32_e32 v0, v0, v1, vcc
	v_add_u32_e32 v1, 1, v0
	v_cmp_le_u32_e32 vcc, s63, v2
	s_nop 1
	v_cndmask_b32_e32 v50, v0, v1, vcc
.LBB30_8:
	s_load_dwordx16 s[16:31], s[0:1], 0x0
	s_load_dwordx4 s[52:55], s[0:1], 0x40
	s_load_dwordx2 s[2:3], s[0:1], 0x50
	s_load_dwordx2 s[6:7], s[0:1], 0x8c
	s_load_dwordx4 s[8:11], s[0:1], 0x98
	s_load_dwordx2 s[12:13], s[0:1], 0xa8
	s_abs_i32 s95, s33
	v_cvt_f32_u32_e32 v0, s95
	s_waitcnt lgkmcnt(0)
	s_ashr_i32 s78, s6, 2
	s_sub_i32 s5, 0, s95
	v_writelane_b32 v254, s12, 9
	v_rcp_iflag_f32_e32 v0, v0
	s_ashr_i32 s90, s99, 3
	v_writelane_b32 v254, s13, 10
	s_load_dwordx2 s[12:13], s[0:1], 0xb8
	s_nop 0
	s_load_dwordx2 s[0:1], s[0:1], 0xc8
	v_mul_f32_e32 v0, 0x4f7ffffe, v0
	v_cvt_u32_f32_e32 v0, v0
	v_cvt_f16_f32_e32 v25, s52
	s_waitcnt lgkmcnt(0)
	s_ashr_i32 s86, s13, 1
	v_writelane_b32 v254, s0, 11
	v_readfirstlane_b32 s6, v0
	s_mul_i32 s5, s5, s6
	v_writelane_b32 v254, s1, 12
	s_mov_b32 s1, s7
	v_writelane_b32 v254, s0, 13
	s_mul_hi_u32 s5, s6, s5
	s_add_i32 s5, s6, s5
	v_writelane_b32 v254, s1, 14
	v_writelane_b32 v254, s8, 15
	s_ashr_i32 s1, s33, 31
	s_ashr_i32 s98, s10, 2
	v_writelane_b32 v254, s9, 16
	v_writelane_b32 v254, s10, 17
	;; [unrolled: 1-line block ×5, first 2 shown]
	s_abs_i32 s1, s4
	v_writelane_b32 v254, s16, 21
	s_mul_hi_u32 s5, s1, s5
	s_mul_i32 s5, s5, s95
	v_writelane_b32 v254, s17, 22
	v_writelane_b32 v254, s18, 23
	s_sub_i32 s1, s1, s5
	v_writelane_b32 v254, s19, 24
	s_ashr_i32 s0, s4, 31
	s_sub_i32 s5, s1, s95
	v_writelane_b32 v254, s20, 25
	s_cmp_ge_u32 s1, s95
	v_writelane_b32 v254, s21, 26
	s_cselect_b32 s1, s5, s1
	v_writelane_b32 v254, s22, 27
	s_sub_i32 s5, s1, s95
	v_writelane_b32 v254, s23, 28
	s_cmp_ge_u32 s1, s95
	v_writelane_b32 v254, s24, 29
	s_cselect_b32 s1, s5, s1
	v_writelane_b32 v254, s25, 30
	s_xor_b32 s1, s1, s0
	v_writelane_b32 v254, s26, 31
	s_sub_i32 s50, s1, s0
	v_subrev_u32_e32 v0, s4, v50
	v_writelane_b32 v254, s27, 32
	v_add_u32_e32 v0, s50, v0
	v_writelane_b32 v254, s28, 33
	v_cmp_ge_i32_e32 vcc, s4, v50
	v_cmp_gt_i32_e64 s[0:1], s33, v0
	v_writelane_b32 v254, s29, 34
	s_or_b64 s[0:1], s[0:1], vcc
	v_bfe_u32 v192, v24, 10, 10
	v_writelane_b32 v254, s30, 35
	s_mov_b32 s41, 0
	v_min_i32_e32 v172, s33, v0
	v_cmp_lt_i32_e64 s[44:45], s4, v50
	s_and_b64 vcc, exec, s[0:1]
	v_lshlrev_b32_e32 v217, 3, v192
	v_add_u32_e32 v235, 4, v192
	v_add_u32_e32 v234, 8, v192
	;; [unrolled: 1-line block ×7, first 2 shown]
	v_lshlrev_b32_e32 v216, 4, v192
	v_writelane_b32 v254, s31, 36
	s_cbranch_vccz .LBB30_11
; %bb.9:
	s_andn2_b64 vcc, exec, s[44:45]
	s_cbranch_vccz .LBB30_453
.LBB30_10:
	s_endpgm
.LBB30_11:
	s_cmp_lg_u64 s[22:23], 0
	v_writelane_b32 v254, s63, 37
	s_cselect_b64 s[0:1], -1, 0
	v_writelane_b32 v254, s0, 38
	s_cmp_eq_u64 s[24:25], 0
	s_mov_b64 s[6:7], s[54:55]
	v_writelane_b32 v254, s1, 39
	s_mul_i32 s0, s96, s97
	v_writelane_b32 v254, s0, 40
	s_cselect_b64 s[0:1], -1, 0
	v_writelane_b32 v254, s0, 41
	s_mov_b32 s5, s53
	v_and_b32_e32 v52, 0x3ff, v24
	v_writelane_b32 v254, s1, 42
	v_writelane_b32 v254, s4, 43
	v_lshlrev_b32_e32 v0, 2, v52
	v_and_b32_e32 v2, 15, v24
	v_writelane_b32 v254, s5, 44
	v_lshrrev_b32_e32 v4, 1, v24
	v_bfe_u32 v8, v24, 5, 5
	v_writelane_b32 v254, s6, 45
	v_cmp_nle_f32_e64 s[0:1], s53, 0
	s_mov_b64 s[66:67], s[30:31]
	v_mul_u32_u24_e32 v3, 0x210, v2
	v_and_b32_e32 v4, 0x78, v4
	v_lshl_add_u32 v201, v192, 1, v8
	v_and_b32_e32 v56, 0x7c, v0
	v_writelane_b32 v254, s7, 46
	s_mov_b64 s[64:65], s[28:29]
	s_mov_b64 s[62:63], s[26:27]
	;; [unrolled: 1-line block ×7, first 2 shown]
	v_and_b32_e32 v1, 0x7f0, v217
	s_movk_i32 s20, 0x210
	v_add3_u32 v3, 0, v3, v4
	v_and_b32_e32 v6, 16, v216
	v_and_b32_e32 v7, 8, v217
	v_mul_u32_u24_e32 v8, 0x210, v201
	v_lshlrev_b32_e32 v9, 2, v56
	v_writelane_b32 v254, s0, 47
	s_cmp_lg_u64 s[26:27], 0
	v_mad_u32_u24 v200, v1, s20, v3
	v_mul_u32_u24_e32 v7, 0x420, v7
	v_add3_u32 v202, 0, v8, v9
	v_mad_u32_u24 v203, v6, s20, v3
	v_bfe_u32 v3, v24, 2, 8
	v_lshlrev_b32_e32 v9, 1, v2
	v_writelane_b32 v254, s1, 48
	s_cselect_b64 s[0:1], -1, 0
	v_and_b32_e32 v8, 60, v3
	v_add3_u32 v7, 0, v7, v9
	v_or_b32_e32 v3, 3, v3
	v_writelane_b32 v254, s0, 49
	v_mad_u32_u24 v206, v3, s20, v7
	v_bfe_u32 v3, v24, 10, 1
	v_writelane_b32 v254, s1, 50
	v_cmp_eq_u32_e64 s[6:7], 0, v3
	v_or_b32_e32 v1, v1, v2
	v_and_b32_e32 v3, 0x400, v24
	v_writelane_b32 v254, s6, 51
	v_or_b32_e32 v2, v216, v2
	v_mul_u32_u24_e32 v2, 0x210, v2
	v_writelane_b32 v254, s7, 52
	v_cmp_ne_u32_e64 s[6:7], 0, v3
	s_movk_i32 s5, 0x90
	v_mul_u32_u24_e32 v5, 0x90, v192
	v_add_u32_e32 v204, v8, v6
	v_add_u16_e32 v6, v8, v6
	v_writelane_b32 v254, s6, 53
	s_lshl_b32 s40, s70, 5
	v_add3_u32 v207, 0, v2, v4
	v_lshrrev_b32_e32 v2, 10, v24
	v_lshlrev_b32_e32 v58, 1, v52
	s_ashr_i32 s87, s86, 31
	s_ashr_i32 s79, s78, 31
	;; [unrolled: 1-line block ×3, first 2 shown]
	s_lshl_b32 s22, s78, 3
	s_lshl_b32 s23, s98, 3
	v_writelane_b32 v254, s7, 54
	s_lshl_b64 s[6:7], s[40:41], 3
	v_or_b32_e32 v3, v217, v52
	v_bfe_u32 v21, v2, 1, 9
	v_add3_u32 v227, 0, v5, v58
	v_mad_u32_u24 v1, v1, s5, 0
	v_lshrrev_b16_e32 v5, 1, v6
	v_add_u32_e32 v159, 32, v204
	v_add_u32_e32 v160, 34, v204
	v_mad_u32_u24 v205, v8, s20, v7
	s_add_u32 s18, s66, s6
	v_lshlrev_b32_e32 v54, 3, v3
	v_bfe_u32 v3, v192, 1, 4
	s_movk_i32 s6, 0xe0
	v_add_u32_e32 v7, 2, v21
	v_lshl_add_u32 v228, v5, 2, v1
	v_lshl_add_u32 v230, v159, 1, v1
	;; [unrolled: 1-line block ×3, first 2 shown]
	v_add_u32_e32 v1, v216, v52
	v_and_or_b32 v2, v2, s6, v3
	v_lshlrev_b32_e32 v4, 1, v7
	v_accvgpr_write_b32 a28, v7
	v_and_b32_e32 v7, 15, v7
	s_movk_i32 s6, 0x1e0
	v_add_u32_e32 v8, 4, v21
	v_mul_u32_u24_e32 v1, 0x210, v1
	v_and_or_b32 v4, v4, s6, v7
	v_lshlrev_b32_e32 v7, 1, v8
	v_accvgpr_write_b32 a29, v8
	v_and_b32_e32 v8, 15, v8
	v_add_u32_e32 v9, 6, v21
	v_accvgpr_write_b32 a48, v1
	v_and_b32_e32 v1, 31, v24
	v_and_or_b32 v7, v7, s6, v8
	v_lshlrev_b32_e32 v8, 1, v9
	v_accvgpr_write_b32 a30, v9
	v_and_b32_e32 v9, 15, v9
	v_add_u32_e32 v10, 8, v21
	v_add_u32_e32 v5, v216, v1
	v_mad_u32_u24 v2, v2, s20, 0
	v_and_or_b32 v8, v8, s6, v9
	v_lshlrev_b32_e32 v9, 1, v10
	v_accvgpr_write_b32 a31, v10
	v_and_b32_e32 v10, 15, v10
	v_add_u32_e32 v11, 10, v21
	v_mul_u32_u24_e32 v5, 0x210, v5
	v_mad_u32_u24 v4, v4, s20, 0
	v_accvgpr_write_b32 a50, v2
	v_add_u32_e32 v2, v2, v0
	v_and_or_b32 v9, v9, s6, v10
	v_lshlrev_b32_e32 v10, 1, v11
	v_accvgpr_write_b32 a32, v11
	v_and_b32_e32 v11, 15, v11
	v_add_u32_e32 v12, 12, v21
	v_accvgpr_write_b32 a49, v5
	v_mad_u32_u24 v5, v7, s20, 0
	v_accvgpr_write_b32 a66, v2
	v_add_u32_e32 v2, v4, v0
	v_and_or_b32 v10, v10, s6, v11
	v_lshlrev_b32_e32 v11, 1, v12
	v_accvgpr_write_b32 a33, v12
	v_and_b32_e32 v12, 15, v12
	v_add_u32_e32 v13, 14, v21
	v_mad_u32_u24 v6, v8, s20, 0
	v_accvgpr_write_b32 a67, v2
	v_add_u32_e32 v2, v5, v0
	v_and_or_b32 v11, v11, s6, v12
	v_lshlrev_b32_e32 v12, 1, v13
	v_accvgpr_write_b32 a34, v13
	v_and_b32_e32 v13, 15, v13
	v_mad_u32_u24 v7, v9, s20, 0
	v_accvgpr_write_b32 a68, v2
	v_add_u32_e32 v2, v6, v0
	v_and_or_b32 v12, v12, s6, v13
	v_add_u32_e32 v13, 16, v21
	v_mad_u32_u24 v8, v10, s20, 0
	v_accvgpr_write_b32 a69, v2
	v_add_u32_e32 v2, v7, v0
	v_accvgpr_write_b32 a35, v13
	v_lshlrev_b32_e32 v13, 1, v13
	v_add_u32_e32 v14, 18, v21
	v_mad_u32_u24 v9, v11, s20, 0
	v_accvgpr_write_b32 a70, v2
	v_add_u32_e32 v2, v8, v0
	v_and_or_b32 v3, v13, s6, v3
	v_lshlrev_b32_e32 v13, 1, v14
	v_accvgpr_write_b32 a36, v14
	v_and_b32_e32 v14, 15, v14
	v_add_u32_e32 v15, 20, v21
	v_mad_u32_u24 v10, v12, s20, 0
	v_accvgpr_write_b32 a71, v2
	v_add_u32_e32 v2, v9, v0
	v_and_or_b32 v13, v13, s6, v14
	v_lshlrev_b32_e32 v14, 1, v15
	v_accvgpr_write_b32 a37, v15
	v_and_b32_e32 v15, 15, v15
	;; [unrolled: 8-line block ×4, first 2 shown]
	v_add_u32_e32 v18, 26, v21
	v_add_u32_e32 v20, 28, v21
	v_mad_u32_u24 v12, v14, s20, 0
	v_accvgpr_write_b32 a74, v2
	v_add_u32_e32 v2, v11, v0
	v_and_or_b32 v16, v16, s6, v17
	v_lshlrev_b32_e32 v17, 1, v18
	v_accvgpr_write_b32 a40, v18
	v_and_b32_e32 v18, 15, v18
	v_lshlrev_b32_e32 v19, 1, v20
	v_accvgpr_write_b32 a41, v20
	v_and_b32_e32 v20, 15, v20
	v_accvgpr_write_b32 a27, v21
	v_add_u32_e32 v21, 30, v21
	v_mad_u32_u24 v13, v15, s20, 0
	v_accvgpr_write_b32 a75, v2
	v_add_u32_e32 v2, v12, v0
	v_and_or_b32 v17, v17, s6, v18
	v_and_or_b32 v19, v19, s6, v20
	v_lshlrev_b32_e32 v20, 1, v21
	v_accvgpr_write_b32 a42, v21
	v_and_b32_e32 v21, 15, v21
	v_mad_u32_u24 v14, v16, s20, 0
	v_accvgpr_write_b32 a76, v2
	v_add_u32_e32 v2, v13, v0
	v_and_or_b32 v20, v20, s6, v21
	v_mad_u32_u24 v15, v17, s20, 0
	v_accvgpr_write_b32 a77, v2
	v_add_u32_e32 v2, v14, v0
	v_mad_u32_u24 v16, v19, s20, 0
	v_mad_u32_u24 v17, v20, s20, 0
	v_accvgpr_write_b32 a78, v2
	v_add_u32_e32 v2, v15, v0
	v_add_u32_e32 v251, 0, v0
	v_accvgpr_write_b32 a79, v2
	v_add_u32_e32 v2, v16, v0
	v_add_u32_e32 v0, v17, v0
	v_mov_b32_e32 v55, 0
	s_addc_u32 s19, s67, s7
	v_accvgpr_write_b32 a81, v0
                                        ; implicit-def: $vgpr0
	v_lshlrev_b32_e32 v92, 4, v1
	v_lshl_add_u64 v[0:1], s[18:19], 0, v[54:55]
	v_accvgpr_write_b32 a83, v1
	v_accvgpr_write_b32 a82, v0
                                        ; implicit-def: $vgpr0
                                        ; implicit-def: $vgpr0
	;; [unrolled: 1-line block ×3, first 2 shown]
	v_writelane_b32 v254, s70, 55
	v_mbcnt_lo_u32_b32 v0, -1, 0
	v_mbcnt_hi_u32_b32 v220, -1, v0
	v_mad_u32_u24 v0, v192, s20, v251
	v_add_u32_e32 v1, 0x840, v0
	v_accvgpr_write_b32 a92, v1
	v_add_u32_e32 v1, 0x1080, v0
	v_accvgpr_write_b32 a93, v1
	;; [unrolled: 2-line block ×7, first 2 shown]
	v_or_b32_e32 v0, 3, v204
	v_readlane_b32 s27, v254, 6
	v_mul_lo_u32 v76, s98, v201
	v_accvgpr_write_b32 a101, v0
	v_add_u32_e32 v0, 33, v204
	s_abs_i32 s40, s27
	v_ashrrev_i32_e32 v77, 31, v76
	v_accvgpr_write_b32 a102, v0
	v_add_u32_e32 v0, 35, v204
	v_cvt_f32_u32_e32 v18, s40
	v_add_u32_e32 v78, s23, v76
	v_accvgpr_write_b32 a97, v1
	v_accvgpr_write_b32 a103, v0
	v_lshl_add_u64 v[0:1], v[76:77], 2, s[56:57]
	v_ashrrev_i32_e32 v79, 31, v78
	v_accvgpr_write_b32 a105, v1
	v_add_u32_e32 v80, s23, v78
	v_accvgpr_write_b32 a104, v0
	v_lshl_add_u64 v[0:1], v[78:79], 2, s[56:57]
	v_ashrrev_i32_e32 v81, 31, v80
	v_accvgpr_write_b32 a107, v1
	v_rcp_iflag_f32_e32 v18, v18
	v_add_u32_e32 v82, s23, v80
	v_accvgpr_write_b32 a106, v0
	v_lshl_add_u64 v[0:1], v[80:81], 2, s[56:57]
	v_readlane_b32 s26, v254, 5
	v_ashrrev_i32_e32 v83, 31, v82
	v_accvgpr_write_b32 a109, v1
	s_abs_i32 s93, s26
	v_add_u32_e32 v84, s23, v82
	v_accvgpr_write_b32 a108, v0
	v_lshl_add_u64 v[0:1], v[82:83], 2, s[56:57]
	v_cvt_f32_u32_e32 v22, s93
	v_ashrrev_i32_e32 v85, 31, v84
	v_accvgpr_write_b32 a111, v1
	v_mul_f32_e32 v18, 0x4f7ffffe, v18
	v_add_u32_e32 v86, s23, v84
	v_accvgpr_write_b32 a110, v0
	v_lshl_add_u64 v[0:1], v[84:85], 2, s[56:57]
	v_cvt_u32_f32_e32 v18, v18
	v_ashrrev_i32_e32 v87, 31, v86
	v_accvgpr_write_b32 a113, v1
	v_add_u32_e32 v88, s23, v86
	v_accvgpr_write_b32 a112, v0
	v_lshl_add_u64 v[0:1], v[86:87], 2, s[56:57]
	v_rcp_iflag_f32_e32 v21, v22
	v_ashrrev_i32_e32 v89, 31, v88
	v_accvgpr_write_b32 a115, v1
	s_sub_i32 s6, 0, s40
	v_add_u32_e32 v90, s23, v88
	v_accvgpr_write_b32 a114, v0
	v_lshl_add_u64 v[0:1], v[88:89], 2, s[56:57]
	v_mul_lo_u32 v22, s6, v18
	v_readlane_b32 s25, v254, 2
	s_mov_b32 s6, s12
	v_ashrrev_i32_e32 v91, 31, v90
	v_accvgpr_write_b32 a117, v1
	v_mul_hi_u32 v22, v18, v22
	s_abs_i32 s89, s25
	v_writelane_b32 v254, s6, 56
	v_mul_lo_u32 v60, s78, v201
	v_accvgpr_write_b32 a116, v0
	v_lshl_add_u64 v[0:1], v[90:91], 2, s[56:57]
	v_add_u32_e32 v236, v18, v22
	v_mul_f32_e32 v18, 0x4f7ffffe, v21
	v_cvt_f32_u32_e32 v21, s89
	v_writelane_b32 v254, s7, 57
	s_abs_i32 s7, s12
	v_ashrrev_i32_e32 v61, 31, v60
	v_accvgpr_write_b32 a119, v1
	v_cvt_f32_u32_e32 v22, s7
	v_add_u32_e32 v62, s22, v60
	v_accvgpr_write_b32 a118, v0
	v_lshl_add_u64 v[0:1], v[60:61], 2, s[54:55]
	v_ashrrev_i32_e32 v63, 31, v62
	v_accvgpr_write_b32 a121, v1
	v_add_u32_e32 v64, s22, v62
	v_accvgpr_write_b32 a120, v0
	v_lshl_add_u64 v[0:1], v[62:63], 2, s[54:55]
	v_rcp_iflag_f32_e32 v21, v21
	v_ashrrev_i32_e32 v65, 31, v64
	v_accvgpr_write_b32 a123, v1
	v_rcp_iflag_f32_e32 v22, v22
	v_add_u32_e32 v66, s22, v64
	v_accvgpr_write_b32 a122, v0
	v_lshl_add_u64 v[0:1], v[64:65], 2, s[54:55]
	v_ashrrev_i32_e32 v67, 31, v66
	v_accvgpr_write_b32 a125, v1
	v_add_u32_e32 v68, s22, v66
	v_accvgpr_write_b32 a124, v0
	v_lshl_add_u64 v[0:1], v[66:67], 2, s[54:55]
	v_cvt_u32_f32_e32 v18, v18
	v_mul_f32_e32 v21, 0x4f7ffffe, v21
	v_ashrrev_i32_e32 v69, 31, v68
	v_accvgpr_write_b32 a127, v1
	v_cvt_u32_f32_e32 v21, v21
	v_mul_f32_e32 v22, 0x4f7ffffe, v22
	v_writelane_b32 v254, s7, 58
	v_add_u32_e32 v70, s22, v68
	s_lshl_b32 s5, s97, 7
	v_accvgpr_write_b32 a126, v0
	v_lshl_add_u64 v[0:1], v[68:69], 2, s[54:55]
	v_cmp_gt_u32_e64 s[44:45], 16, v52
                                        ; implicit-def: $vgpr255 : SGPR spill to VGPR lane
	v_cvt_u32_f32_e32 v22, v22
	v_ashrrev_i32_e32 v71, 31, v70
	v_writelane_b32 v254, s5, 59
	s_ashr_i32 s5, s27, 31
	v_accvgpr_write_b32 a129, v1
	v_writelane_b32 v255, s44, 0
	s_sub_i32 s6, 0, s93
	v_add_u32_e32 v72, s22, v70
	v_writelane_b32 v254, s5, 60
	s_ashr_i32 s5, s26, 31
	v_accvgpr_write_b32 a128, v0
	v_lshl_add_u64 v[0:1], v[70:71], 2, s[54:55]
	v_writelane_b32 v255, s45, 1
	v_cmp_gt_u32_e64 s[44:45], 32, v52
	v_mul_lo_u32 v23, s6, v18
	v_ashrrev_i32_e32 v73, 31, v72
	v_writelane_b32 v254, s5, 61
	s_ashr_i32 s5, s25, 31
	v_accvgpr_write_b32 a131, v1
	v_writelane_b32 v255, s44, 2
	v_mul_hi_u32 v23, v18, v23
	v_readfirstlane_b32 s24, v21
	s_sub_i32 s6, 0, s7
	v_add_u32_e32 v74, s22, v72
	v_writelane_b32 v254, s5, 62
	s_sub_i32 s5, 0, s89
	v_accvgpr_write_b32 a130, v0
	v_lshl_add_u64 v[0:1], v[72:73], 2, s[54:55]
	v_writelane_b32 v255, s45, 3
	s_lshl_b64 s[44:45], s[86:87], 1
	v_add_u32_e32 v237, v18, v23
	v_mul_lo_u32 v18, s6, v22
	v_ashrrev_i32_e32 v75, 31, v74
	s_mul_i32 s5, s5, s24
	v_accvgpr_write_b32 a133, v1
	v_writelane_b32 v255, s44, 4
	v_mul_hi_u32 v18, v22, v18
	s_mul_hi_u32 s5, s24, s5
	v_accvgpr_write_b32 a132, v0
	v_lshl_add_u64 v[0:1], v[74:75], 2, s[54:55]
	v_writelane_b32 v255, s45, 5
	s_mov_b64 s[42:43], src_private_base
	s_mov_b32 s21, 0x10001
	v_add_u32_e32 v18, v22, v18
	s_add_i32 s5, s24, s5
	v_add_u32_e32 v161, 8, v201
	v_add_u32_e32 v162, 16, v201
	;; [unrolled: 1-line block ×7, first 2 shown]
	v_or_b32_e32 v168, 1, v204
	v_or_b32_e32 v169, 2, v204
	v_accvgpr_write_b32 a135, v1
	v_writelane_b32 v255, s86, 6
	v_cmp_lt_u32_e64 s[0:1], 63, v52
	v_accvgpr_write_b32 a17, v217
	v_accvgpr_write_b32 a45, v18
	v_cmp_gt_u32_e64 s[6:7], 64, v201
	v_cmp_gt_u32_e64 s[8:9], 56, v201
	;; [unrolled: 1-line block ×6, first 2 shown]
	v_accvgpr_write_b32 a18, v24
	v_accvgpr_write_b32 a16, v216
	;; [unrolled: 1-line block ×18, first 2 shown]
	v_writelane_b32 v254, s5, 63
	v_mov_b32_e32 v59, v55
	v_mov_b32_e32 v93, v55
	s_mov_b32 s97, 0x42b17218
	s_mov_b32 s88, 0x3fb8aa3b
	;; [unrolled: 1-line block ×3, first 2 shown]
	s_brev_b32 s92, -2
	s_mov_b32 s94, 0x3f200000
	v_accvgpr_write_b32 a8, v55
	v_accvgpr_write_b32 a9, v55
	;; [unrolled: 1-line block ×4, first 2 shown]
	s_mov_b32 s5, 0xc1a00000
	v_accvgpr_write_b32 a26, v25
	v_mul_lo_u32 v219, v25, s21
	v_add_u32_e32 v218, 0x240, v227
	v_add_u32_e32 v217, 0x480, v227
	;; [unrolled: 1-line block ×14, first 2 shown]
	v_mul_u32_u24_e32 v222, 0x210, v192
	s_mov_b32 s42, 0x5040100
	v_mov_b32_e32 v98, 0x3ca908c9
	v_mov_b32_e32 v99, 0x7f800000
	;; [unrolled: 1-line block ×3, first 2 shown]
	v_accvgpr_write_b32 a134, v0
	v_cmp_gt_u32_e64 s[18:19], 16, v201
	v_cmp_gt_u32_e64 s[20:21], 8, v201
	;; [unrolled: 1-line block ×10, first 2 shown]
	s_lshl_b64 s[80:81], s[98:99], 8
	s_lshl_b64 s[82:83], s[78:79], 8
	s_mov_b64 s[84:85], 0x80
	v_writelane_b32 v255, s87, 7
	v_accvgpr_write_b32 a46, v159
	v_accvgpr_write_b32 a47, v160
	;; [unrolled: 1-line block ×11, first 2 shown]
	s_branch .LBB30_14
.LBB30_12:                              ;   in Loop: Header=BB30_14 Depth=1
	s_or_b64 exec, exec, s[44:45]
	s_barrier
.LBB30_13:                              ;   in Loop: Header=BB30_14 Depth=1
	s_add_i32 s4, s4, s33
	s_abs_i32 s45, s4
	v_readlane_b32 s46, v254, 20
	s_mul_hi_u32 s46, s45, s46
	s_mul_i32 s46, s46, s95
	s_sub_i32 s45, s45, s46
	s_ashr_i32 s44, s4, 31
	s_sub_i32 s46, s45, s95
	s_cmp_ge_u32 s45, s95
	s_cselect_b32 s45, s46, s45
	s_sub_i32 s46, s45, s95
	s_cmp_ge_u32 s45, s95
	s_cselect_b32 s45, s46, s45
	s_xor_b32 s45, s45, s44
	s_sub_i32 s44, s44, s45
	s_add_i32 s4, s4, s44
	v_subrev_u32_e32 v0, s4, v50
	v_cmp_lt_i32_e64 s[44:45], s4, v50
	v_cmp_le_i32_e32 vcc, s33, v0
	s_and_b64 s[46:47], vcc, s[44:45]
	v_min_i32_e32 v172, s33, v0
	s_mov_b32 s50, 0
	s_and_b64 vcc, exec, s[46:47]
	s_cbranch_vccz .LBB30_452
.LBB30_14:                              ; =>This Loop Header: Depth=1
                                        ;     Child Loop BB30_277 Depth 2
                                        ;     Child Loop BB30_61 Depth 2
	s_ashr_i32 s44, s4, 31
	v_readlane_b32 s45, v254, 60
	s_xor_b32 s44, s44, s45
	s_abs_i32 s45, s4
	v_mul_hi_u32 v0, s45, v236
	v_mul_lo_u32 v1, v0, s40
	v_sub_u32_e32 v1, s45, v1
	v_add_u32_e32 v2, 1, v0
	v_subrev_u32_e32 v3, s40, v1
	v_cmp_le_u32_e32 vcc, s40, v1
	s_nop 1
	v_cndmask_b32_e32 v0, v0, v2, vcc
	v_cndmask_b32_e32 v1, v1, v3, vcc
	v_add_u32_e32 v2, 1, v0
	v_cmp_le_u32_e32 vcc, s40, v1
	s_nop 1
	v_cndmask_b32_e32 v0, v0, v2, vcc
	v_xor_b32_e32 v0, s44, v0
	v_subrev_u32_e32 v0, s44, v0
	v_readlane_b32 s44, v254, 38
	v_readlane_b32 s45, v254, 39
	s_andn2_b64 vcc, exec, s[44:45]
	v_ashrrev_i32_e32 v1, 31, v0
	s_cbranch_vccnz .LBB30_16
; %bb.15:                               ;   in Loop: Header=BB30_14 Depth=1
	v_sub_u32_e32 v2, 0, v0
	v_max_i32_e32 v2, v0, v2
	v_accvgpr_read_b32 v3, a45
	v_mul_hi_u32 v3, v2, v3
	v_readlane_b32 s44, v254, 58
	v_readlane_b32 s52, v254, 21
	;; [unrolled: 1-line block ×3, first 2 shown]
	v_mul_lo_u32 v3, v3, s44
	v_sub_u32_e32 v2, v2, v3
	v_subrev_u32_e32 v3, s44, v2
	v_cmp_le_u32_e32 vcc, s44, v2
	v_readlane_b32 s59, v254, 28
	v_readlane_b32 s53, v254, 22
	v_cndmask_b32_e32 v2, v2, v3, vcc
	v_subrev_u32_e32 v3, s44, v2
	v_cmp_le_u32_e32 vcc, s44, v2
	v_readlane_b32 s44, v254, 11
	v_readlane_b32 s45, v254, 12
	v_cndmask_b32_e32 v2, v2, v3, vcc
	v_xor_b32_e32 v2, v2, v1
	v_sub_u32_e32 v2, v2, v1
	v_ashrrev_i32_e32 v3, 31, v2
	v_mul_lo_u32 v3, s44, v3
	v_mul_hi_u32 v4, s44, v2
	v_add_u32_e32 v3, v4, v3
	v_mul_lo_u32 v4, s45, v2
	v_add_u32_e32 v3, v3, v4
	v_mul_lo_u32 v2, s44, v2
	v_lshl_add_u64 v[136:137], s[58:59], 0, v[2:3]
	v_readlane_b32 s54, v254, 23
	v_readlane_b32 s55, v254, 24
	;; [unrolled: 1-line block ×12, first 2 shown]
	s_branch .LBB30_17
.LBB30_16:                              ;   in Loop: Header=BB30_14 Depth=1
	v_mov_b64_e32 v[136:137], 0
.LBB30_17:                              ;   in Loop: Header=BB30_14 Depth=1
	v_readlane_b32 s44, v254, 6
	v_mov_b32_e32 v134, 1.0
	s_nop 0
	v_mul_lo_u32 v2, v0, s44
	v_sub_u32_e32 v2, s4, v2
	v_sub_u32_e32 v4, 0, v2
	v_max_i32_e32 v4, v2, v4
	v_mul_hi_u32 v5, v4, v237
	v_mul_lo_u32 v6, v5, s93
	v_sub_u32_e32 v4, v4, v6
	v_add_u32_e32 v6, 1, v5
	v_subrev_u32_e32 v7, s93, v4
	v_cmp_le_u32_e32 vcc, s93, v4
	v_ashrrev_i32_e32 v3, 31, v2
	v_readlane_b32 s44, v254, 61
	v_cndmask_b32_e32 v5, v5, v6, vcc
	v_cndmask_b32_e32 v4, v4, v7, vcc
	v_add_u32_e32 v6, 1, v5
	v_cmp_le_u32_e32 vcc, s93, v4
	v_xor_b32_e32 v3, s44, v3
	v_readlane_b32 s44, v254, 5
	v_cndmask_b32_e32 v4, v5, v6, vcc
	v_xor_b32_e32 v4, v4, v3
	v_sub_u32_e32 v4, v4, v3
	v_mul_lo_u32 v3, v4, s44
	v_sub_u32_e32 v3, v2, v3
	v_ashrrev_i32_e32 v2, 31, v3
	v_readlane_b32 s44, v254, 62
	v_sub_u32_e32 v5, 0, v3
	v_max_i32_e32 v5, v3, v5
	v_xor_b32_e32 v2, s44, v2
	v_readlane_b32 s44, v254, 63
	s_nop 1
	v_mul_hi_u32 v6, v5, s44
	v_mul_lo_u32 v7, v6, s89
	v_sub_u32_e32 v5, v5, v7
	v_add_u32_e32 v7, 1, v6
	v_subrev_u32_e32 v8, s89, v5
	v_cmp_le_u32_e32 vcc, s89, v5
	v_readlane_b32 s44, v254, 1
	s_nop 0
	v_cndmask_b32_e32 v6, v6, v7, vcc
	v_cndmask_b32_e32 v5, v5, v8, vcc
	v_add_u32_e32 v7, 1, v6
	v_cmp_le_u32_e32 vcc, s89, v5
	s_nop 1
	v_cndmask_b32_e32 v5, v6, v7, vcc
	v_xor_b32_e32 v5, v5, v2
	v_sub_u32_e32 v5, v5, v2
	v_mul_lo_u32 v2, v4, s44
	v_readlane_b32 s44, v254, 47
	v_readlane_b32 s45, v254, 48
	v_add_u32_e32 v2, v2, v5
	s_andn2_b64 vcc, exec, s[44:45]
	s_cbranch_vccnz .LBB30_19
; %bb.18:                               ;   in Loop: Header=BB30_14 Depth=1
	v_subrev_co_u32_e32 v8, vcc, s2, v2
	v_lshlrev_b32_e32 v8, 1, v8
	v_add_u32_e32 v7, 1, v2
	v_or_b32_e32 v8, 1, v8
	v_readlane_b32 s44, v254, 43
	v_cndmask_b32_e32 v7, v8, v7, vcc
	v_readlane_b32 s46, v254, 45
	v_readlane_b32 s47, v254, 46
	v_cvt_f32_i32_e32 v7, v7
	v_mov_b32_e32 v8, s46
	v_mov_b32_e32 v6, s47
	v_cndmask_b32_e32 v6, v6, v8, vcc
	v_cmp_neq_f32_e32 vcc, 1.0, v6
	s_mov_b32 s44, 0x3f2aaaab
	s_movk_i32 s46, 0x204
	v_cndmask_b32_e32 v22, 1.0, v7, vcc
	v_cmp_neq_f32_e32 vcc, 0, v22
	v_readlane_b32 s45, v254, 44
	s_nop 0
	v_cndmask_b32_e32 v23, 1.0, v6, vcc
	v_frexp_mant_f32_e64 v6, |v23|
	v_cmp_gt_f32_e32 vcc, s44, v6
	s_mov_b32 s44, 0x3f317218
	v_cmp_class_f32_e64 s[48:49], v23, s46
	v_cndmask_b32_e64 v7, 1.0, 2.0, vcc
	v_mul_f32_e32 v6, v6, v7
	v_add_f32_e32 v9, 1.0, v6
	v_rcp_f32_e32 v14, v9
	v_add_f32_e32 v7, -1.0, v9
	v_sub_f32_e32 v11, v6, v7
	v_add_f32_e32 v7, -1.0, v6
	v_mul_f32_e32 v15, v7, v14
	v_mul_f32_e32 v8, v9, v15
	v_fma_f32 v10, v15, v9, -v8
	v_fmac_f32_e32 v10, v15, v11
	v_add_f32_e32 v6, v8, v10
	v_sub_f32_e32 v9, v7, v6
	v_pk_add_f32 v[12:13], v[6:7], v[8:9] neg_lo:[0,1] neg_hi:[0,1]
	v_mov_b32_e32 v11, v6
	v_pk_add_f32 v[6:7], v[12:13], v[10:11] neg_lo:[0,1] neg_hi:[0,1]
	v_mov_b32_e32 v10, 0x3e91f4c4
	v_add_f32_e32 v6, v6, v7
	v_add_f32_e32 v6, v9, v6
	v_mul_f32_e32 v7, v14, v6
	v_add_f32_e32 v6, v15, v7
	v_sub_f32_e32 v8, v6, v15
	v_sub_f32_e32 v16, v7, v8
	v_mul_f32_e32 v7, v6, v6
	v_fma_f32 v9, v6, v6, -v7
	v_add_f32_e32 v8, v16, v16
	v_fmac_f32_e32 v9, v6, v8
	v_add_f32_e32 v8, v7, v9
	v_fmamk_f32 v10, v8, 0x3e76c4e1, v10
	v_fmaak_f32 v10, v8, v10, 0x3ecccdef
	v_sub_f32_e32 v7, v8, v7
	v_sub_f32_e32 v17, v9, v7
	v_mul_f32_e32 v7, v8, v10
	v_fma_f32 v9, v8, v10, -v7
	v_fmac_f32_e32 v9, v17, v10
	v_add_f32_e32 v10, v7, v9
	v_add_f32_e32 v11, 0x3f2aaaaa, v10
	v_sub_f32_e32 v7, v10, v7
	v_sub_f32_e32 v7, v9, v7
	v_add_f32_e32 v9, 0xbf2aaaaa, v11
	v_add_f32_e32 v7, 0x31739010, v7
	v_sub_f32_e32 v9, v10, v9
	v_pk_mul_f32 v[12:13], v[6:7], v[8:9]
	v_pk_add_f32 v[14:15], v[6:7], v[8:9]
	v_fma_f32 v10, v8, v6, -v12
	v_fmac_f32_e32 v10, v8, v16
	v_mov_b32_e32 v13, v15
	v_fmac_f32_e32 v10, v17, v6
	v_pk_add_f32 v[8:9], v[12:13], v[10:11]
	v_ldexp_f32 v18, v16, 1
	v_sub_f32_e32 v7, v8, v12
	v_sub_f32_e32 v7, v10, v7
	;; [unrolled: 1-line block ×3, first 2 shown]
	v_add_f32_e32 v14, v15, v10
	v_pk_mul_f32 v[10:11], v[8:9], v[8:9] op_sel:[0,1] op_sel_hi:[1,0]
	v_cvt_f64_f32_e64 v[12:13], |v23|
	v_frexp_exp_i32_f64_e32 v11, v[12:13]
	v_subbrev_co_u32_e32 v11, vcc, 0, v11, vcc
	v_cvt_f32_i32_e32 v11, v11
	v_fma_f32 v12, v8, v9, -v10
	v_fmac_f32_e32 v12, v8, v14
	v_fmac_f32_e32 v12, v7, v9
	v_mul_f32_e32 v8, 0x3f317218, v11
	v_fma_f32 v14, v11, s44, -v8
	v_fmac_f32_e32 v14, 0xb102e308, v11
	v_ldexp_f32 v15, v6, 1
	v_add_f32_e32 v9, v10, v12
	v_pk_add_f32 v[6:7], v[8:9], v[14:15]
	v_mov_b32_e32 v16, v9
	v_mov_b32_e32 v17, v7
	;; [unrolled: 1-line block ×3, first 2 shown]
	v_pk_add_f32 v[10:11], v[16:17], v[10:11] neg_lo:[0,1] neg_hi:[0,1]
	v_mov_b32_e32 v13, v9
	v_pk_add_f32 v[10:11], v[12:13], v[10:11] neg_lo:[0,1] neg_hi:[0,1]
	v_mov_b32_e32 v15, v6
	v_add_f32_e32 v9, v18, v10
	v_add_f32_e32 v9, v9, v11
	v_pk_add_f32 v[10:11], v[6:7], v[8:9] neg_lo:[0,1] neg_hi:[0,1]
	v_pk_add_f32 v[12:13], v[6:7], v[8:9]
	v_mov_b32_e32 v20, v7
	v_mov_b32_e32 v11, v13
	v_pk_add_f32 v[16:17], v[14:15], v[10:11] neg_lo:[0,1] neg_hi:[0,1]
	v_pk_add_f32 v[10:11], v[14:15], v[10:11]
	v_mov_b32_e32 v8, v9
	v_pk_add_f32 v[14:15], v[10:11], v[6:7] op_sel:[1,0] op_sel_hi:[0,1] neg_lo:[0,1] neg_hi:[0,1]
	v_pk_add_f32 v[18:19], v[12:13], v[14:15] op_sel_hi:[1,0] neg_lo:[0,1] neg_hi:[0,1]
	v_mov_b32_e32 v12, v13
	v_mov_b32_e32 v13, v11
	;; [unrolled: 1-line block ×3, first 2 shown]
	v_pk_add_f32 v[12:13], v[12:13], v[20:21] neg_lo:[0,1] neg_hi:[0,1]
	v_mov_b32_e32 v9, v6
	v_pk_add_f32 v[6:7], v[8:9], v[12:13] neg_lo:[0,1] neg_hi:[0,1]
	v_mov_b32_e32 v18, v16
	v_pk_add_f32 v[8:9], v[18:19], v[6:7]
	v_mov_b32_e32 v17, v11
	v_pk_add_f32 v[12:13], v[8:9], v[8:9] op_sel:[0,1] op_sel_hi:[1,0]
	s_mov_b32 s44, 0x7f800000
	v_pk_add_f32 v[10:11], v[10:11], v[12:13] op_sel:[1,0] op_sel_hi:[0,1]
	v_mov_b32_e32 v9, v10
	v_pk_add_f32 v[14:15], v[8:9], v[16:17] neg_lo:[0,1] neg_hi:[0,1]
	v_mov_b32_e32 v7, v12
	v_sub_f32_e32 v8, v8, v14
	v_pk_add_f32 v[6:7], v[6:7], v[14:15] neg_lo:[0,1] neg_hi:[0,1]
	v_sub_f32_e32 v8, v16, v8
	v_add_f32_e32 v6, v6, v8
	v_add_f32_e32 v6, v6, v7
	;; [unrolled: 1-line block ×3, first 2 shown]
	v_sub_f32_e32 v8, v7, v10
	v_sub_f32_e32 v6, v6, v8
	v_mul_f32_e32 v8, v22, v7
	v_fma_f32 v7, v22, v7, -v8
	v_fmac_f32_e32 v7, v22, v6
	v_add_f32_e32 v6, v8, v7
	v_cmp_class_f32_e64 vcc, v8, s46
	v_sub_f32_e32 v9, v6, v8
	v_sub_f32_e32 v7, v7, v9
	v_cndmask_b32_e32 v6, v6, v8, vcc
	v_mov_b32_e32 v8, 0x37000000
	v_cmp_eq_f32_e32 vcc, s97, v6
	s_nop 1
	v_cndmask_b32_e32 v8, 0, v8, vcc
	v_sub_f32_e32 v9, v6, v8
	v_mul_f32_e32 v10, 0x3fb8aa3b, v9
	v_fma_f32 v11, v9, s88, -v10
	v_rndne_f32_e32 v12, v10
	v_fmac_f32_e32 v11, 0x32a5705f, v9
	v_sub_f32_e32 v10, v10, v12
	v_add_f32_e32 v10, v10, v11
	v_exp_f32_e32 v10, v10
	v_cvt_i32_f32_e32 v11, v12
	v_cmp_neq_f32_e64 vcc, |v6|, s44
	s_nop 1
	v_cndmask_b32_e32 v6, 0, v7, vcc
	v_ldexp_f32 v7, v10, v11
	v_cmp_ngt_f32_e32 vcc, s91, v9
	v_add_f32_e32 v6, v8, v6
	s_nop 0
	v_cndmask_b32_e32 v7, 0, v7, vcc
	v_cmp_nlt_f32_e32 vcc, s97, v9
	v_mov_b32_e32 v9, 0x7fc00000
	s_nop 0
	v_cndmask_b32_e32 v7, v99, v7, vcc
	v_fma_f32 v6, v7, v6, v7
	v_cmp_class_f32_e64 vcc, v7, s46
	v_cmp_gt_f32_e64 s[46:47], 0, v22
	s_nop 0
	v_cndmask_b32_e32 v6, v6, v7, vcc
	v_trunc_f32_e32 v7, v22
	v_cmp_eq_f32_e32 vcc, v7, v22
	v_mul_f32_e32 v7, 0.5, v22
	v_trunc_f32_e32 v8, v7
	v_cmp_neq_f32_e64 s[44:45], v8, v7
	s_and_b64 s[44:45], vcc, s[44:45]
	s_nop 0
	v_cndmask_b32_e64 v7, 1.0, v23, s[44:45]
	v_bfi_b32 v6, s92, v6, v7
	v_cndmask_b32_e32 v7, v9, v6, vcc
	v_cmp_gt_f32_e32 vcc, 0, v23
	v_cndmask_b32_e64 v8, 0, v23, s[44:45]
	s_nop 0
	v_cndmask_b32_e32 v6, v6, v7, vcc
	v_cmp_eq_f32_e32 vcc, 0, v23
	s_xor_b64 s[46:47], s[46:47], vcc
	v_cndmask_b32_e64 v7, v99, 0, s[46:47]
	v_bfi_b32 v7, s92, v7, v8
	s_or_b64 vcc, vcc, s[48:49]
	v_cndmask_b32_e32 v6, v6, v7, vcc
	v_cmp_o_f32_e32 vcc, v23, v23
	s_nop 1
	v_cndmask_b32_e32 v134, v9, v6, vcc
.LBB30_19:                              ;   in Loop: Header=BB30_14 Depth=1
	v_readlane_b32 s44, v254, 2
	v_readlane_b32 s52, v254, 21
	;; [unrolled: 1-line block ×3, first 2 shown]
	v_mul_lo_u32 v5, v5, s44
	v_sub_u32_e32 v3, v3, v5
	v_ashrrev_i32_e32 v5, 31, v3
	v_readlane_b32 s44, v254, 19
	v_sub_u32_e32 v6, 0, v3
	v_max_i32_e32 v3, v3, v6
	v_xor_b32_e32 v5, s44, v5
	v_readlane_b32 s44, v254, 20
	v_readlane_b32 s54, v254, 23
	v_readlane_b32 s55, v254, 24
	v_mul_hi_u32 v6, v3, s44
	v_mul_lo_u32 v7, v6, s95
	v_sub_u32_e32 v3, v3, v7
	v_add_u32_e32 v7, 1, v6
	v_subrev_u32_e32 v8, s95, v3
	v_cmp_le_u32_e32 vcc, s95, v3
	v_readlane_b32 s44, v254, 49
	v_readlane_b32 s45, v254, 50
	v_cndmask_b32_e32 v6, v6, v7, vcc
	v_cndmask_b32_e32 v3, v3, v8, vcc
	v_add_u32_e32 v7, 1, v6
	v_cmp_le_u32_e32 vcc, s95, v3
	v_readlane_b32 s56, v254, 25
	v_readlane_b32 s57, v254, 26
	v_cndmask_b32_e32 v3, v6, v7, vcc
	v_xor_b32_e32 v3, v3, v5
	s_andn2_b64 vcc, exec, s[44:45]
	v_sub_u32_e32 v5, v3, v5
	v_readlane_b32 s60, v254, 29
	v_readlane_b32 s61, v254, 30
	;; [unrolled: 1-line block ×10, first 2 shown]
	s_cbranch_vccnz .LBB30_21
; %bb.20:                               ;   in Loop: Header=BB30_14 Depth=1
	v_readlane_b32 s44, v254, 0
	s_nop 1
	v_mul_lo_u32 v3, v0, s44
	v_add_u32_e32 v6, v5, v3
	v_ashrrev_i32_e32 v7, 31, v6
	v_lshlrev_b64 v[6:7], 2, v[6:7]
	v_lshl_add_u64 v[6:7], s[62:63], 0, v[6:7]
	global_load_dword v3, v[6:7], off
	s_waitcnt vmcnt(0)
	v_ashrrev_i32_e32 v6, 31, v3
	v_lshrrev_b32_e32 v6, 26, v6
	v_add_u32_e32 v3, v3, v6
	v_ashrrev_i32_e32 v3, 6, v3
	v_min_i32_e32 v172, v172, v3
.LBB30_21:                              ;   in Loop: Header=BB30_14 Depth=1
	v_readlane_b32 s44, v254, 40
	v_lshlrev_b32_e32 v102, 5, v5
	s_cmp_lg_u32 s50, 0
	v_mul_lo_u32 v3, s44, v0
	v_add_u32_e32 v3, v2, v3
	v_lshlrev_b32_e32 v54, 7, v3
	v_lshlrev_b64 v[6:7], 3, v[54:55]
	v_readlane_b32 s44, v254, 9
	v_lshl_add_u64 v[128:129], s[64:65], 0, v[6:7]
	v_readlane_b32 s45, v254, 10
	v_mul_lo_u32 v3, s44, v1
	v_mul_hi_u32 v6, s44, v0
	v_add_u32_e32 v3, v6, v3
	v_mul_lo_u32 v6, s45, v0
	v_mul_lo_u32 v140, s44, v0
	v_readlane_b32 s44, v254, 15
	v_readlane_b32 s47, v254, 18
	v_add_u32_e32 v141, v3, v6
	v_lshl_add_u64 v[6:7], s[56:57], 0, v[140:141]
	v_mul_lo_u32 v142, v4, s47
	v_readlane_b32 s46, v254, 17
	v_ashrrev_i32_e32 v143, 31, v142
	v_ashrrev_i32_e32 v3, 31, v2
	v_lshl_add_u64 v[132:133], v[6:7], 0, v[142:143]
	v_lshlrev_b64 v[6:7], 2, v[2:3]
	v_readlane_b32 s46, v254, 41
	v_lshl_add_u64 v[6:7], s[60:61], 0, v[6:7]
	v_readlane_b32 s47, v254, 42
	v_readlane_b32 s45, v254, 16
	v_mul_lo_u32 v1, s44, v1
	v_cndmask_b32_e64 v131, v7, 0, s[46:47]
	v_cndmask_b32_e64 v130, v6, 0, s[46:47]
	v_readlane_b32 s46, v254, 7
	v_readlane_b32 s47, v254, 8
	v_mul_lo_u32 v144, s44, v0
	v_mul_lo_u32 v2, v2, s46
	;; [unrolled: 1-line block ×3, first 2 shown]
	v_ashrrev_i32_e32 v7, 31, v6
	v_lshl_add_u64 v[6:7], s[52:53], 0, v[6:7]
	v_ashrrev_i32_e32 v3, 31, v2
	v_lshl_add_u64 v[148:149], v[6:7], 0, v[2:3]
	v_mul_hi_u32 v2, s44, v0
	v_add_u32_e32 v1, v2, v1
	v_mul_lo_u32 v2, s45, v0
	v_readlane_b32 s44, v254, 13
	v_readlane_b32 s45, v254, 14
	v_add_u32_e32 v145, v1, v2
	v_lshl_add_u64 v[0:1], s[54:55], 0, v[144:145]
	v_mul_lo_u32 v146, v4, s45
	v_ashrrev_i32_e32 v147, 31, v146
	v_lshl_add_u64 v[138:139], v[0:1], 0, v[146:147]
	v_add_u32_e32 v103, v192, v102
	s_cbranch_scc0 .LBB30_99
; %bb.22:                               ;   in Loop: Header=BB30_14 Depth=1
	v_cmp_le_i32_e32 vcc, s96, v103
	s_and_saveexec_b64 s[44:45], vcc
	s_xor_b64 s[44:45], exec, s[44:45]
; %bb.23:                               ;   in Loop: Header=BB30_14 Depth=1
	v_add_u32_e32 v0, v251, v222
	ds_write2st64_b32 v0, v55, v55 offset1:1
; %bb.24:                               ;   in Loop: Header=BB30_14 Depth=1
	s_andn2_saveexec_b64 s[44:45], s[44:45]
	s_cbranch_execz .LBB30_26
; %bb.25:                               ;   in Loop: Header=BB30_14 Depth=1
	v_mad_u64_u32 v[0:1], s[46:47], v103, s90, v[52:53]
	v_ashrrev_i32_e32 v1, 31, v0
	v_lshl_add_u64 v[0:1], v[0:1], 3, v[148:149]
	global_load_dwordx2 v[2:3], v[0:1], off
	s_waitcnt vmcnt(0)
	v_cvt_pk_f16_f32 v2, v2, v3
	global_load_dwordx2 v[0:1], v[0:1], off offset:512
	v_pk_mul_f16 v2, v2, v219
	s_waitcnt vmcnt(0)
	v_cvt_pk_f16_f32 v0, v0, v1
	v_pk_mul_f16 v0, v0, v219
	v_accvgpr_read_b32 v1, a91
	ds_write2st64_b32 v1, v2, v0 offset1:1
.LBB30_26:                              ;   in Loop: Header=BB30_14 Depth=1
	s_or_b64 exec, exec, s[44:45]
	v_add_u32_e32 v173, v235, v102
	v_cmp_le_i32_e32 vcc, s96, v173
	s_and_saveexec_b64 s[44:45], vcc
	s_xor_b64 s[44:45], exec, s[44:45]
; %bb.27:                               ;   in Loop: Header=BB30_14 Depth=1
	v_add_u32_e32 v0, v251, v222
	v_add_u32_e32 v0, 64, v0
	ds_write2st64_b32 v0, v55, v55 offset0:8 offset1:9
; %bb.28:                               ;   in Loop: Header=BB30_14 Depth=1
	s_andn2_saveexec_b64 s[44:45], s[44:45]
	s_cbranch_execz .LBB30_30
; %bb.29:                               ;   in Loop: Header=BB30_14 Depth=1
	v_mad_u64_u32 v[0:1], s[46:47], v173, s90, v[52:53]
	v_ashrrev_i32_e32 v1, 31, v0
	v_lshl_add_u64 v[0:1], v[0:1], 3, v[148:149]
	global_load_dwordx2 v[2:3], v[0:1], off
	s_waitcnt vmcnt(0)
	v_cvt_pk_f16_f32 v2, v2, v3
	global_load_dwordx2 v[0:1], v[0:1], off offset:512
	v_pk_mul_f16 v2, v2, v219
	s_waitcnt vmcnt(0)
	v_cvt_pk_f16_f32 v0, v0, v1
	v_pk_mul_f16 v0, v0, v219
	v_accvgpr_read_b32 v1, a92
	ds_write2st64_b32 v1, v2, v0 offset1:1
.LBB30_30:                              ;   in Loop: Header=BB30_14 Depth=1
	s_or_b64 exec, exec, s[44:45]
	v_add_u32_e32 v174, v234, v102
	v_cmp_le_i32_e32 vcc, s96, v174
	s_and_saveexec_b64 s[44:45], vcc
	s_xor_b64 s[44:45], exec, s[44:45]
; %bb.31:                               ;   in Loop: Header=BB30_14 Depth=1
	v_add_u32_e32 v0, v251, v222
	v_add_u32_e32 v0, 0x80, v0
	ds_write2st64_b32 v0, v55, v55 offset0:16 offset1:17
	;; [unrolled: 27-line block ×3, first 2 shown]
; %bb.36:                               ;   in Loop: Header=BB30_14 Depth=1
	s_andn2_saveexec_b64 s[44:45], s[44:45]
	s_cbranch_execz .LBB30_38
; %bb.37:                               ;   in Loop: Header=BB30_14 Depth=1
	v_mad_u64_u32 v[0:1], s[46:47], v176, s90, v[52:53]
	v_ashrrev_i32_e32 v1, 31, v0
	v_lshl_add_u64 v[0:1], v[0:1], 3, v[148:149]
	global_load_dwordx2 v[2:3], v[0:1], off
	s_waitcnt vmcnt(0)
	v_cvt_pk_f16_f32 v2, v2, v3
	global_load_dwordx2 v[0:1], v[0:1], off offset:512
	v_pk_mul_f16 v2, v2, v219
	s_waitcnt vmcnt(0)
	v_cvt_pk_f16_f32 v0, v0, v1
	v_pk_mul_f16 v0, v0, v219
	v_accvgpr_read_b32 v1, a94
	ds_write2st64_b32 v1, v2, v0 offset1:1
.LBB30_38:                              ;   in Loop: Header=BB30_14 Depth=1
	s_or_b64 exec, exec, s[44:45]
	v_add_u32_e32 v175, v231, v102
	v_cmp_le_i32_e32 vcc, s96, v175
	s_and_saveexec_b64 s[44:45], vcc
	s_xor_b64 s[44:45], exec, s[44:45]
; %bb.39:                               ;   in Loop: Header=BB30_14 Depth=1
	v_add_u32_e32 v0, v251, v222
	ds_write2st64_b32 v0, v55, v55 offset0:33 offset1:34
; %bb.40:                               ;   in Loop: Header=BB30_14 Depth=1
	s_andn2_saveexec_b64 s[44:45], s[44:45]
	s_cbranch_execz .LBB30_42
; %bb.41:                               ;   in Loop: Header=BB30_14 Depth=1
	v_mad_u64_u32 v[0:1], s[46:47], v175, s90, v[52:53]
	v_ashrrev_i32_e32 v1, 31, v0
	v_lshl_add_u64 v[0:1], v[0:1], 3, v[148:149]
	global_load_dwordx2 v[2:3], v[0:1], off
	s_waitcnt vmcnt(0)
	v_cvt_pk_f16_f32 v2, v2, v3
	global_load_dwordx2 v[0:1], v[0:1], off offset:512
	v_pk_mul_f16 v2, v2, v219
	s_waitcnt vmcnt(0)
	v_cvt_pk_f16_f32 v0, v0, v1
	v_pk_mul_f16 v0, v0, v219
	v_accvgpr_read_b32 v1, a95
	ds_write2st64_b32 v1, v2, v0 offset1:1
.LBB30_42:                              ;   in Loop: Header=BB30_14 Depth=1
	s_or_b64 exec, exec, s[44:45]
	v_add_u32_e32 v177, v229, v102
	v_cmp_le_i32_e32 vcc, s96, v177
	s_and_saveexec_b64 s[44:45], vcc
	s_xor_b64 s[44:45], exec, s[44:45]
; %bb.43:                               ;   in Loop: Header=BB30_14 Depth=1
	v_add_u32_e32 v0, v251, v222
	v_add_u32_e32 v0, 64, v0
	ds_write2st64_b32 v0, v55, v55 offset0:41 offset1:42
; %bb.44:                               ;   in Loop: Header=BB30_14 Depth=1
	s_andn2_saveexec_b64 s[44:45], s[44:45]
	s_cbranch_execz .LBB30_46
; %bb.45:                               ;   in Loop: Header=BB30_14 Depth=1
	v_mad_u64_u32 v[0:1], s[46:47], v177, s90, v[52:53]
	v_ashrrev_i32_e32 v1, 31, v0
	v_lshl_add_u64 v[0:1], v[0:1], 3, v[148:149]
	global_load_dwordx2 v[2:3], v[0:1], off
	s_waitcnt vmcnt(0)
	v_cvt_pk_f16_f32 v2, v2, v3
	global_load_dwordx2 v[0:1], v[0:1], off offset:512
	v_pk_mul_f16 v2, v2, v219
	s_waitcnt vmcnt(0)
	v_cvt_pk_f16_f32 v0, v0, v1
	v_pk_mul_f16 v0, v0, v219
	v_accvgpr_read_b32 v1, a96
	ds_write2st64_b32 v1, v2, v0 offset1:1
.LBB30_46:                              ;   in Loop: Header=BB30_14 Depth=1
	s_or_b64 exec, exec, s[44:45]
	v_add_u32_e32 v178, v226, v102
	v_cmp_le_i32_e32 vcc, s96, v178
	s_and_saveexec_b64 s[44:45], vcc
	s_xor_b64 s[44:45], exec, s[44:45]
; %bb.47:                               ;   in Loop: Header=BB30_14 Depth=1
	v_add_u32_e32 v0, v251, v222
	;; [unrolled: 27-line block ×3, first 2 shown]
	v_add_u32_e32 v0, 0xc0, v0
	ds_write2st64_b32 v0, v55, v55 offset0:57 offset1:58
; %bb.52:                               ;   in Loop: Header=BB30_14 Depth=1
	s_andn2_saveexec_b64 s[44:45], s[44:45]
	s_cbranch_execz .LBB30_54
; %bb.53:                               ;   in Loop: Header=BB30_14 Depth=1
	v_mad_u64_u32 v[0:1], s[46:47], v179, s90, v[52:53]
	v_ashrrev_i32_e32 v1, 31, v0
	v_lshl_add_u64 v[0:1], v[0:1], 3, v[148:149]
	global_load_dwordx2 v[2:3], v[0:1], off
	s_waitcnt vmcnt(0)
	v_cvt_pk_f16_f32 v2, v2, v3
	global_load_dwordx2 v[0:1], v[0:1], off offset:512
	v_pk_mul_f16 v2, v2, v219
	s_waitcnt vmcnt(0)
	v_cvt_pk_f16_f32 v0, v0, v1
	v_pk_mul_f16 v0, v0, v219
	v_accvgpr_read_b32 v1, a98
	ds_write2st64_b32 v1, v2, v0 offset1:1
.LBB30_54:                              ;   in Loop: Header=BB30_14 Depth=1
	s_or_b64 exec, exec, s[44:45]
	s_waitcnt lgkmcnt(0)
	s_barrier
	ds_read2_b64 v[30:33], v200 offset1:4
	ds_read2_b64 v[26:29], v200 offset0:8 offset1:12
	ds_read2_b64 v[22:25], v200 offset0:16 offset1:20
	;; [unrolled: 1-line block ×7, first 2 shown]
	v_add_u32_e32 v104, -1, v172
	v_cmp_ge_i32_e32 vcc, s50, v104
	s_waitcnt lgkmcnt(0)
	s_barrier
	s_cbranch_vccnz .LBB30_100
; %bb.55:                               ;   in Loop: Header=BB30_14 Depth=1
	v_mul_hi_u32 v0, s68, v103
	v_add_u32_e32 v0, v103, v0
	v_lshrrev_b32_e32 v0, s69, v0
	v_mul_lo_u32 v0, v0, s96
	v_sub_u32_e32 v0, v103, v0
	v_mad_i64_i32 v[152:153], s[46:47], v0, s86, 0
	v_mul_hi_u32 v0, s68, v173
	v_add_u32_e32 v0, v173, v0
	v_lshrrev_b32_e32 v0, s69, v0
	v_mul_lo_u32 v0, v0, s96
	v_sub_u32_e32 v0, v173, v0
	v_mad_i64_i32 v[154:155], s[46:47], v0, s86, 0
	;; [unrolled: 6-line block ×8, first 2 shown]
	v_and_b32_e32 v0, 64, v220
	v_add_u32_e32 v0, 64, v0
	v_xor_b32_e32 v1, 32, v220
	v_cmp_lt_i32_e32 vcc, v1, v0
	v_lshlrev_b32_e32 v54, 1, v52
	v_cmp_ne_u64_e64 s[44:45], 0, v[136:137]
	v_cndmask_b32_e32 v1, v220, v1, vcc
	v_lshlrev_b32_e32 v105, 2, v1
	v_xor_b32_e32 v1, 16, v220
	v_cmp_lt_i32_e32 vcc, v1, v0
	v_lshl_add_u64 v[150:151], v[136:137], 0, v[54:55]
	v_mov_b32_e32 v168, v134
	v_cndmask_b32_e32 v0, v220, v1, vcc
	v_lshlrev_b32_e32 v106, 2, v0
	v_mov_b32_e32 v169, v134
	s_lshl_b32 s46, s50, 6
	v_mov_b32_e32 v107, 0
	v_mov_b32_e32 v53, 0xfeffffff
	v_mov_b32_e32 v51, 0
	v_mov_b32_e32 v190, 0
	v_mov_b32_e32 v109, 0
	v_mov_b32_e32 v108, 0
	v_mov_b32_e32 v111, 0
	v_mov_b32_e32 v110, 0
	v_mov_b32_e32 v113, 0
	v_mov_b32_e32 v112, 0
	v_mov_b32_e32 v115, 0
	v_mov_b32_e32 v114, 0
	v_mov_b32_e32 v117, 0
	v_mov_b32_e32 v116, 0
	v_mov_b32_e32 v127, 0
	v_mov_b32_e32 v118, 0
	v_mov_b32_e32 v189, 0
	v_mov_b32_e32 v184, 0
	v_mov_b32_e32 v188, 0
	v_mov_b32_e32 v185, 0
	v_mov_b32_e32 v100, 0
	v_mov_b32_e32 v182, 0
	v_mov_b32_e32 v94, 0
	v_mov_b32_e32 v0, 0
	v_mov_b32_e32 v95, 0
	v_mov_b32_e32 v96, 0
	v_mov_b32_e32 v119, 0
	v_mov_b32_e32 v97, 0
	v_mov_b32_e32 v121, 0
	v_mov_b32_e32 v120, 0
	v_mov_b32_e32 v123, 0
	v_mov_b32_e32 v122, 0
	v_mov_b32_e32 v125, 0
	v_mov_b32_e32 v124, 0
	s_andn2_b64 vcc, exec, s[44:45]
	s_ashr_i32 s47, s46, 31
	s_cbranch_vccnz .LBB30_61
.LBB30_56:                              ;   in Loop: Header=BB30_14 Depth=1
	s_and_saveexec_b64 s[48:49], s[0:1]
	s_xor_b64 s[48:49], exec, s[48:49]
	s_cbranch_execz .LBB30_58
; %bb.57:                               ;   in Loop: Header=BB30_14 Depth=1
	ds_write_b16 v227, v55 offset:33792
	ds_write_b16 v218, v55 offset:33792
	ds_write_b16 v217, v55 offset:33792
	ds_write_b16 v223, v55 offset:33792
.LBB30_58:                              ;   in Loop: Header=BB30_14 Depth=1
	s_or_saveexec_b64 s[48:49], s[48:49]
	v_mov_b32_e32 v1, 0
	v_mov_b32_e32 v34, 0
	;; [unrolled: 1-line block ×4, first 2 shown]
	s_xor_b64 exec, exec, s[48:49]
	s_cbranch_execz .LBB30_60
; %bb.59:                               ;   in Loop: Header=BB30_14 Depth=1
	v_lshl_add_u64 v[36:37], s[46:47], 1, v[150:151]
	v_lshl_add_u64 v[34:35], v[152:153], 1, v[36:37]
	global_load_ushort v1, v[34:35], off
	v_lshl_add_u64 v[34:35], v[154:155], 1, v[36:37]
	global_load_ushort v38, v[34:35], off
	v_lshl_add_u64 v[34:35], v[156:157], 1, v[36:37]
	global_load_ushort v39, v[34:35], off
	v_lshl_add_u64 v[34:35], v[158:159], 1, v[36:37]
	global_load_ushort v34, v[34:35], off
	s_waitcnt vmcnt(3)
	ds_write_b16 v227, v1 offset:33792
	s_waitcnt vmcnt(2)
	ds_write_b16 v218, v38 offset:33792
	;; [unrolled: 2-line block ×4, first 2 shown]
	v_lshl_add_u64 v[34:35], v[160:161], 1, v[36:37]
	global_load_ushort v1, v[34:35], off
	v_lshl_add_u64 v[34:35], v[162:163], 1, v[36:37]
	v_lshl_add_u64 v[38:39], v[164:165], 1, v[36:37]
	;; [unrolled: 1-line block ×3, first 2 shown]
	global_load_ushort v34, v[34:35], off
	s_nop 0
	global_load_ushort v36, v[36:37], off
	s_nop 0
	global_load_ushort v35, v[38:39], off
.LBB30_60:                              ;   in Loop: Header=BB30_14 Depth=1
	s_or_b64 exec, exec, s[48:49]
	s_waitcnt vmcnt(3)
	ds_write_b16 v215, v1 offset:33792
	s_waitcnt vmcnt(2)
	ds_write_b16 v214, v34 offset:33792
	;; [unrolled: 2-line block ×3, first 2 shown]
	ds_write_b16 v250, v36 offset:33792
.LBB30_61:                              ;   Parent Loop BB30_14 Depth=1
                                        ; =>  This Inner Loop Header: Depth=2
	s_mul_hi_i32 s49, s46, s78
	s_mul_i32 s48, s46, s78
	s_lshl_b64 s[48:49], s[48:49], 2
	v_lshl_add_u64 v[38:39], v[138:139], 0, s[48:49]
	v_lshl_add_u64 v[34:35], v[60:61], 2, v[38:39]
	v_lshlrev_b32_e32 v54, 2, v56
	v_lshl_add_u64 v[34:35], v[34:35], 0, v[54:55]
	v_mov_b32_e32 v1, s43
	v_cndmask_b32_e64 v35, v1, v35, s[6:7]
	v_cndmask_b32_e64 v34, v101, v34, s[6:7]
	scratch_store_dwordx4 off, a[8:11], off
	flat_load_dwordx4 v[34:37], v[34:35]
	v_lshl_add_u64 v[40:41], v[62:63], 2, v[38:39]
	v_lshl_add_u64 v[40:41], v[40:41], 0, v[54:55]
	v_cndmask_b32_e64 v41, v1, v41, s[8:9]
	v_cndmask_b32_e64 v40, v101, v40, s[8:9]
                                        ; implicit-def: $vgpr42
	s_waitcnt vmcnt(0) lgkmcnt(0)
	ds_write_b128 v202, v[34:37]
	flat_load_dwordx4 v[34:37], v[40:41]
	v_lshl_add_u64 v[40:41], v[64:65], 2, v[38:39]
	v_lshl_add_u64 v[40:41], v[40:41], 0, v[54:55]
	v_cndmask_b32_e64 v41, v1, v41, s[10:11]
	v_cndmask_b32_e64 v40, v101, v40, s[10:11]
	s_waitcnt vmcnt(0) lgkmcnt(0)
	ds_write_b128 v248, v[34:37]
	flat_load_dwordx4 v[34:37], v[40:41]
	v_lshl_add_u64 v[40:41], v[66:67], 2, v[38:39]
	v_lshl_add_u64 v[40:41], v[40:41], 0, v[54:55]
	v_cndmask_b32_e64 v41, v1, v41, s[12:13]
	v_cndmask_b32_e64 v40, v101, v40, s[12:13]
	;; [unrolled: 7-line block ×5, first 2 shown]
	v_lshl_add_u64 v[38:39], v[74:75], 2, v[38:39]
	v_lshl_add_u64 v[38:39], v[38:39], 0, v[54:55]
	v_cndmask_b32_e64 v39, v1, v39, s[20:21]
	v_cndmask_b32_e64 v38, v101, v38, s[20:21]
	v_add_u32_e32 v1, 0x4000, v203
	s_waitcnt vmcnt(0) lgkmcnt(0)
	ds_write_b128 v221, v[34:37]
	flat_load_dwordx4 v[34:37], v[40:41]
	s_waitcnt vmcnt(0) lgkmcnt(0)
	ds_write_b128 v240, v[34:37]
	flat_load_dwordx4 v[34:37], v[38:39]
	s_waitcnt vmcnt(0) lgkmcnt(0)
	ds_write_b128 v239, v[34:37]
	s_waitcnt lgkmcnt(0)
	s_barrier
	ds_read2_b64 v[34:37], v203 offset1:4
	ds_read2_b64 v[38:41], v1 offset0:64 offset1:68
	s_waitcnt lgkmcnt(1)
	v_mfma_f32_16x16x16_f16 a[0:3], v[34:35], v[30:31], 0
	s_waitcnt lgkmcnt(0)
	v_mfma_f32_16x16x16_f16 a[4:7], v[38:39], v[30:31], 0
	v_mfma_f32_16x16x16_f16 a[0:3], v[36:37], v[32:33], a[0:3]
	ds_read2_b64 v[34:37], v203 offset0:8 offset1:12
	v_mfma_f32_16x16x16_f16 a[4:7], v[40:41], v[32:33], a[4:7]
	ds_read2_b64 v[38:41], v1 offset0:72 offset1:76
	s_waitcnt lgkmcnt(1)
	v_mfma_f32_16x16x16_f16 a[0:3], v[34:35], v[26:27], a[0:3]
	s_waitcnt lgkmcnt(0)
	v_mfma_f32_16x16x16_f16 a[4:7], v[38:39], v[26:27], a[4:7]
	v_mfma_f32_16x16x16_f16 a[0:3], v[36:37], v[28:29], a[0:3]
	ds_read2_b64 v[34:37], v203 offset0:16 offset1:20
	v_mfma_f32_16x16x16_f16 a[4:7], v[40:41], v[28:29], a[4:7]
	;; [unrolled: 8-line block ×7, first 2 shown]
	ds_read2_b64 v[38:41], v1 offset0:120 offset1:124
	s_waitcnt lgkmcnt(0)
	s_barrier
	v_mfma_f32_16x16x16_f16 a[0:3], v[34:35], v[2:3], a[0:3]
	v_mfma_f32_16x16x16_f16 a[12:15], v[38:39], v[2:3], a[4:7]
	;; [unrolled: 1-line block ×4, first 2 shown]
	s_nop 6
	v_accvgpr_read_b32 v1, a4
	v_cmp_nlt_f32_e64 s[48:49], |v1|, s94
	s_and_saveexec_b64 s[52:53], s[48:49]
	s_xor_b64 s[48:49], exec, s[52:53]
	s_cbranch_execz .LBB30_63
; %bb.62:                               ;   in Loop: Header=BB30_61 Depth=2
	v_add_f32_e64 v34, |v1|, |v1|
	v_mul_f32_e32 v35, 0x3fb8aa3b, v34
	v_rndne_f32_e32 v36, v35
	v_sub_f32_e32 v37, v35, v36
	v_fma_f32 v35, v34, s88, -v35
	v_fmac_f32_e32 v35, 0x32a5705f, v34
	v_add_f32_e32 v35, v37, v35
	v_cvt_i32_f32_e32 v36, v36
	v_exp_f32_e32 v35, v35
	v_cmp_ngt_f32_e32 vcc, s91, v34
	v_ldexp_f32 v35, v35, v36
	s_nop 0
	v_cndmask_b32_e32 v35, 0, v35, vcc
	v_cmp_nlt_f32_e32 vcc, s97, v34
	s_nop 1
	v_cndmask_b32_e32 v34, v99, v35, vcc
	v_add_f32_e32 v34, 1.0, v34
	v_rcp_f32_e32 v34, v34
	s_nop 0
	v_fma_f32 v42, v34, -2.0, 1.0
.LBB30_63:                              ;   in Loop: Header=BB30_61 Depth=2
	s_andn2_saveexec_b64 s[48:49], s[48:49]
; %bb.64:                               ;   in Loop: Header=BB30_61 Depth=2
	v_mul_f32_e32 v34, v1, v1
	v_fmamk_f32 v35, v34, 0xbbbac73d, v98
	v_fmaak_f32 v35, v34, v35, 0xbd5c1c4e
	v_fmaak_f32 v35, v34, v35, 0x3e088382
	;; [unrolled: 1-line block ×3, first 2 shown]
	v_mul_f32_e64 v35, |v1|, v35
	v_fma_f32 v42, v34, v35, |v1|
; %bb.65:                               ;   in Loop: Header=BB30_61 Depth=2
	s_or_b64 exec, exec, s[48:49]
	v_accvgpr_read_b32 v37, a7
	v_accvgpr_read_b32 v35, a5
	;; [unrolled: 1-line block ×4, first 2 shown]
	v_cmp_nlt_f32_e64 s[48:49], |v35|, s94
                                        ; implicit-def: $vgpr34
	s_and_saveexec_b64 s[52:53], s[48:49]
	s_xor_b64 s[48:49], exec, s[52:53]
	s_cbranch_execz .LBB30_67
; %bb.66:                               ;   in Loop: Header=BB30_61 Depth=2
	v_add_f32_e64 v34, |v35|, |v35|
	v_mul_f32_e32 v38, 0x3fb8aa3b, v34
	v_rndne_f32_e32 v39, v38
	v_sub_f32_e32 v40, v38, v39
	v_fma_f32 v38, v34, s88, -v38
	v_fmac_f32_e32 v38, 0x32a5705f, v34
	v_add_f32_e32 v38, v40, v38
	v_cvt_i32_f32_e32 v39, v39
	v_exp_f32_e32 v38, v38
	v_cmp_ngt_f32_e32 vcc, s91, v34
	v_ldexp_f32 v38, v38, v39
	s_nop 0
	v_cndmask_b32_e32 v38, 0, v38, vcc
	v_cmp_nlt_f32_e32 vcc, s97, v34
	s_nop 1
	v_cndmask_b32_e32 v34, v99, v38, vcc
	v_add_f32_e32 v34, 1.0, v34
	v_rcp_f32_e32 v34, v34
	s_nop 0
	v_fma_f32 v34, v34, -2.0, 1.0
.LBB30_67:                              ;   in Loop: Header=BB30_61 Depth=2
	s_andn2_saveexec_b64 s[48:49], s[48:49]
; %bb.68:                               ;   in Loop: Header=BB30_61 Depth=2
	v_mul_f32_e32 v34, v35, v35
	v_fmamk_f32 v38, v34, 0xbbbac73d, v98
	v_fmaak_f32 v38, v34, v38, 0xbd5c1c4e
	v_fmaak_f32 v38, v34, v38, 0x3e088382
	;; [unrolled: 1-line block ×3, first 2 shown]
	v_mul_f32_e64 v38, |v35|, v38
	v_fma_f32 v34, v34, v38, |v35|
; %bb.69:                               ;   in Loop: Header=BB30_61 Depth=2
	s_or_b64 exec, exec, s[48:49]
	v_cmp_nlt_f32_e64 s[48:49], |v36|, s94
                                        ; implicit-def: $vgpr43
	s_and_saveexec_b64 s[52:53], s[48:49]
	s_xor_b64 s[48:49], exec, s[52:53]
	s_cbranch_execz .LBB30_71
; %bb.70:                               ;   in Loop: Header=BB30_61 Depth=2
	v_add_f32_e64 v38, |v36|, |v36|
	v_mul_f32_e32 v39, 0x3fb8aa3b, v38
	v_rndne_f32_e32 v40, v39
	v_sub_f32_e32 v41, v39, v40
	v_fma_f32 v39, v38, s88, -v39
	v_fmac_f32_e32 v39, 0x32a5705f, v38
	v_add_f32_e32 v39, v41, v39
	v_cvt_i32_f32_e32 v40, v40
	v_exp_f32_e32 v39, v39
	v_cmp_ngt_f32_e32 vcc, s91, v38
	v_ldexp_f32 v39, v39, v40
	s_nop 0
	v_cndmask_b32_e32 v39, 0, v39, vcc
	v_cmp_nlt_f32_e32 vcc, s97, v38
	s_nop 1
	v_cndmask_b32_e32 v38, v99, v39, vcc
	v_add_f32_e32 v38, 1.0, v38
	v_rcp_f32_e32 v38, v38
	s_nop 0
	v_fma_f32 v43, v38, -2.0, 1.0
.LBB30_71:                              ;   in Loop: Header=BB30_61 Depth=2
	s_andn2_saveexec_b64 s[48:49], s[48:49]
; %bb.72:                               ;   in Loop: Header=BB30_61 Depth=2
	v_mul_f32_e32 v38, v36, v36
	v_fmamk_f32 v39, v38, 0xbbbac73d, v98
	v_fmaak_f32 v39, v38, v39, 0xbd5c1c4e
	v_fmaak_f32 v39, v38, v39, 0x3e088382
	;; [unrolled: 1-line block ×3, first 2 shown]
	v_mul_f32_e64 v39, |v36|, v39
	v_fma_f32 v43, v38, v39, |v36|
; %bb.73:                               ;   in Loop: Header=BB30_61 Depth=2
	s_or_b64 exec, exec, s[48:49]
	v_cmp_nlt_f32_e64 s[48:49], |v37|, s94
                                        ; implicit-def: $vgpr44
	s_and_saveexec_b64 s[52:53], s[48:49]
	s_xor_b64 s[48:49], exec, s[52:53]
	s_cbranch_execz .LBB30_75
; %bb.74:                               ;   in Loop: Header=BB30_61 Depth=2
	v_add_f32_e64 v38, |v37|, |v37|
	v_mul_f32_e32 v39, 0x3fb8aa3b, v38
	v_rndne_f32_e32 v40, v39
	v_sub_f32_e32 v41, v39, v40
	v_fma_f32 v39, v38, s88, -v39
	v_fmac_f32_e32 v39, 0x32a5705f, v38
	v_add_f32_e32 v39, v41, v39
	v_cvt_i32_f32_e32 v40, v40
	v_exp_f32_e32 v39, v39
	v_cmp_ngt_f32_e32 vcc, s91, v38
	v_ldexp_f32 v39, v39, v40
	s_nop 0
	v_cndmask_b32_e32 v39, 0, v39, vcc
	v_cmp_nlt_f32_e32 vcc, s97, v38
	s_nop 1
	v_cndmask_b32_e32 v38, v99, v39, vcc
	v_add_f32_e32 v38, 1.0, v38
	v_rcp_f32_e32 v38, v38
	s_nop 0
	v_fma_f32 v44, v38, -2.0, 1.0
.LBB30_75:                              ;   in Loop: Header=BB30_61 Depth=2
	s_andn2_saveexec_b64 s[48:49], s[48:49]
; %bb.76:                               ;   in Loop: Header=BB30_61 Depth=2
	v_mul_f32_e32 v38, v37, v37
	v_fmamk_f32 v39, v38, 0xbbbac73d, v98
	v_fmaak_f32 v39, v38, v39, 0xbd5c1c4e
	v_fmaak_f32 v39, v38, v39, 0x3e088382
	;; [unrolled: 1-line block ×3, first 2 shown]
	v_mul_f32_e64 v39, |v37|, v39
	v_fma_f32 v44, v38, v39, |v37|
; %bb.77:                               ;   in Loop: Header=BB30_61 Depth=2
	s_or_b64 exec, exec, s[48:49]
	v_accvgpr_read_b32 v41, a3
	v_accvgpr_read_b32 v38, a0
	;; [unrolled: 1-line block ×4, first 2 shown]
	v_cmp_nlt_f32_e64 s[48:49], |v38|, s94
                                        ; implicit-def: $vgpr45
	s_and_saveexec_b64 s[52:53], s[48:49]
	s_xor_b64 s[48:49], exec, s[52:53]
	s_cbranch_execz .LBB30_79
; %bb.78:                               ;   in Loop: Header=BB30_61 Depth=2
	v_add_f32_e64 v45, |v38|, |v38|
	v_mul_f32_e32 v46, 0x3fb8aa3b, v45
	v_rndne_f32_e32 v47, v46
	v_sub_f32_e32 v48, v46, v47
	v_fma_f32 v46, v45, s88, -v46
	v_fmac_f32_e32 v46, 0x32a5705f, v45
	v_add_f32_e32 v46, v48, v46
	v_cvt_i32_f32_e32 v47, v47
	v_exp_f32_e32 v46, v46
	v_cmp_ngt_f32_e32 vcc, s91, v45
	v_ldexp_f32 v46, v46, v47
	s_nop 0
	v_cndmask_b32_e32 v46, 0, v46, vcc
	v_cmp_nlt_f32_e32 vcc, s97, v45
	s_nop 1
	v_cndmask_b32_e32 v45, v99, v46, vcc
	v_add_f32_e32 v45, 1.0, v45
	v_rcp_f32_e32 v45, v45
	s_nop 0
	v_fma_f32 v45, v45, -2.0, 1.0
.LBB30_79:                              ;   in Loop: Header=BB30_61 Depth=2
	s_andn2_saveexec_b64 s[48:49], s[48:49]
; %bb.80:                               ;   in Loop: Header=BB30_61 Depth=2
	v_mul_f32_e32 v45, v38, v38
	v_fmamk_f32 v46, v45, 0xbbbac73d, v98
	v_fmaak_f32 v46, v45, v46, 0xbd5c1c4e
	v_fmaak_f32 v46, v45, v46, 0x3e088382
	;; [unrolled: 1-line block ×3, first 2 shown]
	v_mul_f32_e64 v46, |v38|, v46
	v_fma_f32 v45, v45, v46, |v38|
; %bb.81:                               ;   in Loop: Header=BB30_61 Depth=2
	s_or_b64 exec, exec, s[48:49]
	v_cmp_nlt_f32_e64 s[48:49], |v39|, s94
                                        ; implicit-def: $vgpr46
	s_and_saveexec_b64 s[52:53], s[48:49]
	s_xor_b64 s[48:49], exec, s[52:53]
	s_cbranch_execz .LBB30_83
; %bb.82:                               ;   in Loop: Header=BB30_61 Depth=2
	v_add_f32_e64 v46, |v39|, |v39|
	v_mul_f32_e32 v47, 0x3fb8aa3b, v46
	v_rndne_f32_e32 v48, v47
	v_sub_f32_e32 v49, v47, v48
	v_fma_f32 v47, v46, s88, -v47
	v_fmac_f32_e32 v47, 0x32a5705f, v46
	v_add_f32_e32 v47, v49, v47
	v_cvt_i32_f32_e32 v48, v48
	v_exp_f32_e32 v47, v47
	v_cmp_ngt_f32_e32 vcc, s91, v46
	v_ldexp_f32 v47, v47, v48
	s_nop 0
	v_cndmask_b32_e32 v47, 0, v47, vcc
	v_cmp_nlt_f32_e32 vcc, s97, v46
	s_nop 1
	v_cndmask_b32_e32 v46, v99, v47, vcc
	v_add_f32_e32 v46, 1.0, v46
	v_rcp_f32_e32 v46, v46
	s_nop 0
	v_fma_f32 v46, v46, -2.0, 1.0
.LBB30_83:                              ;   in Loop: Header=BB30_61 Depth=2
	s_andn2_saveexec_b64 s[48:49], s[48:49]
; %bb.84:                               ;   in Loop: Header=BB30_61 Depth=2
	v_mul_f32_e32 v46, v39, v39
	v_fmamk_f32 v47, v46, 0xbbbac73d, v98
	v_fmaak_f32 v47, v46, v47, 0xbd5c1c4e
	v_fmaak_f32 v47, v46, v47, 0x3e088382
	;; [unrolled: 1-line block ×3, first 2 shown]
	v_mul_f32_e64 v47, |v39|, v47
	v_fma_f32 v46, v46, v47, |v39|
; %bb.85:                               ;   in Loop: Header=BB30_61 Depth=2
	s_or_b64 exec, exec, s[48:49]
	v_cmp_nlt_f32_e64 s[48:49], |v40|, s94
                                        ; implicit-def: $vgpr47
	s_and_saveexec_b64 s[52:53], s[48:49]
	s_xor_b64 s[48:49], exec, s[52:53]
	s_cbranch_execz .LBB30_87
; %bb.86:                               ;   in Loop: Header=BB30_61 Depth=2
	v_add_f32_e64 v47, |v40|, |v40|
	v_mul_f32_e32 v48, 0x3fb8aa3b, v47
	v_rndne_f32_e32 v49, v48
	v_sub_f32_e32 v57, v48, v49
	v_fma_f32 v48, v47, s88, -v48
	v_fmac_f32_e32 v48, 0x32a5705f, v47
	v_add_f32_e32 v48, v57, v48
	v_cvt_i32_f32_e32 v49, v49
	v_exp_f32_e32 v48, v48
	v_cmp_ngt_f32_e32 vcc, s91, v47
	v_ldexp_f32 v48, v48, v49
	s_nop 0
	v_cndmask_b32_e32 v48, 0, v48, vcc
	v_cmp_nlt_f32_e32 vcc, s97, v47
	s_nop 1
	v_cndmask_b32_e32 v47, v99, v48, vcc
	v_add_f32_e32 v47, 1.0, v47
	v_rcp_f32_e32 v47, v47
	s_nop 0
	v_fma_f32 v47, v47, -2.0, 1.0
.LBB30_87:                              ;   in Loop: Header=BB30_61 Depth=2
	s_andn2_saveexec_b64 s[48:49], s[48:49]
; %bb.88:                               ;   in Loop: Header=BB30_61 Depth=2
	v_mul_f32_e32 v47, v40, v40
	v_fmamk_f32 v48, v47, 0xbbbac73d, v98
	v_fmaak_f32 v48, v47, v48, 0xbd5c1c4e
	v_fmaak_f32 v48, v47, v48, 0x3e088382
	;; [unrolled: 1-line block ×3, first 2 shown]
	v_mul_f32_e64 v48, |v40|, v48
	v_fma_f32 v47, v47, v48, |v40|
; %bb.89:                               ;   in Loop: Header=BB30_61 Depth=2
	s_or_b64 exec, exec, s[48:49]
	v_cmp_nlt_f32_e64 s[48:49], |v41|, s94
                                        ; implicit-def: $vgpr57
	s_and_saveexec_b64 s[52:53], s[48:49]
	s_xor_b64 s[48:49], exec, s[52:53]
	s_cbranch_execz .LBB30_91
; %bb.90:                               ;   in Loop: Header=BB30_61 Depth=2
	v_add_f32_e64 v48, |v41|, |v41|
	v_mul_f32_e32 v49, 0x3fb8aa3b, v48
	v_rndne_f32_e32 v57, v49
	v_sub_f32_e32 v126, v49, v57
	v_fma_f32 v49, v48, s88, -v49
	v_fmac_f32_e32 v49, 0x32a5705f, v48
	v_add_f32_e32 v49, v126, v49
	v_cvt_i32_f32_e32 v57, v57
	v_exp_f32_e32 v49, v49
	v_cmp_ngt_f32_e32 vcc, s91, v48
	v_ldexp_f32 v49, v49, v57
	s_nop 0
	v_cndmask_b32_e32 v49, 0, v49, vcc
	v_cmp_nlt_f32_e32 vcc, s97, v48
	s_nop 1
	v_cndmask_b32_e32 v48, v99, v49, vcc
	v_add_f32_e32 v48, 1.0, v48
	v_rcp_f32_e32 v48, v48
	s_nop 0
	v_fma_f32 v57, v48, -2.0, 1.0
.LBB30_91:                              ;   in Loop: Header=BB30_61 Depth=2
	s_andn2_saveexec_b64 s[48:49], s[48:49]
; %bb.92:                               ;   in Loop: Header=BB30_61 Depth=2
	v_mul_f32_e32 v48, v41, v41
	v_fmamk_f32 v49, v48, 0xbbbac73d, v98
	v_fmaak_f32 v49, v48, v49, 0xbd5c1c4e
	v_fmaak_f32 v49, v48, v49, 0x3e088382
	;; [unrolled: 1-line block ×3, first 2 shown]
	v_mul_f32_e64 v49, |v41|, v49
	v_fma_f32 v57, v48, v49, |v41|
; %bb.93:                               ;   in Loop: Header=BB30_61 Depth=2
	s_or_b64 exec, exec, s[48:49]
	v_bfi_b32 v1, s92, v42, v1
	v_bfi_b32 v39, s92, v46, v39
	v_mul_f32_e32 v46, s3, v1
	v_bfi_b32 v1, s92, v34, v35
	v_bfi_b32 v40, s92, v47, v40
	v_mul_f32_e32 v47, s3, v1
	v_bfi_b32 v1, s92, v43, v36
	v_mul_f32_e32 v48, s3, v1
	v_bfi_b32 v1, s92, v44, v37
	v_bfi_b32 v38, s92, v45, v38
	v_mul_f32_e32 v49, s3, v1
	v_bfi_b32 v1, s92, v57, v41
	v_mul_f32_e32 v38, s3, v38
	v_mul_f32_e32 v39, s3, v39
	;; [unrolled: 1-line block ×4, first 2 shown]
	s_and_b64 vcc, exec, s[44:45]
	s_cbranch_vccz .LBB30_98
; %bb.94:                               ;   in Loop: Header=BB30_61 Depth=2
	v_add_u32_e32 v1, 0x8400, v228
	ds_read2_b32 v[34:35], v1 offset1:1
	ds_read_b32 v1, v230 offset:33792
	ds_read_b32 v36, v232 offset:33792
	v_mov_b32_e32 v135, v134
	s_waitcnt lgkmcnt(2)
	v_cvt_f32_f16_e32 v42, v34
	v_cvt_f32_f16_sdwa v43, v34 dst_sel:DWORD dst_unused:UNUSED_PAD src0_sel:WORD_1
	v_cvt_f32_f16_e32 v34, v35
	v_cvt_f32_f16_sdwa v35, v35 dst_sel:DWORD dst_unused:UNUSED_PAD src0_sel:WORD_1
	s_waitcnt lgkmcnt(1)
	v_cvt_f32_f16_sdwa v171, v1 dst_sel:DWORD dst_unused:UNUSED_PAD src0_sel:WORD_1
	s_waitcnt lgkmcnt(0)
	v_cvt_f32_f16_sdwa v45, v36 dst_sel:DWORD dst_unused:UNUSED_PAD src0_sel:WORD_1
	v_cvt_f32_f16_e32 v44, v36
	v_cvt_f32_f16_e32 v170, v1
	v_pk_fma_f32 v[36:37], v[134:135], v[34:35], v[48:49]
	v_pk_fma_f32 v[34:35], v[168:169], v[42:43], v[46:47]
	;; [unrolled: 1-line block ×4, first 2 shown]
	s_cbranch_execnz .LBB30_96
.LBB30_95:                              ;   in Loop: Header=BB30_61 Depth=2
	v_mov_b64_e32 v[44:45], v[40:41]
	v_mov_b64_e32 v[34:35], v[46:47]
	;; [unrolled: 1-line block ×4, first 2 shown]
.LBB30_96:                              ;   in Loop: Header=BB30_61 Depth=2
	v_add_f32_e32 v1, 0x40051340, v34
	v_max_f32_e32 v38, v53, v53
	v_max_f32_e32 v1, v38, v1
	v_cndmask_b32_e64 v1, v53, v1, s[22:23]
	v_add_f32_e32 v38, 0x40051340, v35
	v_max_f32_e32 v39, v1, v1
	v_max_f32_e32 v38, v39, v38
	v_cndmask_b32_e64 v1, v1, v38, s[24:25]
	;; [unrolled: 4-line block ×8, first 2 shown]
	ds_bpermute_b32 v38, v105, v1
	v_max_f32_e32 v1, v1, v1
	s_mul_hi_i32 s49, s46, s98
	s_mul_i32 s48, s46, s98
	s_lshl_b64 s[48:49], s[48:49], 2
	s_waitcnt lgkmcnt(0)
	v_max_f32_e32 v38, v38, v38
	v_max_f32_e32 v1, v1, v38
	ds_bpermute_b32 v38, v106, v1
	v_mov_b32_e32 v48, s43
	scratch_store_dwordx4 off, a[8:11], off
	s_add_i32 s50, s50, 1
	s_add_i32 s46, s46, 64
	s_waitcnt lgkmcnt(0)
	v_max_f32_e32 v38, v38, v38
	v_max_f32_e32 v41, v1, v38
	v_sub_f32_e32 v1, v34, v41
	v_mul_f32_e32 v34, 0x3fb8aa3b, v1
	v_fma_f32 v38, v1, s88, -v34
	v_rndne_f32_e32 v39, v34
	v_fmac_f32_e32 v38, 0x32a5705f, v1
	v_sub_f32_e32 v34, v34, v39
	v_add_f32_e32 v34, v34, v38
	v_exp_f32_e32 v34, v34
	v_cvt_i32_f32_e32 v38, v39
	v_cmp_ngt_f32_e32 vcc, s91, v1
	v_ldexp_f32 v34, v34, v38
	s_nop 0
	v_cndmask_b32_e32 v34, 0, v34, vcc
	v_cmp_nlt_f32_e32 vcc, s97, v1
	s_nop 1
	v_cndmask_b32_e32 v1, v99, v34, vcc
	v_cndmask_b32_e64 v38, 0, v1, s[22:23]
	v_sub_f32_e32 v1, v35, v41
	v_mul_f32_e32 v34, 0x3fb8aa3b, v1
	v_fma_f32 v35, v1, s88, -v34
	v_rndne_f32_e32 v39, v34
	v_fmac_f32_e32 v35, 0x32a5705f, v1
	v_sub_f32_e32 v34, v34, v39
	v_add_f32_e32 v34, v34, v35
	v_exp_f32_e32 v34, v34
	v_cvt_i32_f32_e32 v35, v39
	v_cmp_ngt_f32_e32 vcc, s91, v1
	v_ldexp_f32 v34, v34, v35
	s_nop 0
	v_cndmask_b32_e32 v34, 0, v34, vcc
	v_cmp_nlt_f32_e32 vcc, s97, v1
	v_mov_b32_e32 v1, s41
	s_nop 0
	v_cndmask_b32_e32 v34, v99, v34, vcc
	v_add_f32_e32 v39, v34, v38
	v_cndmask_b32_e64 v35, v1, v34, s[24:25]
	v_sub_f32_e32 v34, v36, v41
	v_mul_f32_e32 v36, 0x3fb8aa3b, v34
	v_cndmask_b32_e64 v1, v38, v39, s[24:25]
	v_fma_f32 v39, v34, s88, -v36
	v_rndne_f32_e32 v40, v36
	v_fmac_f32_e32 v39, 0x32a5705f, v34
	v_sub_f32_e32 v36, v36, v40
	v_add_f32_e32 v36, v36, v39
	v_exp_f32_e32 v36, v36
	v_cvt_i32_f32_e32 v39, v40
	v_cmp_ngt_f32_e32 vcc, s91, v34
	v_cvt_pk_f16_f32 v38, v38, v35
	v_ldexp_f32 v36, v36, v39
	v_cndmask_b32_e32 v36, 0, v36, vcc
	v_cmp_nlt_f32_e32 vcc, s97, v34
	v_mov_b32_e32 v34, s41
	s_nop 0
	v_cndmask_b32_e32 v36, v99, v36, vcc
	v_cndmask_b32_e64 v40, v34, v36, s[26:27]
	v_sub_f32_e32 v34, v37, v41
	v_add_f32_e32 v39, v1, v36
	v_mul_f32_e32 v36, 0x3fb8aa3b, v34
	v_cndmask_b32_e64 v1, v1, v39, s[26:27]
	v_fma_f32 v37, v34, s88, -v36
	v_rndne_f32_e32 v39, v36
	v_fmac_f32_e32 v37, 0x32a5705f, v34
	v_sub_f32_e32 v36, v36, v39
	v_add_f32_e32 v36, v36, v37
	v_exp_f32_e32 v36, v36
	v_cvt_i32_f32_e32 v37, v39
	v_cmp_ngt_f32_e32 vcc, s91, v34
	v_ldexp_f32 v36, v36, v37
	s_nop 0
	v_cndmask_b32_e32 v36, 0, v36, vcc
	v_cmp_nlt_f32_e32 vcc, s97, v34
	v_mov_b32_e32 v37, s41
	s_nop 0
	v_cndmask_b32_e32 v34, v99, v36, vcc
	v_add_f32_e32 v36, v1, v34
	v_cndmask_b32_e64 v39, v37, v34, s[28:29]
	v_sub_f32_e32 v34, v42, v41
	v_cndmask_b32_e64 v1, v1, v36, s[28:29]
	v_mul_f32_e32 v36, 0x3fb8aa3b, v34
	v_fma_f32 v37, v34, s88, -v36
	v_rndne_f32_e32 v42, v36
	v_fmac_f32_e32 v37, 0x32a5705f, v34
	v_sub_f32_e32 v36, v36, v42
	v_add_f32_e32 v36, v36, v37
	v_exp_f32_e32 v36, v36
	v_cvt_i32_f32_e32 v37, v42
	v_cmp_ngt_f32_e32 vcc, s91, v34
	v_cvt_pk_f16_f32 v39, v40, v39
	v_ldexp_f32 v36, v36, v37
	v_cndmask_b32_e32 v36, 0, v36, vcc
	v_cmp_nlt_f32_e32 vcc, s97, v34
	v_mov_b32_e32 v34, s41
	s_nop 0
	v_cndmask_b32_e32 v36, v99, v36, vcc
	v_add_f32_e32 v37, v36, v1
	v_cndmask_b32_e64 v34, v34, v36, s[30:31]
	v_cndmask_b32_e64 v36, v1, v37, s[30:31]
	v_sub_f32_e32 v1, v43, v41
	v_mul_f32_e32 v37, 0x3fb8aa3b, v1
	v_fma_f32 v42, v1, s88, -v37
	v_rndne_f32_e32 v43, v37
	v_fmac_f32_e32 v42, 0x32a5705f, v1
	v_sub_f32_e32 v37, v37, v43
	v_add_f32_e32 v37, v37, v42
	v_exp_f32_e32 v37, v37
	v_cvt_i32_f32_e32 v42, v43
	v_cmp_ngt_f32_e32 vcc, s91, v1
	v_ldexp_f32 v37, v37, v42
	s_nop 0
	v_cndmask_b32_e32 v37, 0, v37, vcc
	v_cmp_nlt_f32_e32 vcc, s97, v1
	v_mov_b32_e32 v1, s41
	s_nop 0
	v_cndmask_b32_e32 v37, v99, v37, vcc
	v_add_f32_e32 v42, v37, v36
	v_cndmask_b32_e64 v1, v1, v37, s[34:35]
	v_cndmask_b32_e64 v37, v36, v42, s[34:35]
	v_sub_f32_e32 v36, v44, v41
	v_mul_f32_e32 v42, 0x3fb8aa3b, v36
	v_fma_f32 v43, v36, s88, -v42
	v_rndne_f32_e32 v44, v42
	v_fmac_f32_e32 v43, 0x32a5705f, v36
	v_sub_f32_e32 v42, v42, v44
	v_add_f32_e32 v42, v42, v43
	v_exp_f32_e32 v42, v42
	v_cvt_i32_f32_e32 v43, v44
	v_cmp_ngt_f32_e32 vcc, s91, v36
	v_cvt_pk_f16_f32 v34, v34, v1
	v_ldexp_f32 v42, v42, v43
	v_cndmask_b32_e32 v42, 0, v42, vcc
	v_cmp_nlt_f32_e32 vcc, s97, v36
	v_mov_b32_e32 v36, s41
	s_nop 0
	v_cndmask_b32_e32 v42, v99, v42, vcc
	v_add_f32_e32 v43, v42, v37
	v_cndmask_b32_e64 v36, v36, v42, s[36:37]
	v_cndmask_b32_e64 v42, v37, v43, s[36:37]
	v_sub_f32_e32 v37, v45, v41
	v_mul_f32_e32 v43, 0x3fb8aa3b, v37
	v_fma_f32 v44, v37, s88, -v43
	v_rndne_f32_e32 v45, v43
	v_fmac_f32_e32 v44, 0x32a5705f, v37
	v_sub_f32_e32 v43, v43, v45
	v_add_f32_e32 v43, v43, v44
	v_exp_f32_e32 v43, v43
	v_cvt_i32_f32_e32 v44, v45
	v_cmp_ngt_f32_e32 vcc, s91, v37
	v_ldexp_f32 v43, v43, v44
	s_nop 0
	v_cndmask_b32_e32 v43, 0, v43, vcc
	v_cmp_nlt_f32_e32 vcc, s97, v37
	v_mov_b32_e32 v37, s41
	s_nop 0
	v_cndmask_b32_e32 v43, v99, v43, vcc
	v_add_f32_e32 v44, v43, v42
	v_cndmask_b32_e64 v126, v37, v43, s[38:39]
	v_cndmask_b32_e64 v37, v42, v44, s[38:39]
	v_sub_f32_e32 v42, v53, v41
	v_mul_f32_e32 v43, 0x3fb8aa3b, v42
	v_fma_f32 v44, v42, s88, -v43
	v_rndne_f32_e32 v45, v43
	v_fmac_f32_e32 v44, 0x32a5705f, v42
	v_sub_f32_e32 v43, v43, v45
	v_add_f32_e32 v43, v43, v44
	v_exp_f32_e32 v43, v43
	v_cvt_i32_f32_e32 v44, v45
	v_cmp_ngt_f32_e32 vcc, s91, v42
	v_ldexp_f32 v43, v43, v44
	s_nop 0
	v_cndmask_b32_e32 v43, 0, v43, vcc
	v_cmp_nlt_f32_e32 vcc, s97, v42
	s_nop 1
	v_cndmask_b32_e32 v43, v99, v43, vcc
	v_cmp_le_f32_e32 vcc, s5, v42
	s_nop 1
	v_cndmask_b32_e32 v42, 0, v43, vcc
	v_fmac_f32_e32 v37, v51, v42
	v_cvt_f16_f32_e32 v42, v42
	v_cmp_lt_i32_e32 vcc, s50, v104
	s_and_b64 vcc, exec, vcc
	v_mul_u32_u24_e32 v42, 0x10001, v42
	v_pk_mul_f16 v183, v125, v42
	v_pk_mul_f16 v180, v124, v42
	;; [unrolled: 1-line block ×32, first 2 shown]
	v_lshl_add_u64 v[42:43], v[132:133], 0, s[48:49]
	v_lshl_add_u64 v[46:47], v[78:79], 2, v[42:43]
	;; [unrolled: 1-line block ×3, first 2 shown]
	v_cndmask_b32_e64 v187, v48, v47, s[8:9]
	v_cndmask_b32_e64 v186, v101, v46, s[8:9]
	v_lshl_add_u64 v[46:47], v[80:81], 2, v[42:43]
	v_lshl_add_u64 v[46:47], v[46:47], 0, v[54:55]
	v_cndmask_b32_e64 v189, v48, v47, s[10:11]
	v_cndmask_b32_e64 v188, v101, v46, s[10:11]
	v_lshl_add_u64 v[46:47], v[82:83], 2, v[42:43]
	v_lshl_add_u64 v[46:47], v[46:47], 0, v[54:55]
	;; [unrolled: 4-line block ×4, first 2 shown]
	v_lshl_add_u64 v[46:47], v[46:47], 0, v[54:55]
	v_lshl_add_u64 v[44:45], v[44:45], 0, v[54:55]
	v_cndmask_b32_e64 v171, v48, v47, s[16:17]
	v_cndmask_b32_e64 v170, v101, v46, s[16:17]
	v_lshl_add_u64 v[46:47], v[88:89], 2, v[42:43]
	v_lshl_add_u64 v[42:43], v[90:91], 2, v[42:43]
	v_cndmask_b32_e64 v45, v48, v45, s[6:7]
	v_cndmask_b32_e64 v44, v101, v44, s[6:7]
	v_lshl_add_u64 v[46:47], v[46:47], 0, v[54:55]
	v_lshl_add_u64 v[42:43], v[42:43], 0, v[54:55]
	v_cndmask_b32_e64 v47, v48, v47, s[18:19]
	v_cndmask_b32_e64 v49, v48, v43, s[20:21]
	v_cndmask_b32_e64 v48, v101, v42, s[20:21]
	flat_load_dwordx4 v[42:45], v[44:45]
	v_cndmask_b32_e64 v46, v101, v46, s[18:19]
	v_cvt_f32_f16_sdwa v51, v180 dst_sel:DWORD dst_unused:UNUSED_PAD src0_sel:WORD_1
	v_cvt_f32_f16_e32 v57, v121
	v_cvt_f32_f16_sdwa v121, v121 dst_sel:DWORD dst_unused:UNUSED_PAD src0_sel:WORD_1
	v_cvt_f32_f16_e32 v182, v181
	v_accvgpr_write_b32 a3, v51
	v_cvt_f32_f16_sdwa v181, v181 dst_sel:DWORD dst_unused:UNUSED_PAD src0_sel:WORD_1
	v_cvt_f32_f16_e32 v193, v127
	v_cvt_f32_f16_sdwa v127, v127 dst_sel:DWORD dst_unused:UNUSED_PAD src0_sel:WORD_1
	v_cvt_f32_f16_e32 v196, v116
	;; [unrolled: 2-line block ×4, first 2 shown]
	v_cvt_f32_f16_sdwa v113, v113 dst_sel:DWORD dst_unused:UNUSED_PAD src0_sel:WORD_1
	s_waitcnt vmcnt(0) lgkmcnt(0)
	ds_write_b128 v202, v[42:45]
	flat_load_dwordx4 v[42:45], v[186:187]
	v_cvt_f32_f16_sdwa v186, v95 dst_sel:DWORD dst_unused:UNUSED_PAD src0_sel:WORD_1
	v_cvt_f32_f16_e32 v187, v94
	s_waitcnt vmcnt(0) lgkmcnt(0)
	ds_write_b128 v248, v[42:45]
	flat_load_dwordx4 v[42:45], v[188:189]
	v_cvt_f32_f16_sdwa v188, v94 dst_sel:DWORD dst_unused:UNUSED_PAD src0_sel:WORD_1
	v_cvt_f32_f16_e32 v189, v184
	v_cvt_f32_f16_sdwa v184, v184 dst_sel:DWORD dst_unused:UNUSED_PAD src0_sel:WORD_1
	s_waitcnt vmcnt(0) lgkmcnt(0)
	ds_write_b128 v246, v[42:45]
	flat_load_dwordx4 v[42:45], v[190:191]
	s_waitcnt vmcnt(0) lgkmcnt(0)
	ds_write_b128 v244, v[42:45]
	flat_load_dwordx4 v[42:45], v[194:195]
	v_cvt_f32_f16_e32 v194, v117
	v_cvt_f32_f16_sdwa v117, v117 dst_sel:DWORD dst_unused:UNUSED_PAD src0_sel:WORD_1
	s_waitcnt vmcnt(0) lgkmcnt(0)
	ds_write_b128 v212, v[42:45]
	flat_load_dwordx4 v[42:45], v[170:171]
	v_cvt_f32_f16_e32 v170, v97
	v_cvt_f32_f16_sdwa v97, v97 dst_sel:DWORD dst_unused:UNUSED_PAD src0_sel:WORD_1
	v_cvt_f32_f16_sdwa v171, v96 dst_sel:DWORD dst_unused:UNUSED_PAD src0_sel:WORD_1
	s_waitcnt vmcnt(0) lgkmcnt(0)
	ds_write_b128 v221, v[42:45]
	flat_load_dwordx4 v[42:45], v[46:47]
	s_waitcnt vmcnt(0) lgkmcnt(0)
	ds_write_b128 v240, v[42:45]
	flat_load_dwordx4 v[42:45], v[48:49]
	v_cvt_f32_f16_sdwa v48, v183 dst_sel:DWORD dst_unused:UNUSED_PAD src0_sel:WORD_1
	v_cvt_f32_f16_e32 v49, v180
	v_cvt_f32_f16_e32 v180, v0
	v_cvt_f32_f16_sdwa v0, v0 dst_sel:DWORD dst_unused:UNUSED_PAD src0_sel:WORD_1
	v_accvgpr_write_b32 a1, v48
	v_accvgpr_write_b32 a2, v49
	s_waitcnt vmcnt(0) lgkmcnt(0)
	ds_write_b128 v239, v[42:45]
	s_waitcnt lgkmcnt(0)
	s_barrier
	ds_read_u16 v42, v205 offset:528
	ds_read_u16 v44, v205 offset:1056
	ds_read_u16 v46, v206
	ds_read_u16 v43, v206 offset:32
	v_cvt_f32_f16_e32 v45, v183
	v_cvt_f32_f16_e32 v183, v100
	v_cvt_f32_f16_sdwa v100, v100 dst_sel:DWORD dst_unused:UNUSED_PAD src0_sel:WORD_1
	s_waitcnt lgkmcnt(1)
	v_perm_b32 v47, v46, v44, s42
	ds_read_u16 v46, v205
	ds_read_u16 v44, v205 offset:32
	v_accvgpr_write_b32 a0, v45
	s_waitcnt lgkmcnt(1)
	v_perm_b32 v46, v42, v46, s42
	s_nop 1
	v_mfma_f32_16x16x16_f16 a[0:3], v[46:47], v[38:39], a[0:3]
	ds_read_u16 v46, v205 offset:16896
	ds_read_u16 v48, v205 offset:17424
	;; [unrolled: 1-line block ×4, first 2 shown]
	s_nop 3
	v_accvgpr_read_b32 v35, a0
	v_accvgpr_read_b32 v40, a1
	;; [unrolled: 1-line block ×4, first 2 shown]
	v_cvt_f16_f32_e32 v35, v35
	v_cvt_f16_f32_e32 v40, v40
	v_cvt_f16_f32_e32 v42, v42
	v_cvt_f16_f32_e32 v45, v45
	v_cvt_f32_f16_e32 v51, v35
	v_cvt_f32_f16_e32 v40, v40
	;; [unrolled: 1-line block ×4, first 2 shown]
	s_waitcnt lgkmcnt(0)
	v_perm_b32 v47, v49, v47, s42
	v_perm_b32 v46, v48, v46, s42
	v_cvt_pk_f16_f32 v35, v36, v126
	v_accvgpr_write_b32 a0, v51
	v_accvgpr_write_b32 a1, v40
	;; [unrolled: 1-line block ×4, first 2 shown]
	v_cvt_f32_f16_sdwa v48, v125 dst_sel:DWORD dst_unused:UNUSED_PAD src0_sel:WORD_1
	v_cvt_f32_f16_e32 v49, v124
	v_mfma_f32_16x16x16_f16 a[0:3], v[46:47], v[34:35], a[0:3]
	ds_read_u16 v46, v205 offset:560
	ds_read_u16 v45, v205 offset:1088
	v_cvt_f32_f16_e32 v47, v125
	v_cvt_f32_f16_sdwa v51, v124 dst_sel:DWORD dst_unused:UNUSED_PAD src0_sel:WORD_1
	v_cvt_f32_f16_e32 v125, v119
	s_waitcnt lgkmcnt(1)
	v_perm_b32 v44, v46, v44, s42
	s_waitcnt lgkmcnt(0)
	v_perm_b32 v45, v43, v45, s42
	v_cvt_f32_f16_sdwa v119, v119 dst_sel:DWORD dst_unused:UNUSED_PAD src0_sel:WORD_1
	v_accvgpr_read_b32 v1, a0
	v_accvgpr_read_b32 v36, a1
	;; [unrolled: 1-line block ×4, first 2 shown]
	v_accvgpr_write_b32 a0, v47
	v_accvgpr_write_b32 a1, v48
	;; [unrolled: 1-line block ×4, first 2 shown]
	ds_read_u16 v47, v205 offset:16928
	ds_read_u16 v48, v205 offset:17456
	;; [unrolled: 1-line block ×4, first 2 shown]
	v_mfma_f32_16x16x16_f16 a[0:3], v[44:45], v[38:39], a[0:3]
	v_cvt_f32_f16_e32 v126, v123
	v_cvt_f32_f16_sdwa v123, v123 dst_sel:DWORD dst_unused:UNUSED_PAD src0_sel:WORD_1
	s_nop 5
	v_accvgpr_read_b32 v43, a0
	v_accvgpr_read_b32 v44, a1
	;; [unrolled: 1-line block ×4, first 2 shown]
	v_cvt_f16_f32_e32 v43, v43
	v_cvt_f16_f32_e32 v44, v44
	;; [unrolled: 1-line block ×4, first 2 shown]
	v_cvt_f32_f16_e32 v43, v43
	v_cvt_f32_f16_e32 v53, v44
	;; [unrolled: 1-line block ×4, first 2 shown]
	s_waitcnt lgkmcnt(0)
	v_perm_b32 v45, v51, v49, s42
	v_perm_b32 v44, v48, v47, s42
	ds_read_u16 v47, v205 offset:64
	ds_read_u16 v48, v205 offset:592
	ds_read_u16 v49, v205 offset:1120
	ds_read_u16 v51, v206 offset:64
	v_accvgpr_write_b32 a0, v43
	v_accvgpr_write_b32 a1, v53
	;; [unrolled: 1-line block ×4, first 2 shown]
	v_cvt_f32_f16_e32 v53, v122
	v_cvt_f32_f16_sdwa v54, v122 dst_sel:DWORD dst_unused:UNUSED_PAD src0_sel:WORD_1
	v_mfma_f32_16x16x16_f16 a[0:3], v[44:45], v[34:35], a[0:3]
	s_waitcnt lgkmcnt(0)
	v_perm_b32 v49, v51, v49, s42
	v_perm_b32 v48, v48, v47, s42
	s_nop 4
	v_accvgpr_read_b32 v43, a0
	v_accvgpr_read_b32 v44, a1
	;; [unrolled: 1-line block ×4, first 2 shown]
	v_accvgpr_write_b32 a0, v53
	v_accvgpr_write_b32 a1, v54
	;; [unrolled: 1-line block ×4, first 2 shown]
	ds_read_u16 v53, v205 offset:16960
	ds_read_u16 v54, v205 offset:17488
	;; [unrolled: 1-line block ×4, first 2 shown]
	v_mfma_f32_16x16x16_f16 a[0:3], v[48:49], v[38:39], a[0:3]
	s_nop 7
	v_accvgpr_read_b32 v51, a3
	v_cvt_f16_f32_e32 v51, v51
	v_accvgpr_read_b32 v47, a0
	v_accvgpr_read_b32 v48, a1
	;; [unrolled: 1-line block ×3, first 2 shown]
	v_cvt_f16_f32_e32 v47, v47
	v_cvt_f16_f32_e32 v48, v48
	v_cvt_f16_f32_e32 v49, v49
	v_cvt_f32_f16_e32 v51, v51
	v_cvt_f32_f16_e32 v47, v47
	;; [unrolled: 1-line block ×4, first 2 shown]
	s_waitcnt lgkmcnt(0)
	v_perm_b32 v49, v121, v57, s42
	v_perm_b32 v48, v54, v53, s42
	v_accvgpr_write_b32 a3, v51
	ds_read_u16 v51, v205 offset:96
	ds_read_u16 v53, v205 offset:624
	;; [unrolled: 1-line block ×4, first 2 shown]
	v_accvgpr_write_b32 a0, v47
	v_accvgpr_write_b32 a1, v122
	;; [unrolled: 1-line block ×3, first 2 shown]
	v_cvt_f32_f16_e32 v122, v120
	v_cvt_f32_f16_sdwa v124, v120 dst_sel:DWORD dst_unused:UNUSED_PAD src0_sel:WORD_1
	v_mfma_f32_16x16x16_f16 a[0:3], v[48:49], v[34:35], a[0:3]
	s_waitcnt lgkmcnt(0)
	v_perm_b32 v121, v121, v57, s42
	v_perm_b32 v120, v53, v51, s42
	s_nop 4
	v_accvgpr_read_b32 v47, a0
	v_accvgpr_read_b32 v48, a1
	;; [unrolled: 1-line block ×4, first 2 shown]
	v_accvgpr_write_b32 a0, v122
	v_accvgpr_write_b32 a1, v124
	;; [unrolled: 1-line block ×4, first 2 shown]
	s_nop 1
	v_mfma_f32_16x16x16_f16 a[0:3], v[120:121], v[38:39], a[0:3]
	ds_read_u16 v120, v205 offset:16992
	ds_read_u16 v122, v205 offset:17520
	;; [unrolled: 1-line block ×4, first 2 shown]
	s_waitcnt lgkmcnt(2)
	v_perm_b32 v120, v122, v120, s42
	s_waitcnt lgkmcnt(0)
	v_perm_b32 v121, v124, v121, s42
	v_accvgpr_read_b32 v51, a0
	v_accvgpr_read_b32 v53, a1
	;; [unrolled: 1-line block ×3, first 2 shown]
	v_cvt_f16_f32_e32 v51, v51
	v_cvt_f16_f32_e32 v53, v53
	;; [unrolled: 1-line block ×3, first 2 shown]
	v_accvgpr_read_b32 v119, a3
	v_cvt_f16_f32_e32 v119, v119
	v_cvt_f32_f16_e32 v51, v51
	v_cvt_f32_f16_e32 v53, v53
	;; [unrolled: 1-line block ×4, first 2 shown]
	v_accvgpr_write_b32 a0, v51
	v_accvgpr_write_b32 a1, v53
	;; [unrolled: 1-line block ×3, first 2 shown]
	ds_read_u16 v51, v205 offset:128
	ds_read_u16 v53, v205 offset:656
	;; [unrolled: 1-line block ×4, first 2 shown]
	v_accvgpr_write_b32 a3, v119
	s_waitcnt lgkmcnt(0)
	v_perm_b32 v125, v124, v57, s42
	v_mfma_f32_16x16x16_f16 a[0:3], v[120:121], v[34:35], a[0:3]
	v_perm_b32 v124, v53, v51, s42
	s_nop 6
	v_accvgpr_read_b32 v119, a0
	v_accvgpr_read_b32 v120, a1
	;; [unrolled: 1-line block ×4, first 2 shown]
	v_accvgpr_write_b32 a0, v126
	v_accvgpr_write_b32 a1, v123
	;; [unrolled: 1-line block ×4, first 2 shown]
	v_cvt_f32_f16_e32 v170, v96
	v_cvt_pk_f16_f32 v119, v119, v120
	v_mfma_f32_16x16x16_f16 a[0:3], v[124:125], v[38:39], a[0:3]
	ds_read_u16 v123, v205 offset:17024
	ds_read_u16 v124, v205 offset:17552
	;; [unrolled: 1-line block ×4, first 2 shown]
	v_cvt_pk_f16_f32 v120, v49, v54
	s_waitcnt lgkmcnt(2)
	v_perm_b32 v124, v124, v123, s42
	s_waitcnt lgkmcnt(0)
	v_perm_b32 v125, v126, v125, s42
	v_accvgpr_read_b32 v51, a0
	v_accvgpr_read_b32 v53, a1
	;; [unrolled: 1-line block ×4, first 2 shown]
	v_cvt_f16_f32_e32 v51, v51
	v_cvt_f16_f32_e32 v53, v53
	;; [unrolled: 1-line block ×4, first 2 shown]
	v_cvt_f32_f16_e32 v51, v51
	v_cvt_f32_f16_e32 v53, v53
	;; [unrolled: 1-line block ×4, first 2 shown]
	v_accvgpr_write_b32 a0, v51
	v_accvgpr_write_b32 a1, v53
	;; [unrolled: 1-line block ×4, first 2 shown]
	ds_read_u16 v51, v205 offset:160
	ds_read_u16 v53, v205 offset:688
	;; [unrolled: 1-line block ×4, first 2 shown]
	v_mfma_f32_16x16x16_f16 a[0:3], v[124:125], v[34:35], a[0:3]
	s_waitcnt lgkmcnt(2)
	v_perm_b32 v96, v53, v51, s42
	s_waitcnt lgkmcnt(0)
	v_perm_b32 v97, v97, v57, s42
	s_nop 3
	v_accvgpr_read_b32 v123, a0
	v_accvgpr_read_b32 v124, a1
	v_accvgpr_read_b32 v125, a2
	v_accvgpr_read_b32 v126, a3
	v_accvgpr_write_b32 a0, v170
	v_accvgpr_write_b32 a1, v171
	;; [unrolled: 1-line block ×4, first 2 shown]
	s_nop 1
	v_mfma_f32_16x16x16_f16 a[0:3], v[96:97], v[38:39], a[0:3]
	ds_read_u16 v96, v205 offset:17056
	ds_read_u16 v170, v205 offset:17584
	ds_read_u16 v97, v205 offset:18112
	ds_read_u16 v171, v206 offset:17056
	s_waitcnt lgkmcnt(2)
	v_perm_b32 v96, v170, v96, s42
	s_waitcnt lgkmcnt(0)
	v_perm_b32 v97, v171, v97, s42
	v_accvgpr_read_b32 v0, a0
	v_accvgpr_read_b32 v51, a1
	;; [unrolled: 1-line block ×4, first 2 shown]
	v_cvt_f16_f32_e32 v0, v0
	v_cvt_f16_f32_e32 v51, v51
	;; [unrolled: 1-line block ×4, first 2 shown]
	v_cvt_f32_f16_e32 v0, v0
	v_cvt_f32_f16_e32 v51, v51
	v_cvt_f32_f16_e32 v53, v53
	v_cvt_f32_f16_e32 v57, v57
	v_accvgpr_write_b32 a0, v0
	v_accvgpr_write_b32 a1, v51
	;; [unrolled: 1-line block ×4, first 2 shown]
	s_nop 1
	v_mfma_f32_16x16x16_f16 a[0:3], v[96:97], v[34:35], a[0:3]
	ds_read_u16 v51, v205 offset:192
	ds_read_u16 v53, v205 offset:720
	;; [unrolled: 1-line block ×4, first 2 shown]
	s_waitcnt lgkmcnt(0)
	v_perm_b32 v97, v96, v57, s42
	v_perm_b32 v96, v53, v51, s42
	s_nop 0
	v_accvgpr_read_b32 v0, a0
	v_accvgpr_read_b32 v170, a1
	;; [unrolled: 1-line block ×4, first 2 shown]
	v_accvgpr_write_b32 a0, v182
	v_accvgpr_write_b32 a1, v181
	v_accvgpr_write_b32 a2, v183
	v_accvgpr_write_b32 a3, v100
	s_nop 1
	v_mfma_f32_16x16x16_f16 a[0:3], v[96:97], v[38:39], a[0:3]
	ds_read_u16 v100, v205 offset:17088
	ds_read_u16 v181, v205 offset:17616
	;; [unrolled: 1-line block ×4, first 2 shown]
	s_waitcnt lgkmcnt(0)
	v_perm_b32 v97, v182, v97, s42
	s_nop 1
	v_accvgpr_read_b32 v51, a0
	v_accvgpr_read_b32 v53, a1
	;; [unrolled: 1-line block ×4, first 2 shown]
	v_cvt_f16_f32_e32 v51, v51
	v_cvt_f16_f32_e32 v53, v53
	;; [unrolled: 1-line block ×4, first 2 shown]
	v_cvt_f32_f16_e32 v51, v51
	v_cvt_f32_f16_e32 v53, v53
	;; [unrolled: 1-line block ×4, first 2 shown]
	v_perm_b32 v96, v181, v100, s42
	v_accvgpr_write_b32 a0, v51
	v_accvgpr_write_b32 a1, v53
	v_accvgpr_write_b32 a2, v57
	v_accvgpr_write_b32 a3, v183
	s_nop 1
	v_mfma_f32_16x16x16_f16 a[0:3], v[96:97], v[34:35], a[0:3]
	ds_read_u16 v51, v205 offset:224
	ds_read_u16 v53, v205 offset:752
	;; [unrolled: 1-line block ×4, first 2 shown]
	v_cvt_f32_f16_e32 v97, v95
	s_waitcnt lgkmcnt(2)
	v_perm_b32 v94, v53, v51, s42
	s_waitcnt lgkmcnt(0)
	v_perm_b32 v95, v96, v57, s42
	v_accvgpr_read_b32 v100, a0
	v_accvgpr_read_b32 v181, a1
	;; [unrolled: 1-line block ×4, first 2 shown]
	v_accvgpr_write_b32 a0, v97
	v_accvgpr_write_b32 a1, v186
	;; [unrolled: 1-line block ×4, first 2 shown]
	v_cvt_f32_f16_e32 v188, v185
	v_cvt_f32_f16_sdwa v185, v185 dst_sel:DWORD dst_unused:UNUSED_PAD src0_sel:WORD_1
	v_mfma_f32_16x16x16_f16 a[0:3], v[94:95], v[38:39], a[0:3]
	ds_read_u16 v96, v205 offset:17120
	ds_read_u16 v97, v205 offset:17648
	;; [unrolled: 1-line block ×4, first 2 shown]
	v_cvt_pk_f16_f32 v100, v100, v181
	v_cvt_pk_f16_f32 v182, v182, v183
	s_waitcnt lgkmcnt(0)
	v_perm_b32 v95, v186, v95, s42
	v_accvgpr_read_b32 v51, a0
	v_accvgpr_read_b32 v53, a1
	;; [unrolled: 1-line block ×3, first 2 shown]
	v_cvt_f16_f32_e32 v51, v51
	v_cvt_f16_f32_e32 v53, v53
	;; [unrolled: 1-line block ×3, first 2 shown]
	v_accvgpr_read_b32 v94, a3
	v_cvt_f16_f32_e32 v94, v94
	v_cvt_f32_f16_e32 v51, v51
	v_cvt_f32_f16_e32 v53, v53
	;; [unrolled: 1-line block ×4, first 2 shown]
	v_perm_b32 v94, v97, v96, s42
	v_accvgpr_write_b32 a0, v51
	v_accvgpr_write_b32 a1, v53
	;; [unrolled: 1-line block ×3, first 2 shown]
	ds_read_u16 v51, v205 offset:256
	ds_read_u16 v53, v205 offset:784
	;; [unrolled: 1-line block ×4, first 2 shown]
	v_accvgpr_write_b32 a3, v187
	s_waitcnt lgkmcnt(0)
	v_perm_b32 v97, v96, v57, s42
	v_mfma_f32_16x16x16_f16 a[0:3], v[94:95], v[34:35], a[0:3]
	v_perm_b32 v96, v53, v51, s42
	s_nop 6
	v_accvgpr_read_b32 v94, a0
	v_accvgpr_read_b32 v95, a1
	v_accvgpr_read_b32 v186, a2
	v_accvgpr_read_b32 v187, a3
	v_accvgpr_write_b32 a0, v188
	v_accvgpr_write_b32 a1, v185
	;; [unrolled: 1-line block ×4, first 2 shown]
	s_nop 1
	v_mfma_f32_16x16x16_f16 a[0:3], v[96:97], v[38:39], a[0:3]
	ds_read_u16 v184, v205 offset:17152
	ds_read_u16 v185, v205 offset:17680
	;; [unrolled: 1-line block ×4, first 2 shown]
	s_waitcnt lgkmcnt(0)
	v_perm_b32 v97, v188, v97, s42
	s_nop 1
	v_accvgpr_read_b32 v51, a0
	v_accvgpr_read_b32 v53, a1
	;; [unrolled: 1-line block ×4, first 2 shown]
	v_cvt_f16_f32_e32 v51, v51
	v_cvt_f16_f32_e32 v53, v53
	;; [unrolled: 1-line block ×4, first 2 shown]
	v_cvt_f32_f16_e32 v51, v51
	v_cvt_f32_f16_e32 v53, v53
	;; [unrolled: 1-line block ×4, first 2 shown]
	v_perm_b32 v96, v185, v184, s42
	v_accvgpr_write_b32 a0, v51
	v_accvgpr_write_b32 a1, v53
	;; [unrolled: 1-line block ×4, first 2 shown]
	v_cvt_f32_f16_e32 v189, v135
	v_cvt_f32_f16_sdwa v135, v135 dst_sel:DWORD dst_unused:UNUSED_PAD src0_sel:WORD_1
	v_mfma_f32_16x16x16_f16 a[0:3], v[96:97], v[34:35], a[0:3]
	ds_read_u16 v51, v205 offset:288
	ds_read_u16 v53, v205 offset:816
	;; [unrolled: 1-line block ×4, first 2 shown]
	s_waitcnt lgkmcnt(2)
	v_perm_b32 v190, v53, v51, s42
	s_waitcnt lgkmcnt(0)
	v_perm_b32 v191, v97, v57, s42
	v_accvgpr_read_b32 v96, a0
	v_accvgpr_read_b32 v184, a1
	;; [unrolled: 1-line block ×4, first 2 shown]
	v_accvgpr_write_b32 a0, v189
	v_accvgpr_write_b32 a1, v135
	;; [unrolled: 1-line block ×4, first 2 shown]
	v_cvt_f32_f16_e32 v193, v118
	v_cvt_f32_f16_sdwa v118, v118 dst_sel:DWORD dst_unused:UNUSED_PAD src0_sel:WORD_1
	v_mfma_f32_16x16x16_f16 a[0:3], v[190:191], v[38:39], a[0:3]
	ds_read_u16 v127, v205 offset:17184
	ds_read_u16 v135, v205 offset:17712
	;; [unrolled: 1-line block ×4, first 2 shown]
	s_waitcnt lgkmcnt(0)
	v_perm_b32 v191, v190, v189, s42
	s_nop 1
	v_accvgpr_read_b32 v51, a0
	v_accvgpr_read_b32 v53, a1
	;; [unrolled: 1-line block ×4, first 2 shown]
	v_cvt_f16_f32_e32 v51, v51
	v_cvt_f16_f32_e32 v53, v53
	;; [unrolled: 1-line block ×4, first 2 shown]
	v_cvt_f32_f16_e32 v51, v51
	v_cvt_f32_f16_e32 v53, v53
	;; [unrolled: 1-line block ×4, first 2 shown]
	v_perm_b32 v190, v135, v127, s42
	v_accvgpr_write_b32 a0, v51
	v_accvgpr_write_b32 a1, v53
	;; [unrolled: 1-line block ×4, first 2 shown]
	s_nop 1
	v_mfma_f32_16x16x16_f16 a[0:3], v[190:191], v[34:35], a[0:3]
	ds_read_u16 v51, v205 offset:320
	ds_read_u16 v53, v205 offset:848
	;; [unrolled: 1-line block ×4, first 2 shown]
	s_waitcnt lgkmcnt(0)
	v_perm_b32 v191, v190, v57, s42
	v_perm_b32 v190, v53, v51, s42
	s_nop 0
	v_accvgpr_read_b32 v97, a0
	v_accvgpr_read_b32 v127, a1
	;; [unrolled: 1-line block ×4, first 2 shown]
	v_accvgpr_write_b32 a0, v193
	v_accvgpr_write_b32 a1, v118
	;; [unrolled: 1-line block ×4, first 2 shown]
	v_cvt_pk_f16_f32 v127, v97, v127
	v_cvt_pk_f16_f32 v97, v121, v122
	v_mfma_f32_16x16x16_f16 a[0:3], v[190:191], v[38:39], a[0:3]
	ds_read_u16 v118, v205 offset:17216
	ds_read_u16 v190, v205 offset:17744
	;; [unrolled: 1-line block ×4, first 2 shown]
	v_cvt_pk_f16_f32 v121, v47, v48
	v_cvt_pk_f16_f32 v122, v45, v46
	s_waitcnt lgkmcnt(2)
	v_perm_b32 v190, v190, v118, s42
	s_waitcnt lgkmcnt(0)
	v_perm_b32 v191, v193, v191, s42
	v_accvgpr_read_b32 v51, a0
	v_accvgpr_read_b32 v53, a1
	;; [unrolled: 1-line block ×4, first 2 shown]
	v_cvt_f16_f32_e32 v51, v51
	v_cvt_f16_f32_e32 v53, v53
	;; [unrolled: 1-line block ×4, first 2 shown]
	v_cvt_f32_f16_e32 v51, v51
	v_cvt_f32_f16_e32 v53, v53
	;; [unrolled: 1-line block ×4, first 2 shown]
	v_accvgpr_write_b32 a0, v51
	v_accvgpr_write_b32 a1, v53
	;; [unrolled: 1-line block ×4, first 2 shown]
	s_nop 1
	v_mfma_f32_16x16x16_f16 a[0:3], v[190:191], v[34:35], a[0:3]
	ds_read_u16 v51, v205 offset:352
	ds_read_u16 v53, v205 offset:880
	;; [unrolled: 1-line block ×4, first 2 shown]
	s_waitcnt lgkmcnt(2)
	v_perm_b32 v194, v53, v51, s42
	s_waitcnt lgkmcnt(0)
	v_perm_b32 v195, v190, v57, s42
	v_accvgpr_read_b32 v117, a0
	v_accvgpr_read_b32 v118, a1
	;; [unrolled: 1-line block ×4, first 2 shown]
	v_accvgpr_write_b32 a0, v196
	v_accvgpr_write_b32 a1, v116
	;; [unrolled: 1-line block ×4, first 2 shown]
	v_cvt_pk_f16_f32 v117, v117, v118
	v_cvt_pk_f16_f32 v118, v135, v189
	v_mfma_f32_16x16x16_f16 a[0:3], v[194:195], v[38:39], a[0:3]
	ds_read_u16 v116, v205 offset:17248
	ds_read_u16 v190, v205 offset:17776
	;; [unrolled: 1-line block ×4, first 2 shown]
	v_cvt_pk_f16_f32 v189, v96, v184
	v_cvt_pk_f16_f32 v184, v185, v188
	;; [unrolled: 1-line block ×4, first 2 shown]
	v_accvgpr_read_b32 v51, a0
	v_accvgpr_read_b32 v53, a1
	;; [unrolled: 1-line block ×3, first 2 shown]
	v_cvt_f16_f32_e32 v51, v51
	v_cvt_f16_f32_e32 v53, v53
	;; [unrolled: 1-line block ×3, first 2 shown]
	v_accvgpr_read_b32 v115, a3
	v_cvt_f16_f32_e32 v115, v115
	v_cvt_f32_f16_e32 v51, v51
	v_cvt_f32_f16_e32 v53, v53
	;; [unrolled: 1-line block ×4, first 2 shown]
	s_waitcnt lgkmcnt(0)
	v_perm_b32 v195, v195, v194, s42
	v_perm_b32 v194, v190, v116, s42
	v_accvgpr_write_b32 a0, v51
	v_accvgpr_write_b32 a1, v53
	;; [unrolled: 1-line block ×3, first 2 shown]
	ds_read_u16 v51, v205 offset:384
	ds_read_u16 v53, v205 offset:912
	;; [unrolled: 1-line block ×4, first 2 shown]
	v_accvgpr_write_b32 a3, v115
	v_cvt_pk_f16_f32 v94, v0, v170
	s_waitcnt lgkmcnt(2)
	v_perm_b32 v196, v53, v51, s42
	v_mfma_f32_16x16x16_f16 a[0:3], v[194:195], v[34:35], a[0:3]
	v_cvt_f32_f16_e32 v195, v114
	v_cvt_f32_f16_sdwa v114, v114 dst_sel:DWORD dst_unused:UNUSED_PAD src0_sel:WORD_1
	s_waitcnt lgkmcnt(0)
	v_perm_b32 v197, v190, v57, s42
	v_cvt_pk_f16_f32 v0, v171, v180
	v_cvt_pk_f16_f32 v95, v123, v124
	;; [unrolled: 1-line block ×5, first 2 shown]
	v_accvgpr_read_b32 v115, a0
	v_accvgpr_read_b32 v116, a1
	;; [unrolled: 1-line block ×4, first 2 shown]
	v_accvgpr_write_b32 a0, v195
	v_accvgpr_write_b32 a1, v114
	;; [unrolled: 1-line block ×4, first 2 shown]
	v_cvt_f32_f16_e32 v198, v111
	v_cvt_f32_f16_sdwa v111, v111 dst_sel:DWORD dst_unused:UNUSED_PAD src0_sel:WORD_1
	v_mfma_f32_16x16x16_f16 a[0:3], v[196:197], v[38:39], a[0:3]
	ds_read_u16 v114, v205 offset:17280
	ds_read_u16 v190, v205 offset:17808
	ds_read_u16 v195, v205 offset:18336
	ds_read_u16 v196, v206 offset:17280
	v_cvt_pk_f16_f32 v115, v115, v116
	v_cvt_pk_f16_f32 v116, v191, v193
	;; [unrolled: 1-line block ×3, first 2 shown]
	s_waitcnt lgkmcnt(0)
	v_perm_b32 v197, v196, v195, s42
	v_accvgpr_read_b32 v51, a0
	v_accvgpr_read_b32 v53, a1
	;; [unrolled: 1-line block ×3, first 2 shown]
	v_cvt_f16_f32_e32 v51, v51
	v_cvt_f16_f32_e32 v53, v53
	;; [unrolled: 1-line block ×3, first 2 shown]
	v_accvgpr_read_b32 v113, a3
	v_cvt_f16_f32_e32 v113, v113
	v_cvt_f32_f16_e32 v51, v51
	v_cvt_f32_f16_e32 v53, v53
	;; [unrolled: 1-line block ×4, first 2 shown]
	v_perm_b32 v196, v190, v114, s42
	v_accvgpr_write_b32 a0, v51
	v_accvgpr_write_b32 a1, v53
	;; [unrolled: 1-line block ×3, first 2 shown]
	ds_read_u16 v51, v205 offset:416
	ds_read_u16 v53, v205 offset:944
	;; [unrolled: 1-line block ×4, first 2 shown]
	v_accvgpr_write_b32 a3, v113
	v_cvt_f32_f16_e32 v195, v112
	v_cvt_f32_f16_sdwa v112, v112 dst_sel:DWORD dst_unused:UNUSED_PAD src0_sel:WORD_1
	v_mfma_f32_16x16x16_f16 a[0:3], v[196:197], v[34:35], a[0:3]
	s_waitcnt lgkmcnt(0)
	v_perm_b32 v197, v190, v57, s42
	v_perm_b32 v196, v53, v51, s42
	s_nop 4
	v_accvgpr_read_b32 v113, a0
	v_accvgpr_read_b32 v114, a1
	;; [unrolled: 1-line block ×4, first 2 shown]
	v_accvgpr_write_b32 a0, v195
	v_accvgpr_write_b32 a1, v112
	;; [unrolled: 1-line block ×4, first 2 shown]
	v_cvt_f32_f16_e32 v198, v109
	v_cvt_f32_f16_sdwa v109, v109 dst_sel:DWORD dst_unused:UNUSED_PAD src0_sel:WORD_1
	v_mfma_f32_16x16x16_f16 a[0:3], v[196:197], v[38:39], a[0:3]
	ds_read_u16 v112, v205 offset:17312
	ds_read_u16 v190, v205 offset:17840
	;; [unrolled: 1-line block ×4, first 2 shown]
	v_cvt_pk_f16_f32 v113, v113, v114
	v_cvt_pk_f16_f32 v114, v194, v199
	s_waitcnt lgkmcnt(0)
	v_perm_b32 v197, v196, v195, s42
	v_accvgpr_read_b32 v51, a0
	v_accvgpr_read_b32 v53, a1
	;; [unrolled: 1-line block ×3, first 2 shown]
	v_cvt_f16_f32_e32 v51, v51
	v_cvt_f16_f32_e32 v53, v53
	;; [unrolled: 1-line block ×3, first 2 shown]
	v_accvgpr_read_b32 v111, a3
	v_cvt_f16_f32_e32 v111, v111
	v_cvt_f32_f16_e32 v51, v51
	v_cvt_f32_f16_e32 v53, v53
	;; [unrolled: 1-line block ×4, first 2 shown]
	v_perm_b32 v196, v190, v112, s42
	v_accvgpr_write_b32 a0, v51
	v_accvgpr_write_b32 a1, v53
	;; [unrolled: 1-line block ×3, first 2 shown]
	ds_read_u16 v51, v205 offset:448
	ds_read_u16 v53, v205 offset:976
	;; [unrolled: 1-line block ×4, first 2 shown]
	v_accvgpr_write_b32 a3, v111
	v_cvt_f32_f16_e32 v195, v110
	v_cvt_f32_f16_sdwa v110, v110 dst_sel:DWORD dst_unused:UNUSED_PAD src0_sel:WORD_1
	v_mfma_f32_16x16x16_f16 a[0:3], v[196:197], v[34:35], a[0:3]
	s_waitcnt lgkmcnt(0)
	v_perm_b32 v197, v190, v57, s42
	v_perm_b32 v196, v53, v51, s42
	s_nop 4
	v_accvgpr_read_b32 v111, a0
	v_accvgpr_read_b32 v112, a1
	;; [unrolled: 1-line block ×4, first 2 shown]
	v_accvgpr_write_b32 a0, v195
	v_accvgpr_write_b32 a1, v110
	;; [unrolled: 1-line block ×4, first 2 shown]
	v_cvt_f32_f16_e32 v198, v107
	v_cvt_f32_f16_sdwa v107, v107 dst_sel:DWORD dst_unused:UNUSED_PAD src0_sel:WORD_1
	v_mfma_f32_16x16x16_f16 a[0:3], v[196:197], v[38:39], a[0:3]
	ds_read_u16 v110, v205 offset:17344
	ds_read_u16 v190, v205 offset:17872
	;; [unrolled: 1-line block ×4, first 2 shown]
	v_cvt_pk_f16_f32 v111, v111, v112
	v_cvt_pk_f16_f32 v112, v209, v210
	s_waitcnt lgkmcnt(0)
	v_perm_b32 v197, v196, v195, s42
	v_accvgpr_read_b32 v51, a0
	v_accvgpr_read_b32 v53, a1
	;; [unrolled: 1-line block ×3, first 2 shown]
	v_cvt_f16_f32_e32 v51, v51
	v_cvt_f16_f32_e32 v53, v53
	;; [unrolled: 1-line block ×3, first 2 shown]
	v_accvgpr_read_b32 v109, a3
	v_cvt_f16_f32_e32 v109, v109
	v_cvt_f32_f16_e32 v51, v51
	v_cvt_f32_f16_e32 v53, v53
	;; [unrolled: 1-line block ×4, first 2 shown]
	v_perm_b32 v196, v190, v110, s42
	v_accvgpr_write_b32 a0, v51
	v_accvgpr_write_b32 a1, v53
	;; [unrolled: 1-line block ×3, first 2 shown]
	ds_read_u16 v51, v205 offset:480
	ds_read_u16 v53, v205 offset:1008
	;; [unrolled: 1-line block ×4, first 2 shown]
	v_accvgpr_write_b32 a3, v109
	v_cvt_f32_f16_e32 v195, v108
	v_cvt_f32_f16_sdwa v108, v108 dst_sel:DWORD dst_unused:UNUSED_PAD src0_sel:WORD_1
	v_mfma_f32_16x16x16_f16 a[0:3], v[196:197], v[34:35], a[0:3]
	s_waitcnt lgkmcnt(0)
	v_perm_b32 v197, v190, v57, s42
	v_perm_b32 v196, v53, v51, s42
	s_nop 4
	v_accvgpr_read_b32 v109, a0
	v_accvgpr_read_b32 v110, a1
	;; [unrolled: 1-line block ×4, first 2 shown]
	v_accvgpr_write_b32 a0, v195
	v_accvgpr_write_b32 a1, v108
	;; [unrolled: 1-line block ×4, first 2 shown]
	v_cvt_pk_f16_f32 v109, v109, v110
	v_cvt_pk_f16_f32 v110, v211, v216
	v_mfma_f32_16x16x16_f16 a[0:3], v[196:197], v[38:39], a[0:3]
	s_nop 7
	v_accvgpr_read_b32 v53, a3
	v_accvgpr_read_b32 v38, a0
	;; [unrolled: 1-line block ×4, first 2 shown]
	v_cvt_f16_f32_e32 v107, v53
	ds_read_u16 v53, v205 offset:17376
	ds_read_u16 v108, v205 offset:17904
	;; [unrolled: 1-line block ×4, first 2 shown]
	v_cvt_f16_f32_e32 v38, v38
	v_cvt_f16_f32_e32 v39, v39
	;; [unrolled: 1-line block ×3, first 2 shown]
	v_cvt_f32_f16_e32 v107, v107
	v_cvt_f32_f16_e32 v195, v38
	;; [unrolled: 1-line block ×4, first 2 shown]
	s_waitcnt lgkmcnt(0)
	v_perm_b32 v39, v190, v57, s42
	v_perm_b32 v38, v108, v53, s42
	v_accvgpr_write_b32 a0, v195
	v_accvgpr_write_b32 a1, v196
	;; [unrolled: 1-line block ×4, first 2 shown]
	v_cvt_pk_f16_f32 v108, v208, v224
	s_nop 0
	v_mfma_f32_16x16x16_f16 a[0:3], v[38:39], v[34:35], a[0:3]
	s_barrier
	s_nop 6
	v_accvgpr_read_b32 v34, a0
	v_accvgpr_read_b32 v35, a1
	v_accvgpr_read_b32 v38, a2
	v_accvgpr_read_b32 v39, a3
	v_cvt_pk_f16_f32 v107, v34, v35
	v_cvt_pk_f16_f32 v190, v38, v39
	s_cbranch_vccz .LBB30_101
; %bb.97:                               ;   in Loop: Header=BB30_61 Depth=2
	v_mov_b32_e32 v51, v37
	v_mov_b32_e32 v53, v41
	s_andn2_b64 vcc, exec, s[44:45]
	s_ashr_i32 s47, s46, 31
	s_cbranch_vccz .LBB30_56
	s_branch .LBB30_61
.LBB30_98:                              ;   in Loop: Header=BB30_61 Depth=2
                                        ; implicit-def: $vgpr34_vgpr35_vgpr36_vgpr37
                                        ; implicit-def: $vgpr42_vgpr43_vgpr44_vgpr45
	s_branch .LBB30_95
.LBB30_99:                              ;   in Loop: Header=BB30_14 Depth=1
	s_cbranch_execz .LBB30_13
	s_branch .LBB30_238
.LBB30_100:                             ;   in Loop: Header=BB30_14 Depth=1
	v_mov_b32_e32 v41, 0xfeffffff
	v_mov_b32_e32 v37, 0
	;; [unrolled: 1-line block ×34, first 2 shown]
	s_branch .LBB30_102
.LBB30_101:                             ;   in Loop: Header=BB30_14 Depth=1
	v_accvgpr_read_b32 v159, a46
	v_accvgpr_read_b32 v160, a47
	v_accvgpr_read_b32 v161, a84
	v_accvgpr_read_b32 v162, a85
	v_accvgpr_read_b32 v163, a86
	v_accvgpr_read_b32 v164, a87
	v_accvgpr_read_b32 v165, a88
	v_accvgpr_read_b32 v166, a89
	v_accvgpr_read_b32 v167, a90
	v_accvgpr_read_b32 v168, a99
	v_accvgpr_read_b32 v169, a100
.LBB30_102:                             ;   in Loop: Header=BB30_14 Depth=1
	s_lshl_b32 s86, s50, 6
	v_readlane_b32 s44, v254, 3
	v_cmp_eq_u64_e32 vcc, 0, v[136:137]
	s_sub_i32 s76, s44, s86
	s_ashr_i32 s87, s86, 31
	v_readlane_b32 s45, v254, 4
	s_cbranch_vccnz .LBB30_112
; %bb.103:                              ;   in Loop: Header=BB30_14 Depth=1
	v_cmp_le_i32_e32 vcc, s76, v52
	s_and_saveexec_b64 s[44:45], vcc
	s_xor_b64 s[44:45], exec, s[44:45]
	s_cbranch_execz .LBB30_105
; %bb.104:                              ;   in Loop: Header=BB30_14 Depth=1
	ds_write_b16 v227, v55 offset:33792
	ds_write_b16 v218, v55 offset:33792
                                        ; implicit-def: $vgpr173
                                        ; implicit-def: $vgpr174
                                        ; implicit-def: $vgpr176
.LBB30_105:                             ;   in Loop: Header=BB30_14 Depth=1
	s_or_saveexec_b64 s[44:45], s[44:45]
	s_lshl_b64 s[46:47], s[86:87], 1
	v_lshl_add_u64 v[34:35], v[136:137], 0, s[46:47]
	v_lshlrev_b32_e32 v54, 1, v52
	v_lshl_add_u64 v[34:35], v[34:35], 0, v[54:55]
	v_mov_b32_e32 v1, 0
	v_mov_b32_e32 v36, 0
	s_xor_b64 exec, exec, s[44:45]
	s_cbranch_execz .LBB30_107
; %bb.106:                              ;   in Loop: Header=BB30_14 Depth=1
	v_mul_hi_u32 v1, s68, v103
	v_add_u32_e32 v1, v103, v1
	v_lshrrev_b32_e32 v1, s69, v1
	v_mul_hi_u32 v36, s68, v173
	v_mul_lo_u32 v1, v1, s96
	v_readlane_b32 s46, v255, 6
	v_add_u32_e32 v36, v173, v36
	v_sub_u32_e32 v1, v103, v1
	v_readlane_b32 s47, v255, 7
	s_mov_b32 s48, s46
	v_lshrrev_b32_e32 v36, s69, v36
	v_mad_i64_i32 v[38:39], s[46:47], v1, s48, 0
	v_mul_lo_u32 v36, v36, s96
	v_lshl_add_u64 v[38:39], v[38:39], 1, v[34:35]
	v_sub_u32_e32 v36, v173, v36
	global_load_ushort v1, v[38:39], off
	v_mad_i64_i32 v[38:39], s[46:47], v36, s48, 0
	v_lshl_add_u64 v[38:39], v[38:39], 1, v[34:35]
	global_load_ushort v36, v[38:39], off
	s_waitcnt vmcnt(1)
	ds_write_b16 v227, v1 offset:33792
	s_waitcnt vmcnt(0)
	ds_write_b16 v218, v36 offset:33792
	v_mul_hi_u32 v1, s68, v174
	v_add_u32_e32 v1, v174, v1
	v_lshrrev_b32_e32 v1, s69, v1
	v_mul_hi_u32 v36, s68, v176
	v_mul_lo_u32 v1, v1, s96
	v_add_u32_e32 v36, v176, v36
	v_sub_u32_e32 v1, v174, v1
	v_lshrrev_b32_e32 v36, s69, v36
	v_mad_i64_i32 v[38:39], s[46:47], v1, s48, 0
	v_mul_lo_u32 v36, v36, s96
	v_lshl_add_u64 v[38:39], v[38:39], 1, v[34:35]
	v_sub_u32_e32 v36, v176, v36
	global_load_ushort v1, v[38:39], off
	v_mad_i64_i32 v[38:39], s[46:47], v36, s48, 0
	v_lshl_add_u64 v[38:39], v[38:39], 1, v[34:35]
	global_load_ushort v36, v[38:39], off
.LBB30_107:                             ;   in Loop: Header=BB30_14 Depth=1
	s_or_b64 exec, exec, s[44:45]
	s_waitcnt vmcnt(1)
	ds_write_b16 v217, v1 offset:33792
	s_waitcnt vmcnt(0)
	ds_write_b16 v223, v36 offset:33792
	s_and_saveexec_b64 s[44:45], vcc
	s_xor_b64 s[44:45], exec, s[44:45]
	s_cbranch_execz .LBB30_109
; %bb.108:                              ;   in Loop: Header=BB30_14 Depth=1
	ds_write_b16 v215, v55 offset:33792
	ds_write_b16 v214, v55 offset:33792
                                        ; implicit-def: $vgpr175
                                        ; implicit-def: $vgpr34_vgpr35
                                        ; implicit-def: $vgpr177
                                        ; implicit-def: $vgpr178
                                        ; implicit-def: $vgpr179
.LBB30_109:                             ;   in Loop: Header=BB30_14 Depth=1
	s_or_saveexec_b64 s[44:45], s[44:45]
	v_mov_b32_e32 v1, 0
	v_mov_b32_e32 v36, 0
	s_xor_b64 exec, exec, s[44:45]
	s_cbranch_execz .LBB30_111
; %bb.110:                              ;   in Loop: Header=BB30_14 Depth=1
	v_mul_hi_u32 v1, s68, v175
	v_add_u32_e32 v1, v175, v1
	v_lshrrev_b32_e32 v1, s69, v1
	v_mul_hi_u32 v36, s68, v177
	v_mul_lo_u32 v1, v1, s96
	v_readlane_b32 s46, v255, 6
	v_add_u32_e32 v36, v177, v36
	v_sub_u32_e32 v1, v175, v1
	v_readlane_b32 s47, v255, 7
	s_mov_b32 s48, s46
	v_lshrrev_b32_e32 v36, s69, v36
	v_mad_i64_i32 v[38:39], s[46:47], v1, s48, 0
	v_mul_lo_u32 v36, v36, s96
	v_lshl_add_u64 v[38:39], v[38:39], 1, v[34:35]
	v_sub_u32_e32 v36, v177, v36
	global_load_ushort v1, v[38:39], off
	v_mad_i64_i32 v[38:39], s[46:47], v36, s48, 0
	v_lshl_add_u64 v[38:39], v[38:39], 1, v[34:35]
	global_load_ushort v36, v[38:39], off
	s_waitcnt vmcnt(1)
	ds_write_b16 v215, v1 offset:33792
	s_waitcnt vmcnt(0)
	ds_write_b16 v214, v36 offset:33792
	v_mul_hi_u32 v1, s68, v178
	v_add_u32_e32 v1, v178, v1
	v_lshrrev_b32_e32 v1, s69, v1
	v_mul_hi_u32 v36, s68, v179
	v_mul_lo_u32 v1, v1, s96
	v_add_u32_e32 v36, v179, v36
	v_sub_u32_e32 v1, v178, v1
	v_lshrrev_b32_e32 v36, s69, v36
	v_mad_i64_i32 v[38:39], s[46:47], v1, s48, 0
	v_mul_lo_u32 v36, v36, s96
	v_lshl_add_u64 v[38:39], v[38:39], 1, v[34:35]
	v_sub_u32_e32 v36, v179, v36
	global_load_ushort v1, v[38:39], off
	v_mad_i64_i32 v[38:39], s[46:47], v36, s48, 0
	v_lshl_add_u64 v[34:35], v[38:39], 1, v[34:35]
	global_load_ushort v36, v[34:35], off
.LBB30_111:                             ;   in Loop: Header=BB30_14 Depth=1
	s_or_b64 exec, exec, s[44:45]
	s_waitcnt vmcnt(1)
	ds_write_b16 v213, v1 offset:33792
	s_waitcnt vmcnt(0)
	ds_write_b16 v250, v36 offset:33792
.LBB30_112:                             ;   in Loop: Header=BB30_14 Depth=1
	s_mul_hi_i32 s45, s86, s78
	s_mul_i32 s44, s86, s78
	s_lshl_b64 s[44:45], s[44:45], 2
	v_lshl_add_u64 v[34:35], v[138:139], 0, s[44:45]
	v_lshl_add_u64 v[38:39], v[60:61], 2, v[34:35]
	v_lshlrev_b32_e32 v54, 2, v56
	v_lshl_add_u64 v[38:39], v[38:39], 0, v[54:55]
	v_mov_b32_e32 v1, s43
	v_cmp_gt_i32_e64 s[44:45], s76, v201
	scratch_store_dwordx4 off, a[8:11], off
	v_cmp_gt_i32_e64 s[46:47], s76, v161
	v_cndmask_b32_e64 v39, v1, v39, s[44:45]
	v_cndmask_b32_e64 v38, v101, v38, s[44:45]
	flat_load_dwordx4 v[42:45], v[38:39]
	v_lshl_add_u64 v[38:39], v[62:63], 2, v[34:35]
	v_lshl_add_u64 v[38:39], v[38:39], 0, v[54:55]
	v_cndmask_b32_e64 v39, v1, v39, s[46:47]
	v_cndmask_b32_e64 v38, v101, v38, s[46:47]
	v_cmp_gt_i32_e64 s[48:49], s76, v162
	v_cmp_gt_i32_e64 s[50:51], s76, v163
	;; [unrolled: 1-line block ×6, first 2 shown]
	s_waitcnt vmcnt(0) lgkmcnt(0)
	ds_write_b128 v202, v[42:45]
	flat_load_dwordx4 v[42:45], v[38:39]
	v_lshl_add_u64 v[38:39], v[64:65], 2, v[34:35]
	v_lshl_add_u64 v[38:39], v[38:39], 0, v[54:55]
	v_cndmask_b32_e64 v39, v1, v39, s[48:49]
	v_cndmask_b32_e64 v38, v101, v38, s[48:49]
	s_waitcnt vmcnt(0) lgkmcnt(0)
	ds_write_b128 v248, v[42:45]
	flat_load_dwordx4 v[42:45], v[38:39]
	v_lshl_add_u64 v[38:39], v[66:67], 2, v[34:35]
	v_lshl_add_u64 v[38:39], v[38:39], 0, v[54:55]
	v_cndmask_b32_e64 v39, v1, v39, s[50:51]
	v_cndmask_b32_e64 v38, v101, v38, s[50:51]
	;; [unrolled: 7-line block ×5, first 2 shown]
	v_lshl_add_u64 v[34:35], v[74:75], 2, v[34:35]
	v_lshl_add_u64 v[34:35], v[34:35], 0, v[54:55]
	v_cndmask_b32_e64 v35, v1, v35, s[58:59]
	v_cndmask_b32_e64 v34, v101, v34, s[58:59]
	v_add_u32_e32 v1, 0x4000, v203
	s_waitcnt vmcnt(0) lgkmcnt(0)
	ds_write_b128 v221, v[42:45]
	flat_load_dwordx4 v[42:45], v[38:39]
	s_waitcnt vmcnt(0) lgkmcnt(0)
	ds_write_b128 v240, v[42:45]
	flat_load_dwordx4 v[42:45], v[34:35]
	s_waitcnt vmcnt(0) lgkmcnt(0)
	ds_write_b128 v239, v[42:45]
	s_waitcnt lgkmcnt(0)
	s_barrier
	ds_read2_b64 v[42:45], v203 offset1:4
	ds_read2_b64 v[46:49], v1 offset0:64 offset1:68
	s_waitcnt lgkmcnt(1)
	v_mfma_f32_16x16x16_f16 a[0:3], v[42:43], v[30:31], 0
	s_waitcnt lgkmcnt(0)
	v_mfma_f32_16x16x16_f16 a[4:7], v[46:47], v[30:31], 0
	v_mfma_f32_16x16x16_f16 a[0:3], v[44:45], v[32:33], a[0:3]
	ds_read2_b64 v[42:45], v1 offset0:72 offset1:76
	v_mfma_f32_16x16x16_f16 a[4:7], v[48:49], v[32:33], a[4:7]
	ds_read2_b64 v[30:33], v203 offset0:8 offset1:12
	s_waitcnt lgkmcnt(0)
	v_mfma_f32_16x16x16_f16 a[0:3], v[30:31], v[26:27], a[0:3]
	v_mfma_f32_16x16x16_f16 a[4:7], v[42:43], v[26:27], a[4:7]
	v_mfma_f32_16x16x16_f16 a[0:3], v[32:33], v[28:29], a[0:3]
	ds_read2_b64 v[30:33], v1 offset0:80 offset1:84
	v_mfma_f32_16x16x16_f16 a[4:7], v[44:45], v[28:29], a[4:7]
	ds_read2_b64 v[26:29], v203 offset0:16 offset1:20
	s_waitcnt lgkmcnt(0)
	v_mfma_f32_16x16x16_f16 a[0:3], v[26:27], v[22:23], a[0:3]
	;; [unrolled: 7-line block ×6, first 2 shown]
	v_mfma_f32_16x16x16_f16 a[4:7], v[14:15], v[6:7], a[4:7]
	v_mfma_f32_16x16x16_f16 a[0:3], v[12:13], v[8:9], a[0:3]
	ds_read2_b64 v[10:13], v1 offset0:120 offset1:124
	v_mfma_f32_16x16x16_f16 a[4:7], v[16:17], v[8:9], a[4:7]
	ds_read2_b64 v[6:9], v203 offset0:56 offset1:60
	s_waitcnt lgkmcnt(0)
	s_barrier
	v_mfma_f32_16x16x16_f16 a[0:3], v[6:7], v[2:3], a[0:3]
	v_mfma_f32_16x16x16_f16 a[12:15], v[10:11], v[2:3], a[4:7]
                                        ; implicit-def: $vgpr10
	v_mfma_f32_16x16x16_f16 a[4:7], v[8:9], v[4:5], a[0:3]
	v_mfma_f32_16x16x16_f16 a[0:3], v[12:13], v[4:5], a[12:15]
	s_nop 6
	v_accvgpr_read_b32 v1, a4
	v_cmp_nlt_f32_e64 s[60:61], |v1|, s94
	s_and_saveexec_b64 s[62:63], s[60:61]
	s_xor_b64 s[60:61], exec, s[62:63]
	s_cbranch_execz .LBB30_114
; %bb.113:                              ;   in Loop: Header=BB30_14 Depth=1
	v_add_f32_e64 v2, |v1|, |v1|
	v_mul_f32_e32 v3, 0x3fb8aa3b, v2
	v_rndne_f32_e32 v4, v3
	v_sub_f32_e32 v5, v3, v4
	v_fma_f32 v3, v2, s88, -v3
	v_fmac_f32_e32 v3, 0x32a5705f, v2
	v_add_f32_e32 v3, v5, v3
	v_cvt_i32_f32_e32 v4, v4
	v_exp_f32_e32 v3, v3
	v_cmp_ngt_f32_e32 vcc, s91, v2
	v_ldexp_f32 v3, v3, v4
	s_nop 0
	v_cndmask_b32_e32 v3, 0, v3, vcc
	v_cmp_nlt_f32_e32 vcc, s97, v2
	s_nop 1
	v_cndmask_b32_e32 v2, v99, v3, vcc
	v_add_f32_e32 v2, 1.0, v2
	v_rcp_f32_e32 v2, v2
	s_nop 0
	v_fma_f32 v10, v2, -2.0, 1.0
.LBB30_114:                             ;   in Loop: Header=BB30_14 Depth=1
	s_andn2_saveexec_b64 s[60:61], s[60:61]
; %bb.115:                              ;   in Loop: Header=BB30_14 Depth=1
	v_mul_f32_e32 v2, v1, v1
	v_fmamk_f32 v3, v2, 0xbbbac73d, v98
	v_fmaak_f32 v3, v2, v3, 0xbd5c1c4e
	v_fmaak_f32 v3, v2, v3, 0x3e088382
	;; [unrolled: 1-line block ×3, first 2 shown]
	v_mul_f32_e64 v3, |v1|, v3
	v_fma_f32 v10, v2, v3, |v1|
; %bb.116:                              ;   in Loop: Header=BB30_14 Depth=1
	s_or_b64 exec, exec, s[60:61]
	v_accvgpr_read_b32 v2, a4
	v_accvgpr_read_b32 v3, a5
	;; [unrolled: 1-line block ×4, first 2 shown]
	v_cmp_nlt_f32_e64 s[60:61], |v3|, s94
                                        ; implicit-def: $vgpr2
	s_and_saveexec_b64 s[62:63], s[60:61]
	s_xor_b64 s[60:61], exec, s[62:63]
	s_cbranch_execz .LBB30_118
; %bb.117:                              ;   in Loop: Header=BB30_14 Depth=1
	v_add_f32_e64 v2, |v3|, |v3|
	v_mul_f32_e32 v6, 0x3fb8aa3b, v2
	v_rndne_f32_e32 v7, v6
	v_sub_f32_e32 v8, v6, v7
	v_fma_f32 v6, v2, s88, -v6
	v_fmac_f32_e32 v6, 0x32a5705f, v2
	v_add_f32_e32 v6, v8, v6
	v_cvt_i32_f32_e32 v7, v7
	v_exp_f32_e32 v6, v6
	v_cmp_ngt_f32_e32 vcc, s91, v2
	v_ldexp_f32 v6, v6, v7
	s_nop 0
	v_cndmask_b32_e32 v6, 0, v6, vcc
	v_cmp_nlt_f32_e32 vcc, s97, v2
	s_nop 1
	v_cndmask_b32_e32 v2, v99, v6, vcc
	v_add_f32_e32 v2, 1.0, v2
	v_rcp_f32_e32 v2, v2
	s_nop 0
	v_fma_f32 v2, v2, -2.0, 1.0
.LBB30_118:                             ;   in Loop: Header=BB30_14 Depth=1
	s_andn2_saveexec_b64 s[60:61], s[60:61]
; %bb.119:                              ;   in Loop: Header=BB30_14 Depth=1
	v_mul_f32_e32 v2, v3, v3
	v_fmamk_f32 v6, v2, 0xbbbac73d, v98
	v_fmaak_f32 v6, v2, v6, 0xbd5c1c4e
	v_fmaak_f32 v6, v2, v6, 0x3e088382
	;; [unrolled: 1-line block ×3, first 2 shown]
	v_mul_f32_e64 v6, |v3|, v6
	v_fma_f32 v2, v2, v6, |v3|
; %bb.120:                              ;   in Loop: Header=BB30_14 Depth=1
	s_or_b64 exec, exec, s[60:61]
	v_cmp_nlt_f32_e64 s[60:61], |v4|, s94
                                        ; implicit-def: $vgpr11
	s_and_saveexec_b64 s[62:63], s[60:61]
	s_xor_b64 s[60:61], exec, s[62:63]
	s_cbranch_execz .LBB30_122
; %bb.121:                              ;   in Loop: Header=BB30_14 Depth=1
	v_add_f32_e64 v6, |v4|, |v4|
	v_mul_f32_e32 v7, 0x3fb8aa3b, v6
	v_rndne_f32_e32 v8, v7
	v_sub_f32_e32 v9, v7, v8
	v_fma_f32 v7, v6, s88, -v7
	v_fmac_f32_e32 v7, 0x32a5705f, v6
	v_add_f32_e32 v7, v9, v7
	v_cvt_i32_f32_e32 v8, v8
	v_exp_f32_e32 v7, v7
	v_cmp_ngt_f32_e32 vcc, s91, v6
	v_ldexp_f32 v7, v7, v8
	s_nop 0
	v_cndmask_b32_e32 v7, 0, v7, vcc
	v_cmp_nlt_f32_e32 vcc, s97, v6
	s_nop 1
	v_cndmask_b32_e32 v6, v99, v7, vcc
	v_add_f32_e32 v6, 1.0, v6
	v_rcp_f32_e32 v6, v6
	s_nop 0
	v_fma_f32 v11, v6, -2.0, 1.0
.LBB30_122:                             ;   in Loop: Header=BB30_14 Depth=1
	s_andn2_saveexec_b64 s[60:61], s[60:61]
; %bb.123:                              ;   in Loop: Header=BB30_14 Depth=1
	v_mul_f32_e32 v6, v4, v4
	v_fmamk_f32 v7, v6, 0xbbbac73d, v98
	v_fmaak_f32 v7, v6, v7, 0xbd5c1c4e
	v_fmaak_f32 v7, v6, v7, 0x3e088382
	;; [unrolled: 1-line block ×3, first 2 shown]
	v_mul_f32_e64 v7, |v4|, v7
	v_fma_f32 v11, v6, v7, |v4|
; %bb.124:                              ;   in Loop: Header=BB30_14 Depth=1
	s_or_b64 exec, exec, s[60:61]
	v_cmp_nlt_f32_e64 s[60:61], |v5|, s94
                                        ; implicit-def: $vgpr12
	s_and_saveexec_b64 s[62:63], s[60:61]
	s_xor_b64 s[60:61], exec, s[62:63]
	s_cbranch_execz .LBB30_126
; %bb.125:                              ;   in Loop: Header=BB30_14 Depth=1
	v_add_f32_e64 v6, |v5|, |v5|
	v_mul_f32_e32 v7, 0x3fb8aa3b, v6
	v_rndne_f32_e32 v8, v7
	v_sub_f32_e32 v9, v7, v8
	v_fma_f32 v7, v6, s88, -v7
	v_fmac_f32_e32 v7, 0x32a5705f, v6
	v_add_f32_e32 v7, v9, v7
	v_cvt_i32_f32_e32 v8, v8
	v_exp_f32_e32 v7, v7
	v_cmp_ngt_f32_e32 vcc, s91, v6
	v_ldexp_f32 v7, v7, v8
	s_nop 0
	v_cndmask_b32_e32 v7, 0, v7, vcc
	v_cmp_nlt_f32_e32 vcc, s97, v6
	s_nop 1
	v_cndmask_b32_e32 v6, v99, v7, vcc
	v_add_f32_e32 v6, 1.0, v6
	v_rcp_f32_e32 v6, v6
	s_nop 0
	v_fma_f32 v12, v6, -2.0, 1.0
.LBB30_126:                             ;   in Loop: Header=BB30_14 Depth=1
	s_andn2_saveexec_b64 s[60:61], s[60:61]
; %bb.127:                              ;   in Loop: Header=BB30_14 Depth=1
	v_mul_f32_e32 v6, v5, v5
	v_fmamk_f32 v7, v6, 0xbbbac73d, v98
	v_fmaak_f32 v7, v6, v7, 0xbd5c1c4e
	v_fmaak_f32 v7, v6, v7, 0x3e088382
	v_fmaak_f32 v7, v6, v7, 0xbeaaaa99
	v_mul_f32_e64 v7, |v5|, v7
	v_fma_f32 v12, v6, v7, |v5|
; %bb.128:                              ;   in Loop: Header=BB30_14 Depth=1
	s_or_b64 exec, exec, s[60:61]
	v_accvgpr_read_b32 v9, a3
	v_accvgpr_read_b32 v6, a0
	;; [unrolled: 1-line block ×4, first 2 shown]
	v_cmp_nlt_f32_e64 s[60:61], |v6|, s94
                                        ; implicit-def: $vgpr13
	s_and_saveexec_b64 s[62:63], s[60:61]
	s_xor_b64 s[60:61], exec, s[62:63]
	s_cbranch_execz .LBB30_130
; %bb.129:                              ;   in Loop: Header=BB30_14 Depth=1
	v_add_f32_e64 v13, |v6|, |v6|
	v_mul_f32_e32 v14, 0x3fb8aa3b, v13
	v_rndne_f32_e32 v15, v14
	v_sub_f32_e32 v16, v14, v15
	v_fma_f32 v14, v13, s88, -v14
	v_fmac_f32_e32 v14, 0x32a5705f, v13
	v_add_f32_e32 v14, v16, v14
	v_cvt_i32_f32_e32 v15, v15
	v_exp_f32_e32 v14, v14
	v_cmp_ngt_f32_e32 vcc, s91, v13
	v_ldexp_f32 v14, v14, v15
	s_nop 0
	v_cndmask_b32_e32 v14, 0, v14, vcc
	v_cmp_nlt_f32_e32 vcc, s97, v13
	s_nop 1
	v_cndmask_b32_e32 v13, v99, v14, vcc
	v_add_f32_e32 v13, 1.0, v13
	v_rcp_f32_e32 v13, v13
	s_nop 0
	v_fma_f32 v13, v13, -2.0, 1.0
.LBB30_130:                             ;   in Loop: Header=BB30_14 Depth=1
	s_andn2_saveexec_b64 s[60:61], s[60:61]
; %bb.131:                              ;   in Loop: Header=BB30_14 Depth=1
	v_mul_f32_e32 v13, v6, v6
	v_fmamk_f32 v14, v13, 0xbbbac73d, v98
	v_fmaak_f32 v14, v13, v14, 0xbd5c1c4e
	v_fmaak_f32 v14, v13, v14, 0x3e088382
	;; [unrolled: 1-line block ×3, first 2 shown]
	v_mul_f32_e64 v14, |v6|, v14
	v_fma_f32 v13, v13, v14, |v6|
; %bb.132:                              ;   in Loop: Header=BB30_14 Depth=1
	s_or_b64 exec, exec, s[60:61]
	v_cmp_nlt_f32_e64 s[60:61], |v7|, s94
                                        ; implicit-def: $vgpr14
	s_and_saveexec_b64 s[62:63], s[60:61]
	s_xor_b64 s[60:61], exec, s[62:63]
	s_cbranch_execz .LBB30_134
; %bb.133:                              ;   in Loop: Header=BB30_14 Depth=1
	v_add_f32_e64 v14, |v7|, |v7|
	v_mul_f32_e32 v15, 0x3fb8aa3b, v14
	v_rndne_f32_e32 v16, v15
	v_sub_f32_e32 v17, v15, v16
	v_fma_f32 v15, v14, s88, -v15
	v_fmac_f32_e32 v15, 0x32a5705f, v14
	v_add_f32_e32 v15, v17, v15
	v_cvt_i32_f32_e32 v16, v16
	v_exp_f32_e32 v15, v15
	v_cmp_ngt_f32_e32 vcc, s91, v14
	v_ldexp_f32 v15, v15, v16
	s_nop 0
	v_cndmask_b32_e32 v15, 0, v15, vcc
	v_cmp_nlt_f32_e32 vcc, s97, v14
	s_nop 1
	v_cndmask_b32_e32 v14, v99, v15, vcc
	v_add_f32_e32 v14, 1.0, v14
	v_rcp_f32_e32 v14, v14
	s_nop 0
	v_fma_f32 v14, v14, -2.0, 1.0
.LBB30_134:                             ;   in Loop: Header=BB30_14 Depth=1
	s_andn2_saveexec_b64 s[60:61], s[60:61]
; %bb.135:                              ;   in Loop: Header=BB30_14 Depth=1
	v_mul_f32_e32 v14, v7, v7
	v_fmamk_f32 v15, v14, 0xbbbac73d, v98
	v_fmaak_f32 v15, v14, v15, 0xbd5c1c4e
	v_fmaak_f32 v15, v14, v15, 0x3e088382
	;; [unrolled: 1-line block ×3, first 2 shown]
	v_mul_f32_e64 v15, |v7|, v15
	v_fma_f32 v14, v14, v15, |v7|
; %bb.136:                              ;   in Loop: Header=BB30_14 Depth=1
	s_or_b64 exec, exec, s[60:61]
	v_cmp_nlt_f32_e64 s[60:61], |v8|, s94
                                        ; implicit-def: $vgpr15
	s_and_saveexec_b64 s[62:63], s[60:61]
	s_xor_b64 s[60:61], exec, s[62:63]
	s_cbranch_execz .LBB30_138
; %bb.137:                              ;   in Loop: Header=BB30_14 Depth=1
	v_add_f32_e64 v15, |v8|, |v8|
	v_mul_f32_e32 v16, 0x3fb8aa3b, v15
	v_rndne_f32_e32 v17, v16
	v_sub_f32_e32 v18, v16, v17
	v_fma_f32 v16, v15, s88, -v16
	v_fmac_f32_e32 v16, 0x32a5705f, v15
	v_add_f32_e32 v16, v18, v16
	v_cvt_i32_f32_e32 v17, v17
	v_exp_f32_e32 v16, v16
	v_cmp_ngt_f32_e32 vcc, s91, v15
	v_ldexp_f32 v16, v16, v17
	s_nop 0
	v_cndmask_b32_e32 v16, 0, v16, vcc
	v_cmp_nlt_f32_e32 vcc, s97, v15
	s_nop 1
	v_cndmask_b32_e32 v15, v99, v16, vcc
	v_add_f32_e32 v15, 1.0, v15
	v_rcp_f32_e32 v15, v15
	s_nop 0
	v_fma_f32 v15, v15, -2.0, 1.0
.LBB30_138:                             ;   in Loop: Header=BB30_14 Depth=1
	s_andn2_saveexec_b64 s[60:61], s[60:61]
; %bb.139:                              ;   in Loop: Header=BB30_14 Depth=1
	v_mul_f32_e32 v15, v8, v8
	v_fmamk_f32 v16, v15, 0xbbbac73d, v98
	v_fmaak_f32 v16, v15, v16, 0xbd5c1c4e
	v_fmaak_f32 v16, v15, v16, 0x3e088382
	;; [unrolled: 1-line block ×3, first 2 shown]
	v_mul_f32_e64 v16, |v8|, v16
	v_fma_f32 v15, v15, v16, |v8|
; %bb.140:                              ;   in Loop: Header=BB30_14 Depth=1
	s_or_b64 exec, exec, s[60:61]
	v_cmp_nlt_f32_e64 s[60:61], |v9|, s94
                                        ; implicit-def: $vgpr18
	s_and_saveexec_b64 s[62:63], s[60:61]
	s_xor_b64 s[60:61], exec, s[62:63]
	s_cbranch_execz .LBB30_142
; %bb.141:                              ;   in Loop: Header=BB30_14 Depth=1
	v_add_f32_e64 v16, |v9|, |v9|
	v_mul_f32_e32 v17, 0x3fb8aa3b, v16
	v_rndne_f32_e32 v18, v17
	v_sub_f32_e32 v19, v17, v18
	v_fma_f32 v17, v16, s88, -v17
	v_fmac_f32_e32 v17, 0x32a5705f, v16
	v_add_f32_e32 v17, v19, v17
	v_cvt_i32_f32_e32 v18, v18
	v_exp_f32_e32 v17, v17
	v_cmp_ngt_f32_e32 vcc, s91, v16
	v_ldexp_f32 v17, v17, v18
	s_nop 0
	v_cndmask_b32_e32 v17, 0, v17, vcc
	v_cmp_nlt_f32_e32 vcc, s97, v16
	s_nop 1
	v_cndmask_b32_e32 v16, v99, v17, vcc
	v_add_f32_e32 v16, 1.0, v16
	v_rcp_f32_e32 v16, v16
	s_nop 0
	v_fma_f32 v18, v16, -2.0, 1.0
.LBB30_142:                             ;   in Loop: Header=BB30_14 Depth=1
	s_andn2_saveexec_b64 s[60:61], s[60:61]
; %bb.143:                              ;   in Loop: Header=BB30_14 Depth=1
	v_mul_f32_e32 v16, v9, v9
	v_fmamk_f32 v17, v16, 0xbbbac73d, v98
	v_fmaak_f32 v17, v16, v17, 0xbd5c1c4e
	v_fmaak_f32 v17, v16, v17, 0x3e088382
	;; [unrolled: 1-line block ×3, first 2 shown]
	v_mul_f32_e64 v17, |v9|, v17
	v_fma_f32 v18, v16, v17, |v9|
; %bb.144:                              ;   in Loop: Header=BB30_14 Depth=1
	s_or_b64 exec, exec, s[60:61]
	v_bfi_b32 v1, s92, v10, v1
	v_bfi_b32 v7, s92, v14, v7
	v_mul_f32_e32 v14, s3, v1
	v_bfi_b32 v1, s92, v2, v3
	v_bfi_b32 v8, s92, v15, v8
	v_mul_f32_e32 v15, s3, v1
	v_bfi_b32 v1, s92, v11, v4
	v_mul_f32_e32 v16, s3, v1
	v_bfi_b32 v1, s92, v12, v5
	v_cmp_ne_u64_e32 vcc, 0, v[136:137]
	v_bfi_b32 v6, s92, v13, v6
	v_mul_f32_e32 v17, s3, v1
	v_bfi_b32 v1, s92, v18, v9
	v_mul_f32_e32 v6, s3, v6
	v_mul_f32_e32 v7, s3, v7
	;; [unrolled: 1-line block ×4, first 2 shown]
	s_cbranch_vccz .LBB30_450
; %bb.145:                              ;   in Loop: Header=BB30_14 Depth=1
	v_add_u32_e32 v1, 0x8400, v228
	ds_read2_b32 v[2:3], v1 offset1:1
	ds_read_b32 v1, v230 offset:33792
	ds_read_b32 v4, v232 offset:33792
	s_waitcnt lgkmcnt(2)
	v_cvt_f32_f16_e32 v10, v2
	v_cvt_f32_f16_sdwa v11, v2 dst_sel:DWORD dst_unused:UNUSED_PAD src0_sel:WORD_1
	v_cvt_f32_f16_e32 v2, v3
	v_cvt_f32_f16_sdwa v3, v3 dst_sel:DWORD dst_unused:UNUSED_PAD src0_sel:WORD_1
	s_waitcnt lgkmcnt(1)
	v_cvt_f32_f16_sdwa v19, v1 dst_sel:DWORD dst_unused:UNUSED_PAD src0_sel:WORD_1
	s_waitcnt lgkmcnt(0)
	v_cvt_f32_f16_sdwa v13, v4 dst_sel:DWORD dst_unused:UNUSED_PAD src0_sel:WORD_1
	v_cvt_f32_f16_e32 v12, v4
	v_cvt_f32_f16_e32 v18, v1
	v_pk_fma_f32 v[4:5], v[134:135], v[2:3], v[16:17] op_sel_hi:[0,1,1]
	v_pk_fma_f32 v[2:3], v[134:135], v[10:11], v[14:15] op_sel_hi:[0,1,1]
	;; [unrolled: 1-line block ×4, first 2 shown]
	s_cbranch_execnz .LBB30_147
.LBB30_146:                             ;   in Loop: Header=BB30_14 Depth=1
	v_mov_b64_e32 v[12:13], v[8:9]
	v_mov_b64_e32 v[2:3], v[14:15]
	;; [unrolled: 1-line block ×4, first 2 shown]
.LBB30_147:                             ;   in Loop: Header=BB30_14 Depth=1
	v_add_f32_e32 v1, 0x40051340, v2
	v_max_f32_e32 v6, v41, v41
	v_cmp_gt_u32_e64 s[70:71], s76, v204
	v_max_f32_e32 v1, v6, v1
	v_add_f32_e32 v6, 0x40051340, v3
	v_cndmask_b32_e64 v1, v41, v1, s[70:71]
	v_max_f32_e32 v7, v1, v1
	v_cmp_gt_u32_e64 s[72:73], s76, v168
	v_max_f32_e32 v6, v7, v6
	v_cmp_gt_u32_e64 s[74:75], s76, v169
	v_cndmask_b32_e64 v1, v1, v6, s[72:73]
	v_add_f32_e32 v6, 0x40051340, v4
	v_max_f32_e32 v7, v1, v1
	v_max_f32_e32 v6, v7, v6
	v_cndmask_b32_e64 v1, v1, v6, s[74:75]
	v_accvgpr_read_b32 v6, a101
	v_cmp_gt_u32_e64 s[66:67], s76, v6
	v_add_f32_e32 v6, 0x40051340, v5
	v_max_f32_e32 v7, v1, v1
	v_max_f32_e32 v6, v7, v6
	v_cndmask_b32_e64 v1, v1, v6, s[66:67]
	v_add_f32_e32 v6, 0x40051340, v10
	v_max_f32_e32 v7, v1, v1
	v_cmp_gt_u32_e64 s[64:65], s76, v159
	v_max_f32_e32 v6, v7, v6
	v_cmp_gt_u32_e64 s[60:61], s76, v160
	v_cndmask_b32_e64 v1, v1, v6, s[64:65]
	v_accvgpr_read_b32 v6, a102
	v_cmp_gt_u32_e64 s[62:63], s76, v6
	v_add_f32_e32 v6, 0x40051340, v11
	v_max_f32_e32 v7, v1, v1
	v_max_f32_e32 v6, v7, v6
	v_cndmask_b32_e64 v1, v1, v6, s[62:63]
	v_add_f32_e32 v6, 0x40051340, v12
	v_max_f32_e32 v7, v1, v1
	v_max_f32_e32 v6, v7, v6
	v_cndmask_b32_e64 v1, v1, v6, s[60:61]
	v_accvgpr_read_b32 v6, a103
	v_cmp_gt_u32_e32 vcc, s76, v6
	v_add_f32_e32 v6, 0x40051340, v13
	v_max_f32_e32 v7, v1, v1
	v_max_f32_e32 v6, v7, v6
	v_cndmask_b32_e32 v1, v1, v6, vcc
	v_and_b32_e32 v6, 64, v220
	v_add_u32_e32 v6, 64, v6
	v_xor_b32_e32 v7, 32, v220
	v_cmp_lt_i32_e64 s[76:77], v7, v6
	v_mov_b32_e32 v18, s43
	scratch_store_dwordx4 off, a[8:11], off
	v_cndmask_b32_e64 v7, v220, v7, s[76:77]
	v_lshlrev_b32_e32 v15, 2, v7
	ds_bpermute_b32 v7, v15, v1
	v_max_f32_e32 v1, v1, v1
	s_waitcnt lgkmcnt(0)
	v_max_f32_e32 v7, v7, v7
	v_max_f32_e32 v1, v1, v7
	v_xor_b32_e32 v7, 16, v220
	v_cmp_lt_i32_e64 s[76:77], v7, v6
	s_nop 1
	v_cndmask_b32_e64 v6, v220, v7, s[76:77]
	v_lshlrev_b32_e32 v9, 2, v6
	ds_bpermute_b32 v6, v9, v1
	s_waitcnt lgkmcnt(0)
	v_max_f32_e32 v6, v6, v6
	v_max_f32_e32 v14, v1, v6
	v_sub_f32_e32 v1, v2, v14
	v_mul_f32_e32 v2, 0x3fb8aa3b, v1
	v_fma_f32 v6, v1, s88, -v2
	v_rndne_f32_e32 v7, v2
	v_fmac_f32_e32 v6, 0x32a5705f, v1
	v_sub_f32_e32 v2, v2, v7
	v_add_f32_e32 v2, v2, v6
	v_exp_f32_e32 v2, v2
	v_cvt_i32_f32_e32 v6, v7
	v_cmp_ngt_f32_e64 s[76:77], s91, v1
	v_ldexp_f32 v2, v2, v6
	s_nop 0
	v_cndmask_b32_e64 v2, 0, v2, s[76:77]
	v_cmp_nlt_f32_e64 s[76:77], s97, v1
	s_nop 1
	v_cndmask_b32_e64 v1, v99, v2, s[76:77]
	v_cndmask_b32_e64 v6, 0, v1, s[70:71]
	v_sub_f32_e32 v1, v3, v14
	v_mul_f32_e32 v2, 0x3fb8aa3b, v1
	v_fma_f32 v3, v1, s88, -v2
	v_rndne_f32_e32 v7, v2
	v_fmac_f32_e32 v3, 0x32a5705f, v1
	v_sub_f32_e32 v2, v2, v7
	v_add_f32_e32 v2, v2, v3
	v_exp_f32_e32 v2, v2
	v_cvt_i32_f32_e32 v3, v7
	v_cmp_ngt_f32_e64 s[70:71], s91, v1
	v_ldexp_f32 v2, v2, v3
	s_nop 0
	v_cndmask_b32_e64 v2, 0, v2, s[70:71]
	v_cmp_nlt_f32_e64 s[70:71], s97, v1
	v_mov_b32_e32 v1, s41
	s_nop 0
	v_cndmask_b32_e64 v2, v99, v2, s[70:71]
	v_add_f32_e32 v7, v2, v6
	v_cndmask_b32_e64 v3, v1, v2, s[72:73]
	v_sub_f32_e32 v2, v4, v14
	v_mul_f32_e32 v4, 0x3fb8aa3b, v2
	v_cndmask_b32_e64 v1, v6, v7, s[72:73]
	v_fma_f32 v7, v2, s88, -v4
	v_rndne_f32_e32 v8, v4
	v_fmac_f32_e32 v7, 0x32a5705f, v2
	v_sub_f32_e32 v4, v4, v8
	v_add_f32_e32 v4, v4, v7
	v_exp_f32_e32 v4, v4
	v_cvt_i32_f32_e32 v7, v8
	v_cmp_ngt_f32_e64 s[70:71], s91, v2
	v_cvt_pk_f16_f32 v6, v6, v3
	v_ldexp_f32 v4, v4, v7
	v_cndmask_b32_e64 v4, 0, v4, s[70:71]
	v_cmp_nlt_f32_e64 s[70:71], s97, v2
	v_mov_b32_e32 v2, s41
	s_nop 0
	v_cndmask_b32_e64 v4, v99, v4, s[70:71]
	v_cndmask_b32_e64 v8, v2, v4, s[74:75]
	v_sub_f32_e32 v2, v5, v14
	v_add_f32_e32 v7, v1, v4
	v_mul_f32_e32 v4, 0x3fb8aa3b, v2
	v_cndmask_b32_e64 v1, v1, v7, s[74:75]
	v_fma_f32 v5, v2, s88, -v4
	v_rndne_f32_e32 v7, v4
	v_fmac_f32_e32 v5, 0x32a5705f, v2
	v_sub_f32_e32 v4, v4, v7
	v_add_f32_e32 v4, v4, v5
	v_exp_f32_e32 v4, v4
	v_cvt_i32_f32_e32 v5, v7
	v_cmp_ngt_f32_e64 s[70:71], s91, v2
	v_ldexp_f32 v4, v4, v5
	s_nop 0
	v_cndmask_b32_e64 v4, 0, v4, s[70:71]
	v_cmp_nlt_f32_e64 s[70:71], s97, v2
	v_mov_b32_e32 v5, s41
	s_nop 0
	v_cndmask_b32_e64 v2, v99, v4, s[70:71]
	v_add_f32_e32 v4, v1, v2
	v_cndmask_b32_e64 v7, v5, v2, s[66:67]
	v_sub_f32_e32 v2, v10, v14
	v_cndmask_b32_e64 v1, v1, v4, s[66:67]
	v_mul_f32_e32 v4, 0x3fb8aa3b, v2
	v_fma_f32 v5, v2, s88, -v4
	v_rndne_f32_e32 v10, v4
	v_fmac_f32_e32 v5, 0x32a5705f, v2
	v_sub_f32_e32 v4, v4, v10
	v_add_f32_e32 v4, v4, v5
	v_exp_f32_e32 v4, v4
	v_cvt_i32_f32_e32 v5, v10
	v_cmp_ngt_f32_e64 s[66:67], s91, v2
	v_cvt_pk_f16_f32 v7, v8, v7
	v_ldexp_f32 v4, v4, v5
	v_cndmask_b32_e64 v4, 0, v4, s[66:67]
	v_cmp_nlt_f32_e64 s[66:67], s97, v2
	v_mov_b32_e32 v2, s41
	s_nop 0
	v_cndmask_b32_e64 v4, v99, v4, s[66:67]
	v_add_f32_e32 v5, v4, v1
	v_cndmask_b32_e64 v2, v2, v4, s[64:65]
	v_cndmask_b32_e64 v4, v1, v5, s[64:65]
	v_sub_f32_e32 v1, v11, v14
	v_mul_f32_e32 v5, 0x3fb8aa3b, v1
	v_fma_f32 v10, v1, s88, -v5
	v_rndne_f32_e32 v11, v5
	v_fmac_f32_e32 v10, 0x32a5705f, v1
	v_sub_f32_e32 v5, v5, v11
	v_add_f32_e32 v5, v5, v10
	v_exp_f32_e32 v5, v5
	v_cvt_i32_f32_e32 v10, v11
	v_cmp_ngt_f32_e64 s[64:65], s91, v1
	v_ldexp_f32 v5, v5, v10
	s_nop 0
	v_cndmask_b32_e64 v5, 0, v5, s[64:65]
	v_cmp_nlt_f32_e64 s[64:65], s97, v1
	v_mov_b32_e32 v1, s41
	s_nop 0
	v_cndmask_b32_e64 v5, v99, v5, s[64:65]
	v_add_f32_e32 v10, v5, v4
	v_cndmask_b32_e64 v1, v1, v5, s[62:63]
	v_cndmask_b32_e64 v5, v4, v10, s[62:63]
	v_sub_f32_e32 v4, v12, v14
	v_mul_f32_e32 v10, 0x3fb8aa3b, v4
	v_fma_f32 v11, v4, s88, -v10
	v_rndne_f32_e32 v12, v10
	v_fmac_f32_e32 v11, 0x32a5705f, v4
	v_sub_f32_e32 v10, v10, v12
	v_add_f32_e32 v10, v10, v11
	v_exp_f32_e32 v10, v10
	v_cvt_i32_f32_e32 v11, v12
	v_cmp_ngt_f32_e64 s[62:63], s91, v4
	v_cvt_pk_f16_f32 v2, v2, v1
	v_ldexp_f32 v10, v10, v11
	v_cndmask_b32_e64 v10, 0, v10, s[62:63]
	v_cmp_nlt_f32_e64 s[62:63], s97, v4
	v_mov_b32_e32 v4, s41
	s_nop 0
	v_cndmask_b32_e64 v10, v99, v10, s[62:63]
	v_add_f32_e32 v11, v10, v5
	v_cndmask_b32_e64 v4, v4, v10, s[60:61]
	v_cndmask_b32_e64 v10, v5, v11, s[60:61]
	v_sub_f32_e32 v5, v13, v14
	v_mul_f32_e32 v11, 0x3fb8aa3b, v5
	v_fma_f32 v12, v5, s88, -v11
	v_rndne_f32_e32 v13, v11
	v_fmac_f32_e32 v12, 0x32a5705f, v5
	v_sub_f32_e32 v11, v11, v13
	v_add_f32_e32 v11, v11, v12
	v_exp_f32_e32 v11, v11
	v_cvt_i32_f32_e32 v12, v13
	v_cmp_ngt_f32_e64 s[60:61], s91, v5
	v_ldexp_f32 v11, v11, v12
	s_nop 0
	v_cndmask_b32_e64 v11, 0, v11, s[60:61]
	v_cmp_nlt_f32_e64 s[60:61], s97, v5
	v_mov_b32_e32 v5, s41
	s_nop 0
	v_cndmask_b32_e64 v11, v99, v11, s[60:61]
	v_add_f32_e32 v12, v11, v10
	v_cndmask_b32_e32 v46, v5, v11, vcc
	v_cndmask_b32_e32 v5, v10, v12, vcc
	v_sub_f32_e32 v10, v41, v14
	v_mul_f32_e32 v11, 0x3fb8aa3b, v10
	v_fma_f32 v12, v10, s88, -v11
	v_rndne_f32_e32 v13, v11
	v_fmac_f32_e32 v12, 0x32a5705f, v10
	v_sub_f32_e32 v11, v11, v13
	v_add_f32_e32 v11, v11, v12
	v_exp_f32_e32 v11, v11
	v_cvt_i32_f32_e32 v12, v13
	v_cmp_ngt_f32_e32 vcc, s91, v10
	s_mul_hi_i32 s61, s86, s98
	s_mul_i32 s60, s86, s98
	v_ldexp_f32 v11, v11, v12
	v_cndmask_b32_e32 v11, 0, v11, vcc
	v_cmp_nlt_f32_e32 vcc, s97, v10
	s_lshl_b64 s[60:61], s[60:61], 2
	v_lshl_add_u64 v[12:13], v[132:133], 0, s[60:61]
	v_cndmask_b32_e32 v11, v99, v11, vcc
	v_cmp_le_f32_e32 vcc, s5, v10
	v_lshl_add_u64 v[16:17], v[86:87], 2, v[12:13]
	v_lshl_add_u64 v[16:17], v[16:17], 0, v[54:55]
	v_cndmask_b32_e32 v10, 0, v11, vcc
	v_fmac_f32_e32 v5, v37, v10
	v_cvt_f16_f32_e32 v10, v10
	v_cndmask_b32_e64 v21, v18, v17, s[54:55]
	v_cndmask_b32_e64 v20, v101, v16, s[54:55]
	v_lshl_add_u64 v[16:17], v[88:89], 2, v[12:13]
	v_mul_u32_u24_e32 v10, 0x10001, v10
	v_pk_mul_f16 v104, v125, v10
	v_pk_mul_f16 v47, v124, v10
	;; [unrolled: 1-line block ×32, first 2 shown]
	v_lshl_add_u64 v[10:11], v[76:77], 2, v[12:13]
	v_lshl_add_u64 v[10:11], v[10:11], 0, v[54:55]
	v_cndmask_b32_e64 v97, v18, v11, s[44:45]
	v_cndmask_b32_e64 v96, v101, v10, s[44:45]
	flat_load_dwordx4 v[106:109], v[96:97]
	v_lshl_add_u64 v[10:11], v[78:79], 2, v[12:13]
	v_lshl_add_u64 v[10:11], v[10:11], 0, v[54:55]
	v_cndmask_b32_e64 v111, v18, v11, s[46:47]
	v_cndmask_b32_e64 v110, v101, v10, s[46:47]
	v_lshl_add_u64 v[10:11], v[80:81], 2, v[12:13]
	v_lshl_add_u64 v[10:11], v[10:11], 0, v[54:55]
	v_cndmask_b32_e64 v113, v18, v11, s[48:49]
	v_cndmask_b32_e64 v112, v101, v10, s[48:49]
	;; [unrolled: 4-line block ×3, first 2 shown]
	v_lshl_add_u64 v[10:11], v[84:85], 2, v[12:13]
	v_lshl_add_u64 v[10:11], v[10:11], 0, v[54:55]
	;; [unrolled: 1-line block ×3, first 2 shown]
	v_cndmask_b32_e64 v11, v18, v11, s[52:53]
	v_cndmask_b32_e64 v10, v101, v10, s[52:53]
	v_lshl_add_u64 v[16:17], v[16:17], 0, v[54:55]
	v_lshl_add_u64 v[12:13], v[12:13], 0, v[54:55]
	v_cndmask_b32_e64 v17, v18, v17, s[56:57]
	v_cndmask_b32_e64 v19, v18, v13, s[58:59]
	;; [unrolled: 1-line block ×4, first 2 shown]
	v_cvt_f32_f16_sdwa v53, v45 dst_sel:DWORD dst_unused:UNUSED_PAD src0_sel:WORD_1
	v_cvt_f32_f16_e32 v54, v44
	v_cvt_f32_f16_sdwa v57, v44 dst_sel:DWORD dst_unused:UNUSED_PAD src0_sel:WORD_1
	v_cvt_f32_f16_e32 v118, v34
	v_cvt_f32_f16_sdwa v119, v34 dst_sel:DWORD dst_unused:UNUSED_PAD src0_sel:WORD_1
	v_cvt_f32_f16_sdwa v120, v33 dst_sel:DWORD dst_unused:UNUSED_PAD src0_sel:WORD_1
	v_cvt_f32_f16_e32 v121, v32
	v_cvt_f32_f16_sdwa v122, v32 dst_sel:DWORD dst_unused:UNUSED_PAD src0_sel:WORD_1
	;; [unrolled: 3-line block ×7, first 2 shown]
	ds_bpermute_b32 v15, v15, v5
	v_readlane_b32 s50, v254, 51
	v_cmp_ne_u64_e32 vcc, 0, v[130:131]
	v_readlane_b32 s51, v254, 52
	s_and_b64 s[46:47], s[50:51], vcc
	s_waitcnt lgkmcnt(0)
	v_add_f32_e32 v5, v5, v15
	ds_bpermute_b32 v15, v9, v5
	s_waitcnt lgkmcnt(0)
	v_add_f32_e32 v15, v5, v15
	s_waitcnt vmcnt(0)
	ds_write_b128 v202, v[106:109]
	flat_load_dwordx4 v[106:109], v[110:111]
	s_waitcnt vmcnt(0) lgkmcnt(0)
	ds_write_b128 v248, v[106:109]
	flat_load_dwordx4 v[106:109], v[112:113]
	s_waitcnt vmcnt(0) lgkmcnt(0)
	;; [unrolled: 3-line block ×3, first 2 shown]
	ds_write_b128 v244, v[106:109]
	flat_load_dwordx4 v[10:13], v[10:11]
	v_cvt_f32_f16_e32 v106, v38
	v_cvt_f32_f16_sdwa v38, v38 dst_sel:DWORD dst_unused:UNUSED_PAD src0_sel:WORD_1
	s_waitcnt vmcnt(0) lgkmcnt(0)
	ds_write_b128 v212, v[10:13]
	flat_load_dwordx4 v[10:13], v[20:21]
	s_waitcnt vmcnt(0) lgkmcnt(0)
	ds_write_b128 v221, v[10:13]
	flat_load_dwordx4 v[10:13], v[16:17]
	v_cvt_f32_f16_e32 v16, v104
	v_cvt_f32_f16_sdwa v17, v104 dst_sel:DWORD dst_unused:UNUSED_PAD src0_sel:WORD_1
	v_cvt_f32_f16_e32 v104, v49
	v_cvt_f32_f16_sdwa v49, v49 dst_sel:DWORD dst_unused:UNUSED_PAD src0_sel:WORD_1
	v_accvgpr_write_b32 a0, v16
	v_accvgpr_write_b32 a1, v17
	s_waitcnt vmcnt(0) lgkmcnt(0)
	ds_write_b128 v240, v[10:13]
	flat_load_dwordx4 v[10:13], v[18:19]
	v_cvt_f32_f16_e32 v18, v47
	v_cvt_f32_f16_sdwa v19, v47 dst_sel:DWORD dst_unused:UNUSED_PAD src0_sel:WORD_1
	v_accvgpr_write_b32 a2, v18
	v_accvgpr_write_b32 a3, v19
	s_waitcnt vmcnt(0) lgkmcnt(0)
	ds_write_b128 v239, v[10:13]
	s_waitcnt lgkmcnt(0)
	s_barrier
	ds_read_u16 v12, v205 offset:528
	ds_read_u16 v11, v205 offset:1056
	ds_read_u16 v13, v206
	ds_read_u16 v10, v206 offset:32
	s_waitcnt lgkmcnt(1)
	v_perm_b32 v13, v13, v11, s42
	ds_read_u16 v20, v205
	ds_read_u16 v11, v205 offset:32
	ds_read_u16 v16, v205 offset:16896
	;; [unrolled: 1-line block ×5, first 2 shown]
	s_waitcnt lgkmcnt(5)
	v_perm_b32 v12, v12, v20, s42
	s_nop 1
	v_mfma_f32_16x16x16_f16 a[0:3], v[12:13], v[6:7], a[0:3]
	s_nop 7
	v_accvgpr_read_b32 v3, a0
	v_accvgpr_read_b32 v8, a1
	;; [unrolled: 1-line block ×4, first 2 shown]
	v_cvt_f16_f32_e32 v3, v3
	v_cvt_f16_f32_e32 v8, v8
	;; [unrolled: 1-line block ×4, first 2 shown]
	v_cvt_f32_f16_e32 v20, v3
	v_cvt_f32_f16_e32 v8, v8
	;; [unrolled: 1-line block ×4, first 2 shown]
	s_waitcnt lgkmcnt(0)
	v_perm_b32 v13, v19, v18, s42
	v_perm_b32 v12, v17, v16, s42
	v_cvt_pk_f16_f32 v3, v4, v46
	v_accvgpr_write_b32 a0, v20
	v_accvgpr_write_b32 a1, v8
	;; [unrolled: 1-line block ×4, first 2 shown]
	v_cvt_f32_f16_e32 v20, v42
	v_cvt_f32_f16_sdwa v21, v42 dst_sel:DWORD dst_unused:UNUSED_PAD src0_sel:WORD_1
	v_mfma_f32_16x16x16_f16 a[0:3], v[12:13], v[2:3], a[0:3]
	v_cvt_f32_f16_e32 v42, v41
	v_cvt_f32_f16_sdwa v41, v41 dst_sel:DWORD dst_unused:UNUSED_PAD src0_sel:WORD_1
	v_cvt_f32_f16_e32 v46, v39
	v_cvt_f32_f16_sdwa v39, v39 dst_sel:DWORD dst_unused:UNUSED_PAD src0_sel:WORD_1
	s_nop 3
	v_accvgpr_read_b32 v1, a2
	v_accvgpr_read_b32 v8, a3
	v_cvt_f16_f32_e32 v1, v1
	v_cvt_f16_f32_e32 v8, v8
	v_accvgpr_read_b32 v4, a0
	v_accvgpr_read_b32 v12, a1
	v_accvgpr_write_b32 a0, v20
	v_perm_b32 v1, v8, v1, s42
	ds_read_u16 v8, v205 offset:560
	ds_read_u16 v17, v205 offset:1088
	v_accvgpr_write_b32 a1, v21
	v_accvgpr_write_b32 a2, v42
	;; [unrolled: 1-line block ×3, first 2 shown]
	s_waitcnt lgkmcnt(1)
	v_perm_b32 v18, v8, v11, s42
	s_waitcnt lgkmcnt(0)
	v_perm_b32 v19, v10, v17, s42
	v_cvt_f16_f32_e32 v13, v4
	v_cvt_f16_f32_e32 v16, v12
	v_mfma_f32_16x16x16_f16 a[0:3], v[18:19], v[6:7], a[0:3]
	ds_read_u16 v18, v205 offset:16928
	ds_read_u16 v19, v205 offset:17456
	;; [unrolled: 1-line block ×4, first 2 shown]
	v_perm_b32 v13, v16, v13, s42
	s_nop 2
	v_accvgpr_read_b32 v8, a0
	v_accvgpr_read_b32 v10, a1
	;; [unrolled: 1-line block ×4, first 2 shown]
	v_cvt_f16_f32_e32 v8, v8
	v_cvt_f16_f32_e32 v10, v10
	v_cvt_f16_f32_e32 v11, v11
	v_cvt_f16_f32_e32 v17, v17
	v_cvt_f32_f16_e32 v8, v8
	v_cvt_f32_f16_e32 v41, v10
	;; [unrolled: 1-line block ×4, first 2 shown]
	s_waitcnt lgkmcnt(0)
	v_perm_b32 v11, v21, v20, s42
	v_perm_b32 v10, v19, v18, s42
	v_accvgpr_write_b32 a0, v8
	v_accvgpr_write_b32 a1, v41
	v_accvgpr_write_b32 a2, v42
	v_accvgpr_write_b32 a3, v17
	v_cvt_f32_f16_e32 v42, v40
	v_cvt_f32_f16_sdwa v40, v40 dst_sel:DWORD dst_unused:UNUSED_PAD src0_sel:WORD_1
	v_mfma_f32_16x16x16_f16 a[0:3], v[10:11], v[2:3], a[0:3]
	s_nop 7
	v_accvgpr_read_b32 v8, a2
	v_accvgpr_read_b32 v10, a3
	v_cvt_f16_f32_e32 v8, v8
	v_cvt_f16_f32_e32 v10, v10
	v_accvgpr_read_b32 v18, a0
	v_accvgpr_read_b32 v19, a1
	v_accvgpr_write_b32 a0, v42
	v_perm_b32 v8, v10, v8, s42
	ds_read_u16 v10, v205 offset:64
	ds_read_u16 v17, v205 offset:592
	;; [unrolled: 1-line block ×4, first 2 shown]
	v_accvgpr_write_b32 a1, v40
	v_accvgpr_write_b32 a2, v46
	s_waitcnt lgkmcnt(2)
	v_perm_b32 v10, v17, v10, s42
	v_accvgpr_write_b32 a3, v39
	s_waitcnt lgkmcnt(0)
	v_perm_b32 v11, v41, v11, s42
	ds_read_u16 v40, v205 offset:16960
	ds_read_u16 v41, v205 offset:17488
	;; [unrolled: 1-line block ×4, first 2 shown]
	v_mfma_f32_16x16x16_f16 a[0:3], v[10:11], v[6:7], a[0:3]
	v_cvt_f16_f32_e32 v20, v18
	v_cvt_f16_f32_e32 v21, v19
	v_perm_b32 v20, v21, v20, s42
	s_nop 4
	v_accvgpr_read_b32 v10, a0
	v_accvgpr_read_b32 v11, a1
	;; [unrolled: 1-line block ×4, first 2 shown]
	v_cvt_f16_f32_e32 v10, v10
	v_cvt_f16_f32_e32 v11, v11
	;; [unrolled: 1-line block ×4, first 2 shown]
	v_cvt_f32_f16_e32 v47, v10
	v_cvt_f32_f16_e32 v51, v11
	;; [unrolled: 1-line block ×4, first 2 shown]
	s_waitcnt lgkmcnt(0)
	v_perm_b32 v11, v46, v42, s42
	v_perm_b32 v10, v41, v40, s42
	v_accvgpr_write_b32 a0, v47
	v_accvgpr_write_b32 a1, v51
	;; [unrolled: 1-line block ×4, first 2 shown]
	v_cvt_f32_f16_e32 v51, v45
	s_nop 0
	v_mfma_f32_16x16x16_f16 a[0:3], v[10:11], v[2:3], a[0:3]
	s_nop 7
	v_accvgpr_read_b32 v10, a2
	v_accvgpr_read_b32 v11, a3
	v_cvt_f16_f32_e32 v10, v10
	v_cvt_f16_f32_e32 v11, v11
	v_accvgpr_read_b32 v39, a0
	v_accvgpr_read_b32 v40, a1
	v_accvgpr_write_b32 a0, v51
	v_perm_b32 v10, v11, v10, s42
	ds_read_u16 v11, v205 offset:96
	ds_read_u16 v17, v205 offset:624
	;; [unrolled: 1-line block ×4, first 2 shown]
	v_accvgpr_write_b32 a1, v53
	v_accvgpr_write_b32 a2, v54
	s_waitcnt lgkmcnt(2)
	v_perm_b32 v44, v17, v11, s42
	v_accvgpr_write_b32 a3, v57
	s_waitcnt lgkmcnt(0)
	v_perm_b32 v45, v47, v46, s42
	ds_read_u16 v46, v205 offset:16992
	ds_read_u16 v47, v205 offset:17520
	;; [unrolled: 1-line block ×4, first 2 shown]
	v_mfma_f32_16x16x16_f16 a[0:3], v[44:45], v[6:7], a[0:3]
	v_cvt_f16_f32_e32 v41, v39
	v_cvt_f16_f32_e32 v42, v40
	v_perm_b32 v41, v42, v41, s42
	s_nop 4
	v_accvgpr_read_b32 v11, a0
	v_accvgpr_read_b32 v17, a1
	;; [unrolled: 1-line block ×4, first 2 shown]
	v_cvt_f16_f32_e32 v11, v11
	v_cvt_f16_f32_e32 v17, v17
	;; [unrolled: 1-line block ×4, first 2 shown]
	v_cvt_f32_f16_e32 v11, v11
	v_cvt_f32_f16_e32 v17, v17
	;; [unrolled: 1-line block ×4, first 2 shown]
	s_waitcnt lgkmcnt(0)
	v_perm_b32 v45, v53, v51, s42
	v_perm_b32 v44, v47, v46, s42
	v_accvgpr_write_b32 a0, v11
	v_accvgpr_write_b32 a1, v17
	;; [unrolled: 1-line block ×4, first 2 shown]
	v_cvt_f32_f16_e32 v57, v95
	v_cvt_f32_f16_sdwa v95, v95 dst_sel:DWORD dst_unused:UNUSED_PAD src0_sel:WORD_1
	v_mfma_f32_16x16x16_f16 a[0:3], v[44:45], v[2:3], a[0:3]
	s_nop 7
	v_accvgpr_read_b32 v11, a2
	v_accvgpr_read_b32 v17, a3
	v_cvt_f16_f32_e32 v11, v11
	v_cvt_f16_f32_e32 v17, v17
	v_accvgpr_read_b32 v44, a0
	v_accvgpr_read_b32 v45, a1
	v_accvgpr_write_b32 a0, v57
	v_perm_b32 v11, v17, v11, s42
	ds_read_u16 v17, v205 offset:128
	ds_read_u16 v51, v205 offset:656
	;; [unrolled: 1-line block ×4, first 2 shown]
	v_accvgpr_write_b32 a1, v95
	v_accvgpr_write_b32 a2, v104
	s_waitcnt lgkmcnt(2)
	v_perm_b32 v96, v51, v17, s42
	v_accvgpr_write_b32 a3, v49
	s_waitcnt lgkmcnt(0)
	v_perm_b32 v97, v54, v53, s42
	v_cvt_f16_f32_e32 v46, v44
	v_cvt_f16_f32_e32 v47, v45
	v_mfma_f32_16x16x16_f16 a[0:3], v[96:97], v[6:7], a[0:3]
	ds_read_u16 v54, v205 offset:17024
	ds_read_u16 v57, v205 offset:17552
	;; [unrolled: 1-line block ×4, first 2 shown]
	v_perm_b32 v46, v47, v46, s42
	s_waitcnt lgkmcnt(0)
	v_perm_b32 v97, v96, v95, s42
	s_nop 0
	v_accvgpr_read_b32 v17, a0
	v_accvgpr_read_b32 v49, a1
	v_accvgpr_read_b32 v51, a2
	v_accvgpr_read_b32 v53, a3
	v_cvt_f16_f32_e32 v17, v17
	v_cvt_f16_f32_e32 v49, v49
	;; [unrolled: 1-line block ×4, first 2 shown]
	v_cvt_f32_f16_e32 v17, v17
	v_cvt_f32_f16_e32 v49, v49
	;; [unrolled: 1-line block ×4, first 2 shown]
	v_perm_b32 v96, v57, v54, s42
	v_accvgpr_write_b32 a0, v17
	v_accvgpr_write_b32 a1, v49
	;; [unrolled: 1-line block ×4, first 2 shown]
	s_nop 1
	v_mfma_f32_16x16x16_f16 a[0:3], v[96:97], v[2:3], a[0:3]
	v_cvt_f32_f16_e32 v96, v94
	v_cvt_f32_f16_sdwa v97, v94 dst_sel:DWORD dst_unused:UNUSED_PAD src0_sel:WORD_1
	s_nop 5
	v_accvgpr_read_b32 v17, a2
	v_accvgpr_read_b32 v51, a3
	v_cvt_f16_f32_e32 v17, v17
	v_cvt_f16_f32_e32 v51, v51
	v_accvgpr_read_b32 v49, a0
	v_accvgpr_read_b32 v54, a1
	v_accvgpr_write_b32 a0, v96
	v_perm_b32 v17, v51, v17, s42
	ds_read_u16 v51, v205 offset:160
	ds_read_u16 v53, v205 offset:688
	;; [unrolled: 1-line block ×4, first 2 shown]
	v_accvgpr_write_b32 a1, v97
	v_accvgpr_write_b32 a2, v106
	s_waitcnt lgkmcnt(2)
	v_perm_b32 v94, v53, v51, s42
	v_accvgpr_write_b32 a3, v38
	s_waitcnt lgkmcnt(0)
	v_perm_b32 v95, v95, v57, s42
	v_cvt_f16_f32_e32 v104, v49
	v_cvt_f16_f32_e32 v105, v54
	v_mfma_f32_16x16x16_f16 a[0:3], v[94:95], v[6:7], a[0:3]
	ds_read_u16 v94, v205 offset:17056
	ds_read_u16 v96, v205 offset:17584
	;; [unrolled: 1-line block ×4, first 2 shown]
	v_perm_b32 v104, v105, v104, s42
	s_waitcnt lgkmcnt(2)
	v_perm_b32 v94, v96, v94, s42
	s_nop 0
	v_accvgpr_read_b32 v38, a0
	v_accvgpr_read_b32 v51, a1
	;; [unrolled: 1-line block ×4, first 2 shown]
	v_cvt_f16_f32_e32 v38, v38
	v_cvt_f16_f32_e32 v51, v51
	;; [unrolled: 1-line block ×4, first 2 shown]
	v_cvt_f32_f16_e32 v38, v38
	v_cvt_f32_f16_e32 v51, v51
	;; [unrolled: 1-line block ×4, first 2 shown]
	s_waitcnt lgkmcnt(0)
	v_perm_b32 v95, v97, v95, s42
	v_accvgpr_write_b32 a0, v38
	v_accvgpr_write_b32 a1, v51
	;; [unrolled: 1-line block ×4, first 2 shown]
	v_cvt_f32_f16_e32 v96, v100
	v_cvt_f32_f16_sdwa v97, v100 dst_sel:DWORD dst_unused:UNUSED_PAD src0_sel:WORD_1
	v_mfma_f32_16x16x16_f16 a[0:3], v[94:95], v[2:3], a[0:3]
	v_cvt_f32_f16_e32 v100, v43
	v_cvt_f32_f16_sdwa v43, v43 dst_sel:DWORD dst_unused:UNUSED_PAD src0_sel:WORD_1
	s_nop 5
	v_accvgpr_read_b32 v38, a2
	v_accvgpr_read_b32 v51, a3
	v_cvt_f16_f32_e32 v38, v38
	v_cvt_f16_f32_e32 v51, v51
	v_accvgpr_read_b32 v106, a0
	v_accvgpr_read_b32 v107, a1
	v_accvgpr_write_b32 a0, v96
	v_perm_b32 v38, v51, v38, s42
	ds_read_u16 v51, v205 offset:192
	ds_read_u16 v53, v205 offset:720
	;; [unrolled: 1-line block ×4, first 2 shown]
	v_accvgpr_write_b32 a1, v97
	v_accvgpr_write_b32 a2, v100
	;; [unrolled: 1-line block ×3, first 2 shown]
	v_cvt_f32_f16_sdwa v100, v35 dst_sel:DWORD dst_unused:UNUSED_PAD src0_sel:WORD_1
	s_waitcnt lgkmcnt(0)
	v_perm_b32 v95, v94, v57, s42
	v_perm_b32 v94, v53, v51, s42
	v_cvt_f16_f32_e32 v108, v106
	v_cvt_f16_f32_e32 v109, v107
	v_mfma_f32_16x16x16_f16 a[0:3], v[94:95], v[6:7], a[0:3]
	ds_read_u16 v94, v205 offset:17088
	ds_read_u16 v96, v205 offset:17616
	;; [unrolled: 1-line block ×4, first 2 shown]
	v_perm_b32 v108, v109, v108, s42
	s_waitcnt lgkmcnt(2)
	v_perm_b32 v94, v96, v94, s42
	s_nop 0
	v_accvgpr_read_b32 v43, a0
	v_accvgpr_read_b32 v51, a1
	;; [unrolled: 1-line block ×4, first 2 shown]
	v_cvt_f16_f32_e32 v43, v43
	v_cvt_f16_f32_e32 v51, v51
	;; [unrolled: 1-line block ×4, first 2 shown]
	v_cvt_f32_f16_e32 v43, v43
	v_cvt_f32_f16_e32 v51, v51
	;; [unrolled: 1-line block ×4, first 2 shown]
	s_waitcnt lgkmcnt(0)
	v_perm_b32 v95, v97, v95, s42
	v_accvgpr_write_b32 a0, v43
	v_accvgpr_write_b32 a1, v51
	v_accvgpr_write_b32 a2, v53
	v_accvgpr_write_b32 a3, v57
	v_cvt_f32_f16_e32 v96, v48
	v_cvt_f32_f16_sdwa v48, v48 dst_sel:DWORD dst_unused:UNUSED_PAD src0_sel:WORD_1
	v_mfma_f32_16x16x16_f16 a[0:3], v[94:95], v[2:3], a[0:3]
	v_cvt_f32_f16_e32 v97, v0
	v_cvt_f32_f16_sdwa v0, v0 dst_sel:DWORD dst_unused:UNUSED_PAD src0_sel:WORD_1
	s_nop 5
	v_accvgpr_read_b32 v43, a2
	v_accvgpr_read_b32 v51, a3
	v_cvt_f16_f32_e32 v43, v43
	v_cvt_f16_f32_e32 v51, v51
	v_accvgpr_read_b32 v110, a0
	v_accvgpr_read_b32 v111, a1
	v_accvgpr_write_b32 a0, v96
	v_perm_b32 v43, v51, v43, s42
	ds_read_u16 v51, v205 offset:224
	ds_read_u16 v53, v205 offset:752
	;; [unrolled: 1-line block ×4, first 2 shown]
	v_accvgpr_write_b32 a1, v48
	v_accvgpr_write_b32 a2, v97
	;; [unrolled: 1-line block ×3, first 2 shown]
	v_cvt_f32_f16_sdwa v97, v36 dst_sel:DWORD dst_unused:UNUSED_PAD src0_sel:WORD_1
	s_waitcnt lgkmcnt(0)
	v_perm_b32 v95, v94, v57, s42
	v_perm_b32 v94, v53, v51, s42
	v_cvt_f16_f32_e32 v112, v110
	v_cvt_f16_f32_e32 v113, v111
	v_mfma_f32_16x16x16_f16 a[0:3], v[94:95], v[6:7], a[0:3]
	ds_read_u16 v57, v205 offset:17120
	ds_read_u16 v94, v205 offset:17648
	;; [unrolled: 1-line block ×4, first 2 shown]
	s_waitcnt lgkmcnt(2)
	v_perm_b32 v94, v94, v57, s42
	s_nop 1
	v_accvgpr_read_b32 v0, a0
	v_accvgpr_read_b32 v48, a1
	;; [unrolled: 1-line block ×4, first 2 shown]
	v_cvt_f16_f32_e32 v0, v0
	v_cvt_f16_f32_e32 v48, v48
	;; [unrolled: 1-line block ×4, first 2 shown]
	v_cvt_f32_f16_e32 v0, v0
	v_cvt_f32_f16_e32 v48, v48
	;; [unrolled: 1-line block ×4, first 2 shown]
	s_waitcnt lgkmcnt(0)
	v_perm_b32 v95, v96, v95, s42
	v_accvgpr_write_b32 a0, v0
	v_accvgpr_write_b32 a1, v48
	;; [unrolled: 1-line block ×4, first 2 shown]
	v_cvt_f32_f16_e32 v57, v37
	v_cvt_f32_f16_e32 v96, v36
	v_mfma_f32_16x16x16_f16 a[0:3], v[94:95], v[2:3], a[0:3]
	v_cvt_f32_f16_sdwa v95, v37 dst_sel:DWORD dst_unused:UNUSED_PAD src0_sel:WORD_1
	s_nop 6
	v_accvgpr_read_b32 v0, a2
	v_accvgpr_read_b32 v48, a3
	v_cvt_f16_f32_e32 v0, v0
	v_cvt_f16_f32_e32 v48, v48
	v_accvgpr_read_b32 v114, a0
	v_accvgpr_read_b32 v115, a1
	v_accvgpr_write_b32 a0, v57
	v_perm_b32 v48, v48, v0, s42
	ds_read_u16 v0, v205 offset:256
	ds_read_u16 v51, v205 offset:784
	;; [unrolled: 1-line block ×4, first 2 shown]
	v_accvgpr_write_b32 a1, v95
	v_accvgpr_write_b32 a2, v96
	s_waitcnt lgkmcnt(2)
	v_perm_b32 v36, v51, v0, s42
	v_accvgpr_write_b32 a3, v97
	s_waitcnt lgkmcnt(0)
	v_perm_b32 v37, v94, v53, s42
	ds_read_u16 v53, v205 offset:17152
	ds_read_u16 v57, v205 offset:17680
	;; [unrolled: 1-line block ×4, first 2 shown]
	v_mfma_f32_16x16x16_f16 a[0:3], v[36:37], v[6:7], a[0:3]
	v_cvt_f16_f32_e32 v116, v114
	v_cvt_f16_f32_e32 v117, v115
	s_nop 5
	v_accvgpr_read_b32 v0, a0
	v_accvgpr_read_b32 v36, a1
	;; [unrolled: 1-line block ×4, first 2 shown]
	v_cvt_f16_f32_e32 v0, v0
	v_cvt_f16_f32_e32 v36, v36
	;; [unrolled: 1-line block ×4, first 2 shown]
	v_cvt_f32_f16_e32 v0, v0
	v_cvt_f32_f16_e32 v96, v36
	;; [unrolled: 1-line block ×4, first 2 shown]
	s_waitcnt lgkmcnt(0)
	v_perm_b32 v37, v95, v94, s42
	v_perm_b32 v36, v57, v53, s42
	v_accvgpr_write_b32 a0, v0
	v_accvgpr_write_b32 a1, v96
	;; [unrolled: 1-line block ×4, first 2 shown]
	v_cvt_f32_f16_e32 v97, v35
	s_nop 0
	v_mfma_f32_16x16x16_f16 a[0:3], v[36:37], v[2:3], a[0:3]
	s_nop 7
	v_accvgpr_read_b32 v0, a2
	v_accvgpr_read_b32 v51, a3
	v_cvt_f16_f32_e32 v0, v0
	v_cvt_f16_f32_e32 v51, v51
	v_accvgpr_read_b32 v36, a0
	v_accvgpr_read_b32 v37, a1
	v_accvgpr_write_b32 a0, v97
	v_perm_b32 v0, v51, v0, s42
	ds_read_u16 v51, v205 offset:288
	ds_read_u16 v53, v205 offset:816
	ds_read_u16 v57, v205 offset:1344
	ds_read_u16 v96, v206 offset:288
	v_accvgpr_write_b32 a1, v100
	v_accvgpr_write_b32 a2, v118
	s_waitcnt lgkmcnt(2)
	v_perm_b32 v34, v53, v51, s42
	v_accvgpr_write_b32 a3, v119
	s_waitcnt lgkmcnt(0)
	v_perm_b32 v35, v96, v57, s42
	ds_read_u16 v57, v205 offset:17184
	ds_read_u16 v96, v205 offset:17712
	;; [unrolled: 1-line block ×4, first 2 shown]
	v_mfma_f32_16x16x16_f16 a[0:3], v[34:35], v[6:7], a[0:3]
	v_cvt_f16_f32_e32 v94, v36
	v_cvt_f16_f32_e32 v95, v37
	v_perm_b32 v94, v95, v94, s42
	s_nop 4
	v_accvgpr_read_b32 v34, a0
	v_accvgpr_read_b32 v35, a1
	;; [unrolled: 1-line block ×4, first 2 shown]
	v_cvt_f16_f32_e32 v34, v34
	v_cvt_f16_f32_e32 v35, v35
	;; [unrolled: 1-line block ×4, first 2 shown]
	v_cvt_f32_f16_e32 v118, v34
	v_cvt_f32_f16_e32 v119, v35
	;; [unrolled: 1-line block ×4, first 2 shown]
	s_waitcnt lgkmcnt(0)
	v_perm_b32 v35, v100, v97, s42
	v_perm_b32 v34, v96, v57, s42
	v_accvgpr_write_b32 a0, v118
	v_accvgpr_write_b32 a1, v119
	;; [unrolled: 1-line block ×4, first 2 shown]
	v_cvt_f32_f16_e32 v119, v33
	v_perm_b32 v95, v117, v116, s42
	v_mfma_f32_16x16x16_f16 a[0:3], v[34:35], v[2:3], a[0:3]
	s_nop 7
	v_accvgpr_read_b32 v34, a2
	v_accvgpr_read_b32 v51, a3
	v_cvt_f16_f32_e32 v34, v34
	v_cvt_f16_f32_e32 v51, v51
	v_accvgpr_read_b32 v35, a0
	v_accvgpr_read_b32 v96, a1
	v_accvgpr_write_b32 a0, v119
	v_perm_b32 v34, v51, v34, s42
	ds_read_u16 v51, v205 offset:320
	ds_read_u16 v53, v205 offset:848
	;; [unrolled: 1-line block ×4, first 2 shown]
	v_accvgpr_write_b32 a1, v120
	v_accvgpr_write_b32 a2, v121
	s_waitcnt lgkmcnt(2)
	v_perm_b32 v32, v53, v51, s42
	v_accvgpr_write_b32 a3, v122
	s_waitcnt lgkmcnt(0)
	v_perm_b32 v33, v118, v57, s42
	ds_read_u16 v57, v205 offset:17216
	ds_read_u16 v118, v205 offset:17744
	;; [unrolled: 1-line block ×4, first 2 shown]
	v_mfma_f32_16x16x16_f16 a[0:3], v[32:33], v[6:7], a[0:3]
	v_cvt_f16_f32_e32 v97, v35
	v_cvt_f16_f32_e32 v100, v96
	v_perm_b32 v97, v100, v97, s42
	s_nop 4
	v_accvgpr_read_b32 v32, a0
	v_accvgpr_read_b32 v33, a1
	;; [unrolled: 1-line block ×4, first 2 shown]
	v_cvt_f16_f32_e32 v32, v32
	v_cvt_f16_f32_e32 v33, v33
	;; [unrolled: 1-line block ×4, first 2 shown]
	v_cvt_f32_f16_e32 v121, v32
	v_cvt_f32_f16_e32 v122, v33
	;; [unrolled: 1-line block ×4, first 2 shown]
	s_waitcnt lgkmcnt(0)
	v_perm_b32 v33, v120, v119, s42
	v_perm_b32 v32, v118, v57, s42
	v_accvgpr_write_b32 a0, v121
	v_accvgpr_write_b32 a1, v122
	;; [unrolled: 1-line block ×4, first 2 shown]
	v_cvt_f32_f16_e32 v122, v31
	v_perm_b32 v100, v113, v112, s42
	v_mfma_f32_16x16x16_f16 a[0:3], v[32:33], v[2:3], a[0:3]
	s_nop 7
	v_accvgpr_read_b32 v32, a2
	v_accvgpr_read_b32 v51, a3
	v_cvt_f16_f32_e32 v32, v32
	v_cvt_f16_f32_e32 v51, v51
	v_accvgpr_read_b32 v33, a0
	v_accvgpr_read_b32 v118, a1
	v_accvgpr_write_b32 a0, v122
	v_perm_b32 v32, v51, v32, s42
	ds_read_u16 v51, v205 offset:352
	ds_read_u16 v53, v205 offset:880
	;; [unrolled: 1-line block ×4, first 2 shown]
	v_accvgpr_write_b32 a1, v123
	v_accvgpr_write_b32 a2, v124
	s_waitcnt lgkmcnt(2)
	v_perm_b32 v30, v53, v51, s42
	v_accvgpr_write_b32 a3, v125
	s_waitcnt lgkmcnt(0)
	v_perm_b32 v31, v121, v57, s42
	ds_read_u16 v57, v205 offset:17248
	ds_read_u16 v121, v205 offset:17776
	;; [unrolled: 1-line block ×4, first 2 shown]
	v_mfma_f32_16x16x16_f16 a[0:3], v[30:31], v[6:7], a[0:3]
	v_cvt_f16_f32_e32 v119, v33
	v_cvt_f16_f32_e32 v120, v118
	v_perm_b32 v119, v120, v119, s42
	s_nop 4
	v_accvgpr_read_b32 v30, a0
	v_accvgpr_read_b32 v31, a1
	;; [unrolled: 1-line block ×4, first 2 shown]
	v_cvt_f16_f32_e32 v30, v30
	v_cvt_f16_f32_e32 v31, v31
	v_cvt_f16_f32_e32 v51, v51
	v_cvt_f16_f32_e32 v53, v53
	v_cvt_f32_f16_e32 v124, v30
	v_cvt_f32_f16_e32 v125, v31
	;; [unrolled: 1-line block ×4, first 2 shown]
	s_waitcnt lgkmcnt(0)
	v_perm_b32 v31, v123, v122, s42
	v_perm_b32 v30, v121, v57, s42
	v_accvgpr_write_b32 a0, v124
	v_accvgpr_write_b32 a1, v125
	;; [unrolled: 1-line block ×4, first 2 shown]
	v_cvt_f32_f16_e32 v125, v29
	s_nop 0
	v_mfma_f32_16x16x16_f16 a[0:3], v[30:31], v[2:3], a[0:3]
	s_nop 7
	v_accvgpr_read_b32 v30, a2
	v_accvgpr_read_b32 v51, a3
	v_cvt_f16_f32_e32 v30, v30
	v_cvt_f16_f32_e32 v51, v51
	v_accvgpr_read_b32 v31, a0
	v_accvgpr_read_b32 v121, a1
	v_accvgpr_write_b32 a0, v125
	v_perm_b32 v30, v51, v30, s42
	ds_read_u16 v51, v205 offset:384
	ds_read_u16 v53, v205 offset:912
	;; [unrolled: 1-line block ×4, first 2 shown]
	v_accvgpr_write_b32 a1, v126
	v_accvgpr_write_b32 a2, v127
	s_waitcnt lgkmcnt(2)
	v_perm_b32 v28, v53, v51, s42
	v_accvgpr_write_b32 a3, v135
	s_waitcnt lgkmcnt(0)
	v_perm_b32 v29, v124, v57, s42
	ds_read_u16 v57, v205 offset:17280
	ds_read_u16 v124, v205 offset:17808
	;; [unrolled: 1-line block ×4, first 2 shown]
	v_mfma_f32_16x16x16_f16 a[0:3], v[28:29], v[6:7], a[0:3]
	v_cvt_f16_f32_e32 v122, v31
	v_cvt_f16_f32_e32 v123, v121
	s_nop 5
	v_accvgpr_read_b32 v28, a0
	v_accvgpr_read_b32 v29, a1
	v_accvgpr_read_b32 v51, a2
	v_accvgpr_read_b32 v53, a3
	v_cvt_f16_f32_e32 v28, v28
	v_cvt_f16_f32_e32 v29, v29
	;; [unrolled: 1-line block ×4, first 2 shown]
	v_cvt_f32_f16_e32 v127, v28
	v_cvt_f32_f16_e32 v135, v29
	;; [unrolled: 1-line block ×4, first 2 shown]
	s_waitcnt lgkmcnt(0)
	v_perm_b32 v29, v126, v125, s42
	v_perm_b32 v28, v124, v57, s42
	v_accvgpr_write_b32 a0, v127
	v_accvgpr_write_b32 a1, v135
	v_accvgpr_write_b32 a2, v51
	v_accvgpr_write_b32 a3, v53
	v_cvt_f32_f16_e32 v135, v27
	s_nop 0
	v_mfma_f32_16x16x16_f16 a[0:3], v[28:29], v[2:3], a[0:3]
	s_nop 7
	v_accvgpr_read_b32 v28, a2
	v_accvgpr_read_b32 v57, a3
	v_cvt_f16_f32_e32 v28, v28
	v_cvt_f16_f32_e32 v57, v57
	v_accvgpr_read_b32 v29, a0
	v_accvgpr_read_b32 v124, a1
	v_accvgpr_write_b32 a0, v135
	v_perm_b32 v28, v57, v28, s42
	ds_read_u16 v57, v205 offset:416
	ds_read_u16 v125, v205 offset:944
	;; [unrolled: 1-line block ×4, first 2 shown]
	v_accvgpr_write_b32 a1, v150
	v_accvgpr_write_b32 a2, v151
	s_waitcnt lgkmcnt(2)
	v_perm_b32 v26, v125, v57, s42
	v_accvgpr_write_b32 a3, v152
	s_waitcnt lgkmcnt(0)
	v_perm_b32 v27, v127, v126, s42
	ds_read_u16 v126, v205 offset:17312
	ds_read_u16 v127, v205 offset:17840
	;; [unrolled: 1-line block ×4, first 2 shown]
	v_mfma_f32_16x16x16_f16 a[0:3], v[26:27], v[6:7], a[0:3]
	v_cvt_f16_f32_e32 v51, v29
	v_cvt_f16_f32_e32 v53, v124
	v_perm_b32 v51, v53, v51, s42
	s_nop 4
	v_accvgpr_read_b32 v26, a0
	v_accvgpr_read_b32 v27, a1
	v_accvgpr_read_b32 v57, a2
	v_accvgpr_read_b32 v125, a3
	v_cvt_f16_f32_e32 v26, v26
	v_cvt_f16_f32_e32 v27, v27
	;; [unrolled: 1-line block ×4, first 2 shown]
	v_cvt_f32_f16_e32 v151, v26
	v_cvt_f32_f16_e32 v152, v27
	;; [unrolled: 1-line block ×4, first 2 shown]
	s_waitcnt lgkmcnt(0)
	v_perm_b32 v27, v150, v135, s42
	v_perm_b32 v26, v127, v126, s42
	v_accvgpr_write_b32 a0, v151
	v_accvgpr_write_b32 a1, v152
	;; [unrolled: 1-line block ×4, first 2 shown]
	v_cvt_f32_f16_e32 v152, v25
	v_perm_b32 v53, v123, v122, s42
	v_mfma_f32_16x16x16_f16 a[0:3], v[26:27], v[2:3], a[0:3]
	s_nop 7
	v_accvgpr_read_b32 v26, a2
	v_accvgpr_read_b32 v57, a3
	v_cvt_f16_f32_e32 v26, v26
	v_cvt_f16_f32_e32 v57, v57
	v_accvgpr_read_b32 v27, a0
	v_accvgpr_read_b32 v125, a1
	v_accvgpr_write_b32 a0, v152
	v_perm_b32 v26, v57, v26, s42
	ds_read_u16 v57, v205 offset:448
	ds_read_u16 v135, v205 offset:976
	;; [unrolled: 1-line block ×4, first 2 shown]
	v_accvgpr_write_b32 a1, v153
	v_accvgpr_write_b32 a2, v154
	s_waitcnt lgkmcnt(2)
	v_perm_b32 v24, v135, v57, s42
	v_accvgpr_write_b32 a3, v155
	s_waitcnt lgkmcnt(0)
	v_perm_b32 v25, v151, v150, s42
	ds_read_u16 v150, v205 offset:17344
	ds_read_u16 v151, v205 offset:17872
	;; [unrolled: 1-line block ×4, first 2 shown]
	v_mfma_f32_16x16x16_f16 a[0:3], v[24:25], v[6:7], a[0:3]
	v_cvt_f16_f32_e32 v126, v27
	v_cvt_f16_f32_e32 v127, v125
	s_nop 5
	v_accvgpr_read_b32 v24, a0
	v_accvgpr_read_b32 v25, a1
	;; [unrolled: 1-line block ×4, first 2 shown]
	v_cvt_f16_f32_e32 v24, v24
	v_cvt_f16_f32_e32 v25, v25
	;; [unrolled: 1-line block ×4, first 2 shown]
	v_cvt_f32_f16_e32 v154, v24
	v_cvt_f32_f16_e32 v155, v25
	;; [unrolled: 1-line block ×4, first 2 shown]
	s_waitcnt lgkmcnt(0)
	v_perm_b32 v25, v153, v152, s42
	v_perm_b32 v24, v151, v150, s42
	v_accvgpr_write_b32 a0, v154
	v_accvgpr_write_b32 a1, v155
	;; [unrolled: 1-line block ×4, first 2 shown]
	v_cvt_f32_f16_e32 v155, v23
	s_nop 0
	v_mfma_f32_16x16x16_f16 a[0:3], v[24:25], v[2:3], a[0:3]
	s_nop 7
	v_accvgpr_read_b32 v24, a2
	v_accvgpr_read_b32 v151, a3
	v_cvt_f16_f32_e32 v24, v24
	v_cvt_f16_f32_e32 v151, v151
	v_accvgpr_read_b32 v25, a0
	v_accvgpr_read_b32 v57, a1
	v_accvgpr_write_b32 a0, v155
	v_perm_b32 v24, v151, v24, s42
	ds_read_u16 v151, v205 offset:480
	ds_read_u16 v152, v205 offset:1008
	ds_read_u16 v153, v205 offset:1536
	ds_read_u16 v154, v206 offset:480
	v_accvgpr_write_b32 a1, v156
	v_accvgpr_write_b32 a2, v157
	s_waitcnt lgkmcnt(2)
	v_perm_b32 v22, v152, v151, s42
	v_accvgpr_write_b32 a3, v158
	s_waitcnt lgkmcnt(0)
	v_perm_b32 v23, v154, v153, s42
	v_cvt_f16_f32_e32 v135, v25
	v_cvt_f16_f32_e32 v150, v57
	v_mfma_f32_16x16x16_f16 a[0:3], v[22:23], v[6:7], a[0:3]
	s_nop 7
	v_accvgpr_read_b32 v23, a3
	v_accvgpr_read_b32 v6, a0
	;; [unrolled: 1-line block ×4, first 2 shown]
	v_cvt_f16_f32_e32 v151, v23
	ds_read_u16 v23, v205 offset:17376
	ds_read_u16 v152, v205 offset:17904
	;; [unrolled: 1-line block ×4, first 2 shown]
	v_cvt_f16_f32_e32 v6, v6
	v_cvt_f16_f32_e32 v7, v7
	;; [unrolled: 1-line block ×3, first 2 shown]
	v_cvt_f32_f16_e32 v151, v151
	v_cvt_f32_f16_e32 v155, v6
	;; [unrolled: 1-line block ×4, first 2 shown]
	s_waitcnt lgkmcnt(0)
	v_perm_b32 v7, v154, v153, s42
	v_perm_b32 v6, v152, v23, s42
	v_accvgpr_write_b32 a0, v155
	v_accvgpr_write_b32 a1, v156
	;; [unrolled: 1-line block ×4, first 2 shown]
	s_barrier
	s_nop 0
	v_mfma_f32_16x16x16_f16 a[0:3], v[6:7], v[2:3], a[0:3]
	s_nop 7
	v_accvgpr_read_b32 v2, a0
	v_accvgpr_read_b32 v3, a1
	;; [unrolled: 1-line block ×4, first 2 shown]
	v_cvt_f16_f32_e32 v7, v2
	v_cvt_f16_f32_e32 v22, v3
	;; [unrolled: 1-line block ×4, first 2 shown]
	v_perm_b32 v7, v22, v7, s42
	v_perm_b32 v22, v150, v135, s42
	;; [unrolled: 1-line block ×4, first 2 shown]
	s_and_saveexec_b64 s[44:45], s[46:47]
	s_cbranch_execz .LBB30_149
; %bb.148:                              ;   in Loop: Header=BB30_14 Depth=1
	global_load_dword v13, v[130:131], off
	v_cvt_pk_f16_f32 v3, v2, v3
	v_max_f32_e32 v20, v14, v14
	v_cvt_pk_f16_f32 v22, v36, v37
	v_cvt_pk_f16_f32 v23, v35, v96
	;; [unrolled: 1-line block ×15, first 2 shown]
	s_waitcnt vmcnt(0)
	v_max_f32_e32 v2, v13, v13
	v_max_f32_e32 v2, v20, v2
	v_sub_f32_e32 v14, v14, v2
	v_mul_f32_e32 v20, 0x3fb8aa3b, v14
	v_fma_f32 v35, v14, s88, -v20
	v_rndne_f32_e32 v36, v20
	v_fmac_f32_e32 v35, 0x32a5705f, v14
	v_sub_f32_e32 v20, v20, v36
	v_add_f32_e32 v20, v20, v35
	v_exp_f32_e32 v20, v20
	v_cvt_i32_f32_e32 v35, v36
	v_cmp_ngt_f32_e32 vcc, s91, v14
	v_ldexp_f32 v20, v20, v35
	s_nop 0
	v_cndmask_b32_e32 v20, 0, v20, vcc
	v_cmp_nlt_f32_e32 vcc, s97, v14
	v_sub_f32_e32 v35, v13, v2
	s_nop 0
	v_cndmask_b32_e32 v20, v99, v20, vcc
	v_cmp_le_f32_e32 vcc, s5, v14
	s_nop 1
	v_cndmask_b32_e32 v14, 0, v20, vcc
	v_cvt_f16_f32_e32 v13, v14
	v_cmp_ngt_f32_e32 vcc, s91, v35
	v_mul_u32_u24_e32 v36, 0x10001, v13
	v_pk_mul_f16 v41, v7, v36
	v_pk_mul_f16 v7, v3, v36
	v_mul_f32_e32 v3, 0x3fb8aa3b, v35
	v_pk_mul_f16 v13, v4, v36
	v_pk_mul_f16 v20, v5, v36
	v_fma_f32 v4, v35, s88, -v3
	v_rndne_f32_e32 v5, v3
	v_fmac_f32_e32 v4, 0x32a5705f, v35
	v_sub_f32_e32 v3, v3, v5
	v_add_f32_e32 v3, v3, v4
	v_exp_f32_e32 v3, v3
	v_cvt_i32_f32_e32 v4, v5
	v_pk_mul_f16 v1, v1, v36
	v_pk_mul_f16 v8, v8, v36
	;; [unrolled: 1-line block ×3, first 2 shown]
	v_ldexp_f32 v3, v3, v4
	v_cndmask_b32_e32 v3, 0, v3, vcc
	v_cmp_nlt_f32_e32 vcc, s97, v35
	v_pk_mul_f16 v46, v12, v36
	v_pk_mul_f16 v11, v11, v36
	v_cndmask_b32_e32 v3, v99, v3, vcc
	v_fmac_f32_e32 v3, v15, v14
	v_pk_mul_f16 v104, v16, v36
	v_pk_mul_f16 v17, v17, v36
	;; [unrolled: 1-line block ×23, first 2 shown]
	v_mov_b64_e32 v[14:15], v[2:3]
.LBB30_149:                             ;   in Loop: Header=BB30_14 Depth=1
	s_or_b64 exec, exec, s[44:45]
	s_mov_b64 s[44:45], exec
	v_readlane_b32 s46, v255, 0
	v_readlane_b32 s47, v255, 1
	s_and_b64 s[46:47], s[44:45], s[46:47]
	v_readlane_b32 s86, v255, 6
	v_readlane_b32 s87, v255, 7
	s_mov_b64 exec, s[46:47]
; %bb.150:                              ;   in Loop: Header=BB30_14 Depth=1
	v_accvgpr_read_b32 v2, a48
	v_add_u32_e32 v2, 0, v2
	ds_write2_b32 v2, v14, v15 offset0:128 offset1:129
; %bb.151:                              ;   in Loop: Header=BB30_14 Depth=1
	s_or_b64 exec, exec, s[44:45]
	s_waitcnt lgkmcnt(0)
	s_barrier
	s_mov_b64 s[44:45], exec
	v_readlane_b32 s46, v254, 53
	v_readlane_b32 s47, v254, 54
	s_and_b64 s[46:47], s[44:45], s[46:47]
	s_xor_b64 s[44:45], s[46:47], s[44:45]
	s_mov_b64 exec, s[46:47]
	s_cbranch_execz .LBB30_153
; %bb.152:                              ;   in Loop: Header=BB30_14 Depth=1
	s_barrier
                                        ; implicit-def: $vgpr9
.LBB30_153:                             ;   in Loop: Header=BB30_14 Depth=1
	s_andn2_saveexec_b64 s[44:45], s[44:45]
	s_cbranch_execz .LBB30_159
; %bb.154:                              ;   in Loop: Header=BB30_14 Depth=1
	v_accvgpr_read_b32 v2, a49
	v_add_u32_e32 v3, 0, v2
	ds_read_b64 v[14:15], v3 offset:512
	s_waitcnt lgkmcnt(0)
	s_barrier
	ds_bpermute_b32 v2, v9, v14
	v_max_f32_e32 v4, v14, v14
	s_waitcnt lgkmcnt(0)
	v_max_f32_e32 v2, v2, v2
	v_max_f32_e32 v2, v4, v2
	v_sub_f32_e32 v4, v14, v2
	v_mul_f32_e32 v5, 0x3fb8aa3b, v4
	v_fma_f32 v12, v4, s88, -v5
	v_rndne_f32_e32 v14, v5
	v_fmac_f32_e32 v12, 0x32a5705f, v4
	v_sub_f32_e32 v5, v5, v14
	v_add_f32_e32 v5, v5, v12
	v_cvt_i32_f32_e32 v14, v14
	v_exp_f32_e32 v5, v5
	v_cmp_ngt_f32_e32 vcc, s91, v4
	v_ldexp_f32 v5, v5, v14
	s_nop 0
	v_cndmask_b32_e32 v5, 0, v5, vcc
	v_cmp_nlt_f32_e32 vcc, s97, v4
	s_nop 1
	v_cndmask_b32_e32 v4, v99, v5, vcc
	v_mul_f32_e32 v5, v15, v4
	ds_bpermute_b32 v5, v9, v5
	s_waitcnt lgkmcnt(0)
	v_fmac_f32_e32 v5, v15, v4
	s_mov_b64 s[46:47], exec
	v_readlane_b32 s48, v255, 2
	v_readlane_b32 s49, v255, 3
	s_and_b64 s[48:49], s[46:47], s[48:49]
	s_mov_b64 exec, s[48:49]
; %bb.155:                              ;   in Loop: Header=BB30_14 Depth=1
	ds_write_b64 v3, v[4:5] offset:512
; %bb.156:                              ;   in Loop: Header=BB30_14 Depth=1
	s_or_b64 exec, exec, s[46:47]
	s_mov_b64 s[46:47], exec
	v_readlane_b32 s48, v255, 0
	v_readlane_b32 s49, v255, 1
	s_and_b64 s[48:49], s[46:47], s[48:49]
	s_mov_b64 exec, s[48:49]
	s_cbranch_execz .LBB30_158
; %bb.157:                              ;   in Loop: Header=BB30_14 Depth=1
	v_mov_b32_e32 v3, v5
	v_accvgpr_read_b32 v4, a82
	v_accvgpr_read_b32 v5, a83
	global_store_dwordx2 v[4:5], v[2:3], off
.LBB30_158:                             ;   in Loop: Header=BB30_14 Depth=1
	s_or_b64 exec, exec, s[46:47]
.LBB30_159:                             ;   in Loop: Header=BB30_14 Depth=1
	s_or_b64 exec, exec, s[44:45]
	ds_write2_b32 v207, v13, v1 offset1:1
	ds_write2_b32 v207, v20, v8 offset0:8 offset1:9
	ds_write2_b32 v207, v41, v10 offset0:16 offset1:17
	;; [unrolled: 1-line block ×15, first 2 shown]
	s_waitcnt lgkmcnt(0)
	s_barrier
	s_and_saveexec_b64 s[44:45], s[50:51]
	s_cbranch_execz .LBB30_237
; %bb.160:                              ;   in Loop: Header=BB30_14 Depth=1
	v_accvgpr_read_b32 v0, a27
	v_add_u32_e32 v0, v0, v102
	v_cmp_gt_i32_e32 vcc, s96, v0
	v_mov_b32_e32 v1, 0x47
	s_and_saveexec_b64 s[46:47], vcc
	s_cbranch_execz .LBB30_162
; %bb.161:                              ;   in Loop: Header=BB30_14 Depth=1
	v_accvgpr_read_b32 v1, a50
	ds_read2st64_b32 v[2:3], v1 offset0:2 offset1:35
	v_accvgpr_read_b32 v1, a66
	ds_read2st64_b32 v[4:5], v1 offset1:1
	ds_read2st64_b32 v[6:7], v1 offset0:33 offset1:34
	v_readlane_b32 s48, v254, 59
	s_waitcnt lgkmcnt(1)
	v_cvt_f32_f16_sdwa v9, v4 dst_sel:DWORD dst_unused:UNUSED_PAD src0_sel:WORD_1
	v_cvt_f32_f16_e32 v8, v4
	s_waitcnt lgkmcnt(0)
	v_cvt_f32_f16_sdwa v11, v6 dst_sel:DWORD dst_unused:UNUSED_PAD src0_sel:WORD_1
	v_cvt_f32_f16_e32 v10, v6
	v_mad_u64_u32 v[0:1], s[48:49], s48, v0, v[52:53]
	v_ashrrev_i32_e32 v1, 31, v0
	v_pk_fma_f32 v[8:9], v[2:3], v[8:9], 0 op_sel_hi:[0,1,0]
	v_mov_b32_e32 v4, v3
	v_lshl_add_u64 v[0:1], v[0:1], 3, v[128:129]
	v_pk_fma_f32 v[8:9], v[4:5], v[10:11], v[8:9] op_sel_hi:[0,1,1]
	global_store_dwordx2 v[0:1], v[8:9], off
	v_cvt_f32_f16_sdwa v9, v5 dst_sel:DWORD dst_unused:UNUSED_PAD src0_sel:WORD_1
	v_cvt_f32_f16_e32 v8, v5
	v_pk_fma_f32 v[2:3], v[2:3], v[8:9], 0 op_sel_hi:[0,1,0]
	v_cvt_f32_f16_sdwa v9, v7 dst_sel:DWORD dst_unused:UNUSED_PAD src0_sel:WORD_1
	v_cvt_f32_f16_e32 v8, v7
	v_pk_fma_f32 v[2:3], v[4:5], v[8:9], v[2:3] op_sel_hi:[0,1,1]
	global_store_dwordx2 v[0:1], v[2:3], off offset:512
	v_mov_b32_e32 v1, 0
.LBB30_162:                             ;   in Loop: Header=BB30_14 Depth=1
	s_or_b64 exec, exec, s[46:47]
	s_movk_i32 s46, 0x47
	v_cmp_gt_i32_e32 vcc, s46, v1
	s_mov_b64 s[46:47], -1
	s_and_saveexec_b64 s[48:49], vcc
; %bb.163:                              ;   in Loop: Header=BB30_14 Depth=1
	v_cmp_eq_u32_e32 vcc, 0, v1
	s_orn2_b64 s[46:47], vcc, exec
; %bb.164:                              ;   in Loop: Header=BB30_14 Depth=1
	s_or_b64 exec, exec, s[48:49]
	s_and_b64 exec, exec, s[46:47]
	s_cbranch_execz .LBB30_237
; %bb.165:                              ;   in Loop: Header=BB30_14 Depth=1
	v_accvgpr_read_b32 v0, a28
	v_add_u32_e32 v0, v0, v102
	v_cmp_gt_i32_e32 vcc, s96, v0
	v_mov_b32_e32 v1, 0x47
	s_and_saveexec_b64 s[46:47], vcc
	s_cbranch_execz .LBB30_167
; %bb.166:                              ;   in Loop: Header=BB30_14 Depth=1
	v_accvgpr_read_b32 v1, a51
	ds_read2st64_b32 v[2:3], v1 offset0:2 offset1:35
	v_accvgpr_read_b32 v1, a67
	ds_read2st64_b32 v[4:5], v1 offset1:1
	ds_read2st64_b32 v[6:7], v1 offset0:33 offset1:34
	v_readlane_b32 s48, v254, 59
	s_waitcnt lgkmcnt(1)
	v_cvt_f32_f16_sdwa v9, v4 dst_sel:DWORD dst_unused:UNUSED_PAD src0_sel:WORD_1
	v_cvt_f32_f16_e32 v8, v4
	s_waitcnt lgkmcnt(0)
	v_cvt_f32_f16_sdwa v11, v6 dst_sel:DWORD dst_unused:UNUSED_PAD src0_sel:WORD_1
	v_cvt_f32_f16_e32 v10, v6
	v_mad_u64_u32 v[0:1], s[48:49], s48, v0, v[52:53]
	v_ashrrev_i32_e32 v1, 31, v0
	v_pk_fma_f32 v[8:9], v[2:3], v[8:9], 0 op_sel_hi:[0,1,0]
	v_mov_b32_e32 v4, v3
	v_lshl_add_u64 v[0:1], v[0:1], 3, v[128:129]
	v_pk_fma_f32 v[8:9], v[4:5], v[10:11], v[8:9] op_sel_hi:[0,1,1]
	global_store_dwordx2 v[0:1], v[8:9], off
	v_cvt_f32_f16_sdwa v9, v5 dst_sel:DWORD dst_unused:UNUSED_PAD src0_sel:WORD_1
	v_cvt_f32_f16_e32 v8, v5
	v_pk_fma_f32 v[2:3], v[2:3], v[8:9], 0 op_sel_hi:[0,1,0]
	v_cvt_f32_f16_sdwa v9, v7 dst_sel:DWORD dst_unused:UNUSED_PAD src0_sel:WORD_1
	v_cvt_f32_f16_e32 v8, v7
	v_pk_fma_f32 v[2:3], v[4:5], v[8:9], v[2:3] op_sel_hi:[0,1,1]
	global_store_dwordx2 v[0:1], v[2:3], off offset:512
	v_mov_b32_e32 v1, 0
.LBB30_167:                             ;   in Loop: Header=BB30_14 Depth=1
	s_or_b64 exec, exec, s[46:47]
	s_movk_i32 s46, 0x47
	v_cmp_gt_i32_e32 vcc, s46, v1
	s_mov_b64 s[46:47], -1
	s_and_saveexec_b64 s[48:49], vcc
; %bb.168:                              ;   in Loop: Header=BB30_14 Depth=1
	v_cmp_eq_u32_e32 vcc, 0, v1
	s_orn2_b64 s[46:47], vcc, exec
; %bb.169:                              ;   in Loop: Header=BB30_14 Depth=1
	s_or_b64 exec, exec, s[48:49]
	s_and_b64 exec, exec, s[46:47]
	;; [unrolled: 48-line block ×15, first 2 shown]
	s_cbranch_execz .LBB30_237
; %bb.235:                              ;   in Loop: Header=BB30_14 Depth=1
	v_accvgpr_read_b32 v0, a42
	v_add_u32_e32 v0, v0, v102
	v_cmp_gt_i32_e32 vcc, s96, v0
	s_and_b64 exec, exec, vcc
	s_cbranch_execz .LBB30_237
; %bb.236:                              ;   in Loop: Header=BB30_14 Depth=1
	v_accvgpr_read_b32 v1, a65
	ds_read2st64_b32 v[2:3], v1 offset0:2 offset1:35
	v_accvgpr_read_b32 v1, a81
	ds_read2st64_b32 v[4:5], v1 offset1:1
	ds_read2st64_b32 v[6:7], v1 offset0:33 offset1:34
	v_readlane_b32 s46, v254, 59
	s_waitcnt lgkmcnt(1)
	v_cvt_f32_f16_sdwa v9, v4 dst_sel:DWORD dst_unused:UNUSED_PAD src0_sel:WORD_1
	v_cvt_f32_f16_e32 v8, v4
	s_waitcnt lgkmcnt(0)
	v_cvt_f32_f16_sdwa v11, v6 dst_sel:DWORD dst_unused:UNUSED_PAD src0_sel:WORD_1
	v_cvt_f32_f16_e32 v10, v6
	v_mad_u64_u32 v[0:1], s[46:47], s46, v0, v[52:53]
	v_ashrrev_i32_e32 v1, 31, v0
	v_pk_fma_f32 v[8:9], v[2:3], v[8:9], 0 op_sel_hi:[0,1,0]
	v_mov_b32_e32 v4, v3
	v_lshl_add_u64 v[0:1], v[0:1], 3, v[128:129]
	v_pk_fma_f32 v[8:9], v[4:5], v[10:11], v[8:9] op_sel_hi:[0,1,1]
	global_store_dwordx2 v[0:1], v[8:9], off
	v_cvt_f32_f16_sdwa v9, v5 dst_sel:DWORD dst_unused:UNUSED_PAD src0_sel:WORD_1
	v_cvt_f32_f16_e32 v8, v5
	v_pk_fma_f32 v[2:3], v[2:3], v[8:9], 0 op_sel_hi:[0,1,0]
	v_cvt_f32_f16_sdwa v9, v7 dst_sel:DWORD dst_unused:UNUSED_PAD src0_sel:WORD_1
	v_cvt_f32_f16_e32 v8, v7
	v_pk_fma_f32 v[2:3], v[4:5], v[8:9], v[2:3] op_sel_hi:[0,1,1]
	global_store_dwordx2 v[0:1], v[2:3], off offset:512
.LBB30_237:                             ;   in Loop: Header=BB30_14 Depth=1
	s_or_b64 exec, exec, s[44:45]
	s_barrier
	s_branch .LBB30_13
.LBB30_238:                             ;   in Loop: Header=BB30_14 Depth=1
	v_cmp_le_i32_e32 vcc, s96, v103
	s_and_saveexec_b64 s[44:45], vcc
	s_xor_b64 s[44:45], exec, s[44:45]
; %bb.239:                              ;   in Loop: Header=BB30_14 Depth=1
	v_add_u32_e32 v0, v251, v222
	ds_write2st64_b32 v0, v55, v55 offset1:1
; %bb.240:                              ;   in Loop: Header=BB30_14 Depth=1
	s_andn2_saveexec_b64 s[44:45], s[44:45]
	s_cbranch_execz .LBB30_242
; %bb.241:                              ;   in Loop: Header=BB30_14 Depth=1
	v_mad_u64_u32 v[0:1], s[46:47], v103, s90, v[52:53]
	v_ashrrev_i32_e32 v1, 31, v0
	v_lshl_add_u64 v[0:1], v[0:1], 3, v[148:149]
	global_load_dwordx2 v[2:3], v[0:1], off
	s_nop 0
	global_load_dwordx2 v[0:1], v[0:1], off offset:512
	s_waitcnt vmcnt(1)
	v_cvt_pk_f16_f32 v2, v2, v3
	s_waitcnt vmcnt(0)
	v_cvt_pk_f16_f32 v0, v0, v1
	v_pk_mul_f16 v1, v2, v219
	v_pk_mul_f16 v0, v0, v219
	v_accvgpr_read_b32 v2, a91
	ds_write2st64_b32 v2, v1, v0 offset1:1
.LBB30_242:                             ;   in Loop: Header=BB30_14 Depth=1
	s_or_b64 exec, exec, s[44:45]
	v_add_u32_e32 v105, v235, v102
	v_cmp_le_i32_e32 vcc, s96, v105
	s_and_saveexec_b64 s[44:45], vcc
	s_xor_b64 s[44:45], exec, s[44:45]
; %bb.243:                              ;   in Loop: Header=BB30_14 Depth=1
	v_add_u32_e32 v0, v251, v222
	v_add_u32_e32 v0, 64, v0
	ds_write2st64_b32 v0, v55, v55 offset0:8 offset1:9
; %bb.244:                              ;   in Loop: Header=BB30_14 Depth=1
	s_andn2_saveexec_b64 s[44:45], s[44:45]
	s_cbranch_execz .LBB30_246
; %bb.245:                              ;   in Loop: Header=BB30_14 Depth=1
	v_mad_u64_u32 v[0:1], s[46:47], v105, s90, v[52:53]
	v_ashrrev_i32_e32 v1, 31, v0
	v_lshl_add_u64 v[0:1], v[0:1], 3, v[148:149]
	global_load_dwordx2 v[2:3], v[0:1], off
	s_nop 0
	global_load_dwordx2 v[0:1], v[0:1], off offset:512
	s_waitcnt vmcnt(1)
	v_cvt_pk_f16_f32 v2, v2, v3
	s_waitcnt vmcnt(0)
	v_cvt_pk_f16_f32 v0, v0, v1
	v_pk_mul_f16 v1, v2, v219
	v_pk_mul_f16 v0, v0, v219
	v_accvgpr_read_b32 v2, a92
	ds_write2st64_b32 v2, v1, v0 offset1:1
.LBB30_246:                             ;   in Loop: Header=BB30_14 Depth=1
	s_or_b64 exec, exec, s[44:45]
	v_add_u32_e32 v106, v234, v102
	v_cmp_le_i32_e32 vcc, s96, v106
	s_and_saveexec_b64 s[44:45], vcc
	s_xor_b64 s[44:45], exec, s[44:45]
; %bb.247:                              ;   in Loop: Header=BB30_14 Depth=1
	v_add_u32_e32 v0, v251, v222
	v_add_u32_e32 v0, 0x80, v0
	ds_write2st64_b32 v0, v55, v55 offset0:16 offset1:17
	;; [unrolled: 28-line block ×3, first 2 shown]
; %bb.252:                              ;   in Loop: Header=BB30_14 Depth=1
	s_andn2_saveexec_b64 s[44:45], s[44:45]
	s_cbranch_execz .LBB30_254
; %bb.253:                              ;   in Loop: Header=BB30_14 Depth=1
	v_mad_u64_u32 v[0:1], s[46:47], v109, s90, v[52:53]
	v_ashrrev_i32_e32 v1, 31, v0
	v_lshl_add_u64 v[0:1], v[0:1], 3, v[148:149]
	global_load_dwordx2 v[2:3], v[0:1], off
	s_nop 0
	global_load_dwordx2 v[0:1], v[0:1], off offset:512
	s_waitcnt vmcnt(1)
	v_cvt_pk_f16_f32 v2, v2, v3
	s_waitcnt vmcnt(0)
	v_cvt_pk_f16_f32 v0, v0, v1
	v_pk_mul_f16 v1, v2, v219
	v_pk_mul_f16 v0, v0, v219
	v_accvgpr_read_b32 v2, a94
	ds_write2st64_b32 v2, v1, v0 offset1:1
.LBB30_254:                             ;   in Loop: Header=BB30_14 Depth=1
	s_or_b64 exec, exec, s[44:45]
	v_add_u32_e32 v104, v231, v102
	v_cmp_le_i32_e32 vcc, s96, v104
	s_and_saveexec_b64 s[44:45], vcc
	s_xor_b64 s[44:45], exec, s[44:45]
; %bb.255:                              ;   in Loop: Header=BB30_14 Depth=1
	v_add_u32_e32 v0, v251, v222
	ds_write2st64_b32 v0, v55, v55 offset0:33 offset1:34
; %bb.256:                              ;   in Loop: Header=BB30_14 Depth=1
	s_andn2_saveexec_b64 s[44:45], s[44:45]
	s_cbranch_execz .LBB30_258
; %bb.257:                              ;   in Loop: Header=BB30_14 Depth=1
	v_mad_u64_u32 v[0:1], s[46:47], v104, s90, v[52:53]
	v_ashrrev_i32_e32 v1, 31, v0
	v_lshl_add_u64 v[0:1], v[0:1], 3, v[148:149]
	global_load_dwordx2 v[2:3], v[0:1], off
	s_nop 0
	global_load_dwordx2 v[0:1], v[0:1], off offset:512
	s_waitcnt vmcnt(1)
	v_cvt_pk_f16_f32 v2, v2, v3
	s_waitcnt vmcnt(0)
	v_cvt_pk_f16_f32 v0, v0, v1
	v_pk_mul_f16 v1, v2, v219
	v_pk_mul_f16 v0, v0, v219
	v_accvgpr_read_b32 v2, a95
	ds_write2st64_b32 v2, v1, v0 offset1:1
.LBB30_258:                             ;   in Loop: Header=BB30_14 Depth=1
	s_or_b64 exec, exec, s[44:45]
	v_add_u32_e32 v107, v229, v102
	v_cmp_le_i32_e32 vcc, s96, v107
	s_and_saveexec_b64 s[44:45], vcc
	s_xor_b64 s[44:45], exec, s[44:45]
; %bb.259:                              ;   in Loop: Header=BB30_14 Depth=1
	v_add_u32_e32 v0, v251, v222
	v_add_u32_e32 v0, 64, v0
	ds_write2st64_b32 v0, v55, v55 offset0:41 offset1:42
; %bb.260:                              ;   in Loop: Header=BB30_14 Depth=1
	s_andn2_saveexec_b64 s[44:45], s[44:45]
	s_cbranch_execz .LBB30_262
; %bb.261:                              ;   in Loop: Header=BB30_14 Depth=1
	v_mad_u64_u32 v[0:1], s[46:47], v107, s90, v[52:53]
	v_ashrrev_i32_e32 v1, 31, v0
	v_lshl_add_u64 v[0:1], v[0:1], 3, v[148:149]
	global_load_dwordx2 v[2:3], v[0:1], off
	s_nop 0
	global_load_dwordx2 v[0:1], v[0:1], off offset:512
	s_waitcnt vmcnt(1)
	v_cvt_pk_f16_f32 v2, v2, v3
	s_waitcnt vmcnt(0)
	v_cvt_pk_f16_f32 v0, v0, v1
	v_pk_mul_f16 v1, v2, v219
	v_pk_mul_f16 v0, v0, v219
	v_accvgpr_read_b32 v2, a96
	ds_write2st64_b32 v2, v1, v0 offset1:1
.LBB30_262:                             ;   in Loop: Header=BB30_14 Depth=1
	s_or_b64 exec, exec, s[44:45]
	v_add_u32_e32 v108, v226, v102
	v_cmp_le_i32_e32 vcc, s96, v108
	s_and_saveexec_b64 s[44:45], vcc
	s_xor_b64 s[44:45], exec, s[44:45]
; %bb.263:                              ;   in Loop: Header=BB30_14 Depth=1
	v_add_u32_e32 v0, v251, v222
	;; [unrolled: 28-line block ×3, first 2 shown]
	v_add_u32_e32 v0, 0xc0, v0
	ds_write2st64_b32 v0, v55, v55 offset0:57 offset1:58
                                        ; implicit-def: $vgpr148_vgpr149
; %bb.268:                              ;   in Loop: Header=BB30_14 Depth=1
	s_andn2_saveexec_b64 s[44:45], s[44:45]
	s_cbranch_execz .LBB30_270
; %bb.269:                              ;   in Loop: Header=BB30_14 Depth=1
	v_mad_u64_u32 v[0:1], s[46:47], v110, s90, v[52:53]
	v_ashrrev_i32_e32 v1, 31, v0
	v_lshl_add_u64 v[0:1], v[0:1], 3, v[148:149]
	global_load_dwordx2 v[2:3], v[0:1], off
	s_nop 0
	global_load_dwordx2 v[0:1], v[0:1], off offset:512
	s_waitcnt vmcnt(1)
	v_cvt_pk_f16_f32 v2, v2, v3
	s_waitcnt vmcnt(0)
	v_cvt_pk_f16_f32 v0, v0, v1
	v_pk_mul_f16 v1, v2, v219
	v_pk_mul_f16 v0, v0, v219
	v_accvgpr_read_b32 v2, a98
	ds_write2st64_b32 v2, v1, v0 offset1:1
.LBB30_270:                             ;   in Loop: Header=BB30_14 Depth=1
	s_or_b64 exec, exec, s[44:45]
	s_waitcnt lgkmcnt(0)
	s_barrier
	ds_read2_b64 v[30:33], v200 offset1:4
	ds_read2_b64 v[26:29], v200 offset0:8 offset1:12
	ds_read2_b64 v[22:25], v200 offset0:16 offset1:20
	;; [unrolled: 1-line block ×7, first 2 shown]
	v_cmp_gt_i32_e32 vcc, 2, v172
	v_accvgpr_write_b32 a44, v237
	v_accvgpr_write_b32 a43, v236
	;; [unrolled: 1-line block ×9, first 2 shown]
	v_cmp_ne_u64_e64 s[44:45], 0, v[136:137]
	s_waitcnt lgkmcnt(0)
	s_barrier
	s_cbranch_vccnz .LBB30_315
; %bb.271:                              ;   in Loop: Header=BB30_14 Depth=1
	v_mul_hi_u32 v34, s68, v106
	v_mul_hi_u32 v35, s68, v109
	;; [unrolled: 1-line block ×4, first 2 shown]
	v_add_u32_e32 v34, v106, v34
	v_add_u32_e32 v35, v109, v35
	;; [unrolled: 1-line block ×4, first 2 shown]
	v_lshrrev_b32_e32 v34, s69, v34
	v_lshrrev_b32_e32 v35, s69, v35
	v_lshrrev_b32_e32 v0, s69, v0
	v_lshrrev_b32_e32 v1, s69, v1
	v_mul_lo_u32 v34, v34, s96
	v_mul_lo_u32 v35, v35, s96
	v_readlane_b32 s46, v255, 4
	v_mul_lo_u32 v0, v0, s96
	v_mul_lo_u32 v1, v1, s96
	v_sub_u32_e32 v34, v106, v34
	v_sub_u32_e32 v35, v109, v35
	v_readlane_b32 s47, v255, 5
	s_mov_b32 s48, s46
	v_sub_u32_e32 v0, v103, v0
	v_sub_u32_e32 v1, v105, v1
	v_mad_i64_i32 v[154:155], s[46:47], s48, v34, v[136:137]
	v_mad_i64_i32 v[156:157], s[46:47], s48, v35, v[136:137]
	v_accvgpr_read_b32 v34, a104
	v_mad_i64_i32 v[150:151], s[46:47], s48, v0, v[136:137]
	v_mad_i64_i32 v[152:153], s[46:47], s48, v1, v[136:137]
	v_lshl_add_u64 v[0:1], v[140:141], 0, v[142:143]
	v_accvgpr_read_b32 v35, a105
	v_lshl_add_u64 v[140:141], v[34:35], 0, v[0:1]
	v_accvgpr_read_b32 v34, a106
	v_accvgpr_read_b32 v35, a107
	v_lshl_add_u64 v[142:143], v[34:35], 0, v[0:1]
	v_accvgpr_read_b32 v34, a108
	;; [unrolled: 3-line block ×5, first 2 shown]
	v_accvgpr_read_b32 v35, a115
	v_add_u32_e32 v54, -1, v172
	v_lshl_add_u64 v[172:173], v[34:35], 0, v[0:1]
	v_accvgpr_read_b32 v34, a116
	v_accvgpr_read_b32 v35, a117
	v_lshl_add_u64 v[174:175], v[34:35], 0, v[0:1]
	v_accvgpr_read_b32 v34, a118
	v_accvgpr_read_b32 v35, a119
	v_lshl_add_u64 v[176:177], v[34:35], 0, v[0:1]
	v_accvgpr_read_b32 v34, a120
	v_lshl_add_u64 v[0:1], v[144:145], 0, v[146:147]
	;; [unrolled: 2-line block ×3, first 2 shown]
	v_accvgpr_read_b32 v34, a122
	v_accvgpr_read_b32 v35, a123
	v_lshl_add_u64 v[146:147], v[34:35], 0, v[0:1]
	v_accvgpr_read_b32 v34, a124
	v_accvgpr_read_b32 v35, a125
	v_lshl_add_u64 v[178:179], v[34:35], 0, v[0:1]
	;; [unrolled: 3-line block ×3, first 2 shown]
	v_accvgpr_read_b32 v34, a128
	v_and_b32_e32 v40, 64, v220
	v_accvgpr_read_b32 v35, a129
	v_add_u32_e32 v40, 64, v40
	v_xor_b32_e32 v41, 32, v220
	v_lshl_add_u64 v[182:183], v[34:35], 0, v[0:1]
	v_accvgpr_read_b32 v34, a130
	v_mul_hi_u32 v36, s68, v104
	v_mul_hi_u32 v37, s68, v107
	v_mul_hi_u32 v38, s68, v108
	v_mul_hi_u32 v39, s68, v110
	v_cmp_lt_i32_e32 vcc, v41, v40
	v_accvgpr_read_b32 v35, a131
	v_add_u32_e32 v36, v104, v36
	v_add_u32_e32 v37, v107, v37
	;; [unrolled: 1-line block ×4, first 2 shown]
	v_cndmask_b32_e32 v41, v220, v41, vcc
	v_lshl_add_u64 v[184:185], v[34:35], 0, v[0:1]
	v_accvgpr_read_b32 v34, a132
	v_lshrrev_b32_e32 v36, s69, v36
	v_lshrrev_b32_e32 v37, s69, v37
	v_lshrrev_b32_e32 v38, s69, v38
	v_lshrrev_b32_e32 v39, s69, v39
	v_lshlrev_b32_e32 v111, 2, v41
	v_xor_b32_e32 v41, 16, v220
	v_accvgpr_read_b32 v35, a133
	v_mul_lo_u32 v36, v36, s96
	v_mul_lo_u32 v37, v37, s96
	;; [unrolled: 1-line block ×4, first 2 shown]
	v_cmp_lt_i32_e32 vcc, v41, v40
	v_lshl_add_u64 v[186:187], v[34:35], 0, v[0:1]
	v_accvgpr_read_b32 v34, a134
	v_sub_u32_e32 v36, v104, v36
	v_sub_u32_e32 v37, v107, v37
	;; [unrolled: 1-line block ×4, first 2 shown]
	v_cndmask_b32_e32 v40, v220, v41, vcc
	v_accvgpr_read_b32 v35, a135
	v_lshlrev_b32_e32 v112, 2, v40
	v_mov_b32_e32 v148, v134
	v_mov_b32_e32 v149, v134
	v_mad_i64_i32 v[158:159], s[46:47], s48, v36, v[136:137]
	v_mad_i64_i32 v[160:161], s[46:47], s48, v37, v[136:137]
	;; [unrolled: 1-line block ×4, first 2 shown]
	v_lshl_add_u64 v[188:189], v[34:35], 0, v[0:1]
	v_mov_b32_e32 v114, 0
	v_mov_b32_e32 v53, 0xfeffffff
	;; [unrolled: 1-line block ×35, first 2 shown]
	s_andn2_b64 vcc, exec, s[44:45]
	s_cbranch_vccnz .LBB30_277
.LBB30_272:                             ;   in Loop: Header=BB30_14 Depth=1
	s_and_saveexec_b64 s[46:47], s[0:1]
	s_xor_b64 s[46:47], exec, s[46:47]
	s_cbranch_execz .LBB30_274
; %bb.273:                              ;   in Loop: Header=BB30_14 Depth=1
	ds_write_b16 v227, v55 offset:33792
	ds_write_b16 v218, v55 offset:33792
	;; [unrolled: 1-line block ×4, first 2 shown]
.LBB30_274:                             ;   in Loop: Header=BB30_14 Depth=1
	s_or_saveexec_b64 s[46:47], s[46:47]
	v_mov_b32_e32 v1, 0
	v_mov_b32_e32 v34, 0
	;; [unrolled: 1-line block ×4, first 2 shown]
	s_xor_b64 exec, exec, s[46:47]
	s_cbranch_execz .LBB30_276
; %bb.275:                              ;   in Loop: Header=BB30_14 Depth=1
	v_lshl_add_u64 v[34:35], v[150:151], 0, v[58:59]
	global_load_ushort v38, v[34:35], off
	v_lshl_add_u64 v[34:35], v[152:153], 0, v[58:59]
	global_load_ushort v39, v[34:35], off
	;; [unrolled: 2-line block ×5, first 2 shown]
	v_lshl_add_u64 v[34:35], v[160:161], 0, v[58:59]
	v_lshl_add_u64 v[36:37], v[162:163], 0, v[58:59]
	global_load_ushort v34, v[34:35], off
	s_nop 0
	global_load_ushort v35, v[36:37], off
	v_lshl_add_u64 v[36:37], v[164:165], 0, v[58:59]
	global_load_ushort v36, v[36:37], off
	s_waitcnt vmcnt(7)
	ds_write_b16 v227, v38 offset:33792
	s_waitcnt vmcnt(6)
	ds_write_b16 v218, v39 offset:33792
	;; [unrolled: 2-line block ×4, first 2 shown]
.LBB30_276:                             ;   in Loop: Header=BB30_14 Depth=1
	s_or_b64 exec, exec, s[46:47]
	s_waitcnt vmcnt(3)
	ds_write_b16 v215, v1 offset:33792
	s_waitcnt vmcnt(2)
	ds_write_b16 v214, v34 offset:33792
	;; [unrolled: 2-line block ×4, first 2 shown]
.LBB30_277:                             ;   Parent Loop BB30_14 Depth=1
                                        ; =>  This Inner Loop Header: Depth=2
	v_lshl_add_u64 v[34:35], v[144:145], 0, v[92:93]
	v_mov_b32_e32 v1, s43
	v_cndmask_b32_e64 v35, v1, v35, s[6:7]
	v_cndmask_b32_e64 v34, v101, v34, s[6:7]
	scratch_store_dwordx4 off, a[8:11], off
	flat_load_dwordx4 v[34:37], v[34:35]
	v_lshl_add_u64 v[38:39], v[146:147], 0, v[92:93]
	v_cndmask_b32_e64 v39, v1, v39, s[8:9]
	v_cndmask_b32_e64 v38, v101, v38, s[8:9]
                                        ; implicit-def: $vgpr42
	s_waitcnt vmcnt(0) lgkmcnt(0)
	ds_write_b128 v202, v[34:37]
	flat_load_dwordx4 v[34:37], v[38:39]
	v_lshl_add_u64 v[38:39], v[178:179], 0, v[92:93]
	v_cndmask_b32_e64 v39, v1, v39, s[10:11]
	v_cndmask_b32_e64 v38, v101, v38, s[10:11]
	s_waitcnt vmcnt(0) lgkmcnt(0)
	ds_write_b128 v248, v[34:37]
	flat_load_dwordx4 v[34:37], v[38:39]
	v_lshl_add_u64 v[38:39], v[180:181], 0, v[92:93]
	v_cndmask_b32_e64 v39, v1, v39, s[12:13]
	v_cndmask_b32_e64 v38, v101, v38, s[12:13]
	;; [unrolled: 6-line block ×6, first 2 shown]
	v_add_u32_e32 v1, 0x4000, v203
	s_waitcnt vmcnt(0) lgkmcnt(0)
	ds_write_b128 v240, v[34:37]
	flat_load_dwordx4 v[34:37], v[38:39]
	s_waitcnt vmcnt(0) lgkmcnt(0)
	ds_write_b128 v239, v[34:37]
	s_waitcnt lgkmcnt(0)
	s_barrier
	ds_read2_b64 v[34:37], v203 offset1:4
	ds_read2_b64 v[38:41], v1 offset0:64 offset1:68
	s_waitcnt lgkmcnt(1)
	v_mfma_f32_16x16x16_f16 a[0:3], v[34:35], v[30:31], 0
	s_waitcnt lgkmcnt(0)
	v_mfma_f32_16x16x16_f16 a[4:7], v[38:39], v[30:31], 0
	v_mfma_f32_16x16x16_f16 a[0:3], v[36:37], v[32:33], a[0:3]
	ds_read2_b64 v[34:37], v203 offset0:8 offset1:12
	v_mfma_f32_16x16x16_f16 a[4:7], v[40:41], v[32:33], a[4:7]
	ds_read2_b64 v[38:41], v1 offset0:72 offset1:76
	s_waitcnt lgkmcnt(1)
	v_mfma_f32_16x16x16_f16 a[0:3], v[34:35], v[26:27], a[0:3]
	s_waitcnt lgkmcnt(0)
	v_mfma_f32_16x16x16_f16 a[4:7], v[38:39], v[26:27], a[4:7]
	v_mfma_f32_16x16x16_f16 a[0:3], v[36:37], v[28:29], a[0:3]
	ds_read2_b64 v[34:37], v203 offset0:16 offset1:20
	v_mfma_f32_16x16x16_f16 a[4:7], v[40:41], v[28:29], a[4:7]
	;; [unrolled: 8-line block ×7, first 2 shown]
	ds_read2_b64 v[38:41], v1 offset0:120 offset1:124
	s_waitcnt lgkmcnt(0)
	s_barrier
	v_mfma_f32_16x16x16_f16 a[0:3], v[34:35], v[2:3], a[0:3]
	v_mfma_f32_16x16x16_f16 a[12:15], v[38:39], v[2:3], a[4:7]
	;; [unrolled: 1-line block ×4, first 2 shown]
	s_nop 6
	v_accvgpr_read_b32 v1, a4
	v_cmp_nlt_f32_e64 s[46:47], |v1|, s94
	s_and_saveexec_b64 s[48:49], s[46:47]
	s_xor_b64 s[46:47], exec, s[48:49]
	s_cbranch_execz .LBB30_279
; %bb.278:                              ;   in Loop: Header=BB30_277 Depth=2
	v_add_f32_e64 v34, |v1|, |v1|
	v_mul_f32_e32 v35, 0x3fb8aa3b, v34
	v_rndne_f32_e32 v36, v35
	v_sub_f32_e32 v37, v35, v36
	v_fma_f32 v35, v34, s88, -v35
	v_fmac_f32_e32 v35, 0x32a5705f, v34
	v_add_f32_e32 v35, v37, v35
	v_cvt_i32_f32_e32 v36, v36
	v_exp_f32_e32 v35, v35
	v_cmp_ngt_f32_e32 vcc, s91, v34
	v_ldexp_f32 v35, v35, v36
	s_nop 0
	v_cndmask_b32_e32 v35, 0, v35, vcc
	v_cmp_nlt_f32_e32 vcc, s97, v34
	s_nop 1
	v_cndmask_b32_e32 v34, v99, v35, vcc
	v_add_f32_e32 v34, 1.0, v34
	v_rcp_f32_e32 v34, v34
	s_nop 0
	v_fma_f32 v42, v34, -2.0, 1.0
.LBB30_279:                             ;   in Loop: Header=BB30_277 Depth=2
	s_andn2_saveexec_b64 s[46:47], s[46:47]
; %bb.280:                              ;   in Loop: Header=BB30_277 Depth=2
	v_mul_f32_e32 v34, v1, v1
	v_fmamk_f32 v35, v34, 0xbbbac73d, v98
	v_fmaak_f32 v35, v34, v35, 0xbd5c1c4e
	v_fmaak_f32 v35, v34, v35, 0x3e088382
	;; [unrolled: 1-line block ×3, first 2 shown]
	v_mul_f32_e64 v35, |v1|, v35
	v_fma_f32 v42, v34, v35, |v1|
; %bb.281:                              ;   in Loop: Header=BB30_277 Depth=2
	s_or_b64 exec, exec, s[46:47]
	v_accvgpr_read_b32 v37, a7
	v_accvgpr_read_b32 v35, a5
	;; [unrolled: 1-line block ×4, first 2 shown]
	v_cmp_nlt_f32_e64 s[46:47], |v35|, s94
                                        ; implicit-def: $vgpr34
	s_and_saveexec_b64 s[48:49], s[46:47]
	s_xor_b64 s[46:47], exec, s[48:49]
	s_cbranch_execz .LBB30_283
; %bb.282:                              ;   in Loop: Header=BB30_277 Depth=2
	v_add_f32_e64 v34, |v35|, |v35|
	v_mul_f32_e32 v38, 0x3fb8aa3b, v34
	v_rndne_f32_e32 v39, v38
	v_sub_f32_e32 v40, v38, v39
	v_fma_f32 v38, v34, s88, -v38
	v_fmac_f32_e32 v38, 0x32a5705f, v34
	v_add_f32_e32 v38, v40, v38
	v_cvt_i32_f32_e32 v39, v39
	v_exp_f32_e32 v38, v38
	v_cmp_ngt_f32_e32 vcc, s91, v34
	v_ldexp_f32 v38, v38, v39
	s_nop 0
	v_cndmask_b32_e32 v38, 0, v38, vcc
	v_cmp_nlt_f32_e32 vcc, s97, v34
	s_nop 1
	v_cndmask_b32_e32 v34, v99, v38, vcc
	v_add_f32_e32 v34, 1.0, v34
	v_rcp_f32_e32 v34, v34
	s_nop 0
	v_fma_f32 v34, v34, -2.0, 1.0
.LBB30_283:                             ;   in Loop: Header=BB30_277 Depth=2
	s_andn2_saveexec_b64 s[46:47], s[46:47]
; %bb.284:                              ;   in Loop: Header=BB30_277 Depth=2
	v_mul_f32_e32 v34, v35, v35
	v_fmamk_f32 v38, v34, 0xbbbac73d, v98
	v_fmaak_f32 v38, v34, v38, 0xbd5c1c4e
	v_fmaak_f32 v38, v34, v38, 0x3e088382
	;; [unrolled: 1-line block ×3, first 2 shown]
	v_mul_f32_e64 v38, |v35|, v38
	v_fma_f32 v34, v34, v38, |v35|
; %bb.285:                              ;   in Loop: Header=BB30_277 Depth=2
	s_or_b64 exec, exec, s[46:47]
	v_cmp_nlt_f32_e64 s[46:47], |v36|, s94
                                        ; implicit-def: $vgpr43
	s_and_saveexec_b64 s[48:49], s[46:47]
	s_xor_b64 s[46:47], exec, s[48:49]
	s_cbranch_execz .LBB30_287
; %bb.286:                              ;   in Loop: Header=BB30_277 Depth=2
	v_add_f32_e64 v38, |v36|, |v36|
	v_mul_f32_e32 v39, 0x3fb8aa3b, v38
	v_rndne_f32_e32 v40, v39
	v_sub_f32_e32 v41, v39, v40
	v_fma_f32 v39, v38, s88, -v39
	v_fmac_f32_e32 v39, 0x32a5705f, v38
	v_add_f32_e32 v39, v41, v39
	v_cvt_i32_f32_e32 v40, v40
	v_exp_f32_e32 v39, v39
	v_cmp_ngt_f32_e32 vcc, s91, v38
	v_ldexp_f32 v39, v39, v40
	s_nop 0
	v_cndmask_b32_e32 v39, 0, v39, vcc
	v_cmp_nlt_f32_e32 vcc, s97, v38
	s_nop 1
	v_cndmask_b32_e32 v38, v99, v39, vcc
	v_add_f32_e32 v38, 1.0, v38
	v_rcp_f32_e32 v38, v38
	s_nop 0
	v_fma_f32 v43, v38, -2.0, 1.0
.LBB30_287:                             ;   in Loop: Header=BB30_277 Depth=2
	s_andn2_saveexec_b64 s[46:47], s[46:47]
; %bb.288:                              ;   in Loop: Header=BB30_277 Depth=2
	v_mul_f32_e32 v38, v36, v36
	v_fmamk_f32 v39, v38, 0xbbbac73d, v98
	v_fmaak_f32 v39, v38, v39, 0xbd5c1c4e
	v_fmaak_f32 v39, v38, v39, 0x3e088382
	;; [unrolled: 1-line block ×3, first 2 shown]
	v_mul_f32_e64 v39, |v36|, v39
	v_fma_f32 v43, v38, v39, |v36|
; %bb.289:                              ;   in Loop: Header=BB30_277 Depth=2
	s_or_b64 exec, exec, s[46:47]
	v_cmp_nlt_f32_e64 s[46:47], |v37|, s94
                                        ; implicit-def: $vgpr44
	s_and_saveexec_b64 s[48:49], s[46:47]
	s_xor_b64 s[46:47], exec, s[48:49]
	s_cbranch_execz .LBB30_291
; %bb.290:                              ;   in Loop: Header=BB30_277 Depth=2
	v_add_f32_e64 v38, |v37|, |v37|
	v_mul_f32_e32 v39, 0x3fb8aa3b, v38
	v_rndne_f32_e32 v40, v39
	v_sub_f32_e32 v41, v39, v40
	v_fma_f32 v39, v38, s88, -v39
	v_fmac_f32_e32 v39, 0x32a5705f, v38
	v_add_f32_e32 v39, v41, v39
	v_cvt_i32_f32_e32 v40, v40
	v_exp_f32_e32 v39, v39
	v_cmp_ngt_f32_e32 vcc, s91, v38
	v_ldexp_f32 v39, v39, v40
	s_nop 0
	v_cndmask_b32_e32 v39, 0, v39, vcc
	v_cmp_nlt_f32_e32 vcc, s97, v38
	s_nop 1
	v_cndmask_b32_e32 v38, v99, v39, vcc
	v_add_f32_e32 v38, 1.0, v38
	v_rcp_f32_e32 v38, v38
	s_nop 0
	v_fma_f32 v44, v38, -2.0, 1.0
.LBB30_291:                             ;   in Loop: Header=BB30_277 Depth=2
	s_andn2_saveexec_b64 s[46:47], s[46:47]
; %bb.292:                              ;   in Loop: Header=BB30_277 Depth=2
	v_mul_f32_e32 v38, v37, v37
	v_fmamk_f32 v39, v38, 0xbbbac73d, v98
	v_fmaak_f32 v39, v38, v39, 0xbd5c1c4e
	v_fmaak_f32 v39, v38, v39, 0x3e088382
	;; [unrolled: 1-line block ×3, first 2 shown]
	v_mul_f32_e64 v39, |v37|, v39
	v_fma_f32 v44, v38, v39, |v37|
; %bb.293:                              ;   in Loop: Header=BB30_277 Depth=2
	s_or_b64 exec, exec, s[46:47]
	v_accvgpr_read_b32 v41, a3
	v_accvgpr_read_b32 v38, a0
	;; [unrolled: 1-line block ×4, first 2 shown]
	v_cmp_nlt_f32_e64 s[46:47], |v38|, s94
                                        ; implicit-def: $vgpr45
	s_and_saveexec_b64 s[48:49], s[46:47]
	s_xor_b64 s[46:47], exec, s[48:49]
	s_cbranch_execz .LBB30_295
; %bb.294:                              ;   in Loop: Header=BB30_277 Depth=2
	v_add_f32_e64 v45, |v38|, |v38|
	v_mul_f32_e32 v46, 0x3fb8aa3b, v45
	v_rndne_f32_e32 v47, v46
	v_sub_f32_e32 v48, v46, v47
	v_fma_f32 v46, v45, s88, -v46
	v_fmac_f32_e32 v46, 0x32a5705f, v45
	v_add_f32_e32 v46, v48, v46
	v_cvt_i32_f32_e32 v47, v47
	v_exp_f32_e32 v46, v46
	v_cmp_ngt_f32_e32 vcc, s91, v45
	v_ldexp_f32 v46, v46, v47
	s_nop 0
	v_cndmask_b32_e32 v46, 0, v46, vcc
	v_cmp_nlt_f32_e32 vcc, s97, v45
	s_nop 1
	v_cndmask_b32_e32 v45, v99, v46, vcc
	v_add_f32_e32 v45, 1.0, v45
	v_rcp_f32_e32 v45, v45
	s_nop 0
	v_fma_f32 v45, v45, -2.0, 1.0
.LBB30_295:                             ;   in Loop: Header=BB30_277 Depth=2
	s_andn2_saveexec_b64 s[46:47], s[46:47]
; %bb.296:                              ;   in Loop: Header=BB30_277 Depth=2
	v_mul_f32_e32 v45, v38, v38
	v_fmamk_f32 v46, v45, 0xbbbac73d, v98
	v_fmaak_f32 v46, v45, v46, 0xbd5c1c4e
	v_fmaak_f32 v46, v45, v46, 0x3e088382
	;; [unrolled: 1-line block ×3, first 2 shown]
	v_mul_f32_e64 v46, |v38|, v46
	v_fma_f32 v45, v45, v46, |v38|
; %bb.297:                              ;   in Loop: Header=BB30_277 Depth=2
	s_or_b64 exec, exec, s[46:47]
	v_cmp_nlt_f32_e64 s[46:47], |v39|, s94
                                        ; implicit-def: $vgpr46
	s_and_saveexec_b64 s[48:49], s[46:47]
	s_xor_b64 s[46:47], exec, s[48:49]
	s_cbranch_execz .LBB30_299
; %bb.298:                              ;   in Loop: Header=BB30_277 Depth=2
	v_add_f32_e64 v46, |v39|, |v39|
	v_mul_f32_e32 v47, 0x3fb8aa3b, v46
	v_rndne_f32_e32 v48, v47
	v_sub_f32_e32 v49, v47, v48
	v_fma_f32 v47, v46, s88, -v47
	v_fmac_f32_e32 v47, 0x32a5705f, v46
	v_add_f32_e32 v47, v49, v47
	v_cvt_i32_f32_e32 v48, v48
	v_exp_f32_e32 v47, v47
	v_cmp_ngt_f32_e32 vcc, s91, v46
	v_ldexp_f32 v47, v47, v48
	s_nop 0
	v_cndmask_b32_e32 v47, 0, v47, vcc
	v_cmp_nlt_f32_e32 vcc, s97, v46
	s_nop 1
	v_cndmask_b32_e32 v46, v99, v47, vcc
	v_add_f32_e32 v46, 1.0, v46
	v_rcp_f32_e32 v46, v46
	s_nop 0
	v_fma_f32 v46, v46, -2.0, 1.0
.LBB30_299:                             ;   in Loop: Header=BB30_277 Depth=2
	s_andn2_saveexec_b64 s[46:47], s[46:47]
; %bb.300:                              ;   in Loop: Header=BB30_277 Depth=2
	v_mul_f32_e32 v46, v39, v39
	v_fmamk_f32 v47, v46, 0xbbbac73d, v98
	v_fmaak_f32 v47, v46, v47, 0xbd5c1c4e
	v_fmaak_f32 v47, v46, v47, 0x3e088382
	;; [unrolled: 1-line block ×3, first 2 shown]
	v_mul_f32_e64 v47, |v39|, v47
	v_fma_f32 v46, v46, v47, |v39|
; %bb.301:                              ;   in Loop: Header=BB30_277 Depth=2
	s_or_b64 exec, exec, s[46:47]
	v_cmp_nlt_f32_e64 s[46:47], |v40|, s94
                                        ; implicit-def: $vgpr47
	s_and_saveexec_b64 s[48:49], s[46:47]
	s_xor_b64 s[46:47], exec, s[48:49]
	s_cbranch_execz .LBB30_303
; %bb.302:                              ;   in Loop: Header=BB30_277 Depth=2
	v_add_f32_e64 v47, |v40|, |v40|
	v_mul_f32_e32 v48, 0x3fb8aa3b, v47
	v_rndne_f32_e32 v49, v48
	v_sub_f32_e32 v57, v48, v49
	v_fma_f32 v48, v47, s88, -v48
	v_fmac_f32_e32 v48, 0x32a5705f, v47
	v_add_f32_e32 v48, v57, v48
	v_cvt_i32_f32_e32 v49, v49
	v_exp_f32_e32 v48, v48
	v_cmp_ngt_f32_e32 vcc, s91, v47
	v_ldexp_f32 v48, v48, v49
	s_nop 0
	v_cndmask_b32_e32 v48, 0, v48, vcc
	v_cmp_nlt_f32_e32 vcc, s97, v47
	s_nop 1
	v_cndmask_b32_e32 v47, v99, v48, vcc
	v_add_f32_e32 v47, 1.0, v47
	v_rcp_f32_e32 v47, v47
	s_nop 0
	v_fma_f32 v47, v47, -2.0, 1.0
.LBB30_303:                             ;   in Loop: Header=BB30_277 Depth=2
	s_andn2_saveexec_b64 s[46:47], s[46:47]
; %bb.304:                              ;   in Loop: Header=BB30_277 Depth=2
	v_mul_f32_e32 v47, v40, v40
	v_fmamk_f32 v48, v47, 0xbbbac73d, v98
	v_fmaak_f32 v48, v47, v48, 0xbd5c1c4e
	v_fmaak_f32 v48, v47, v48, 0x3e088382
	;; [unrolled: 1-line block ×3, first 2 shown]
	v_mul_f32_e64 v48, |v40|, v48
	v_fma_f32 v47, v47, v48, |v40|
; %bb.305:                              ;   in Loop: Header=BB30_277 Depth=2
	s_or_b64 exec, exec, s[46:47]
	v_cmp_nlt_f32_e64 s[46:47], |v41|, s94
                                        ; implicit-def: $vgpr57
	s_and_saveexec_b64 s[48:49], s[46:47]
	s_xor_b64 s[46:47], exec, s[48:49]
	s_cbranch_execz .LBB30_307
; %bb.306:                              ;   in Loop: Header=BB30_277 Depth=2
	v_add_f32_e64 v48, |v41|, |v41|
	v_mul_f32_e32 v49, 0x3fb8aa3b, v48
	v_rndne_f32_e32 v57, v49
	v_sub_f32_e32 v135, v49, v57
	v_fma_f32 v49, v48, s88, -v49
	v_fmac_f32_e32 v49, 0x32a5705f, v48
	v_add_f32_e32 v49, v135, v49
	v_cvt_i32_f32_e32 v57, v57
	v_exp_f32_e32 v49, v49
	v_cmp_ngt_f32_e32 vcc, s91, v48
	v_ldexp_f32 v49, v49, v57
	s_nop 0
	v_cndmask_b32_e32 v49, 0, v49, vcc
	v_cmp_nlt_f32_e32 vcc, s97, v48
	s_nop 1
	v_cndmask_b32_e32 v48, v99, v49, vcc
	v_add_f32_e32 v48, 1.0, v48
	v_rcp_f32_e32 v48, v48
	s_nop 0
	v_fma_f32 v57, v48, -2.0, 1.0
.LBB30_307:                             ;   in Loop: Header=BB30_277 Depth=2
	s_andn2_saveexec_b64 s[46:47], s[46:47]
; %bb.308:                              ;   in Loop: Header=BB30_277 Depth=2
	v_mul_f32_e32 v48, v41, v41
	v_fmamk_f32 v49, v48, 0xbbbac73d, v98
	v_fmaak_f32 v49, v48, v49, 0xbd5c1c4e
	v_fmaak_f32 v49, v48, v49, 0x3e088382
	;; [unrolled: 1-line block ×3, first 2 shown]
	v_mul_f32_e64 v49, |v41|, v49
	v_fma_f32 v57, v48, v49, |v41|
; %bb.309:                              ;   in Loop: Header=BB30_277 Depth=2
	s_or_b64 exec, exec, s[46:47]
	v_bfi_b32 v1, s92, v42, v1
	v_bfi_b32 v39, s92, v46, v39
	v_mul_f32_e32 v46, s3, v1
	v_bfi_b32 v1, s92, v34, v35
	v_bfi_b32 v40, s92, v47, v40
	v_mul_f32_e32 v47, s3, v1
	v_bfi_b32 v1, s92, v43, v36
	v_mul_f32_e32 v48, s3, v1
	v_bfi_b32 v1, s92, v44, v37
	v_bfi_b32 v38, s92, v45, v38
	v_mul_f32_e32 v49, s3, v1
	v_bfi_b32 v1, s92, v57, v41
	v_mul_f32_e32 v38, s3, v38
	v_mul_f32_e32 v39, s3, v39
	;; [unrolled: 1-line block ×4, first 2 shown]
	s_and_b64 vcc, exec, s[44:45]
	s_cbranch_vccz .LBB30_314
; %bb.310:                              ;   in Loop: Header=BB30_277 Depth=2
	v_add_u32_e32 v1, 0x8400, v228
	ds_read2_b32 v[34:35], v1 offset1:1
	ds_read_b32 v1, v230 offset:33792
	ds_read_b32 v36, v232 offset:33792
	v_mov_b32_e32 v135, v134
	s_waitcnt lgkmcnt(2)
	v_cvt_f32_f16_e32 v42, v34
	v_cvt_f32_f16_sdwa v43, v34 dst_sel:DWORD dst_unused:UNUSED_PAD src0_sel:WORD_1
	v_cvt_f32_f16_e32 v34, v35
	v_cvt_f32_f16_sdwa v35, v35 dst_sel:DWORD dst_unused:UNUSED_PAD src0_sel:WORD_1
	s_waitcnt lgkmcnt(1)
	v_cvt_f32_f16_sdwa v225, v1 dst_sel:DWORD dst_unused:UNUSED_PAD src0_sel:WORD_1
	s_waitcnt lgkmcnt(0)
	v_cvt_f32_f16_sdwa v45, v36 dst_sel:DWORD dst_unused:UNUSED_PAD src0_sel:WORD_1
	v_cvt_f32_f16_e32 v44, v36
	v_cvt_f32_f16_e32 v224, v1
	v_pk_fma_f32 v[36:37], v[134:135], v[34:35], v[48:49]
	v_pk_fma_f32 v[34:35], v[148:149], v[42:43], v[46:47]
	;; [unrolled: 1-line block ×4, first 2 shown]
	s_cbranch_execnz .LBB30_312
.LBB30_311:                             ;   in Loop: Header=BB30_277 Depth=2
	v_mov_b64_e32 v[44:45], v[40:41]
	v_mov_b64_e32 v[34:35], v[46:47]
	;; [unrolled: 1-line block ×4, first 2 shown]
.LBB30_312:                             ;   in Loop: Header=BB30_277 Depth=2
	v_add_f32_e32 v1, 0x40051340, v34
	v_max_f32_e32 v38, v53, v53
	v_max_f32_e32 v1, v38, v1
	v_cndmask_b32_e64 v1, v53, v1, s[22:23]
	v_add_f32_e32 v38, 0x40051340, v35
	v_max_f32_e32 v39, v1, v1
	v_max_f32_e32 v38, v39, v38
	v_cndmask_b32_e64 v1, v1, v38, s[24:25]
	;; [unrolled: 4-line block ×8, first 2 shown]
	ds_bpermute_b32 v38, v111, v1
	v_max_f32_e32 v1, v1, v1
	v_mov_b32_e32 v48, s43
	scratch_store_dwordx4 off, a[8:11], off
	v_add_u32_e32 v113, -1, v113
	s_waitcnt lgkmcnt(0)
	v_max_f32_e32 v38, v38, v38
	v_max_f32_e32 v1, v1, v38
	ds_bpermute_b32 v38, v112, v1
	v_lshl_add_u64 v[150:151], v[150:151], 0, s[84:85]
	v_lshl_add_u64 v[152:153], v[152:153], 0, s[84:85]
	;; [unrolled: 1-line block ×4, first 2 shown]
	s_waitcnt lgkmcnt(0)
	v_max_f32_e32 v38, v38, v38
	v_max_f32_e32 v41, v1, v38
	v_sub_f32_e32 v1, v34, v41
	v_mul_f32_e32 v34, 0x3fb8aa3b, v1
	v_fma_f32 v38, v1, s88, -v34
	v_rndne_f32_e32 v39, v34
	v_fmac_f32_e32 v38, 0x32a5705f, v1
	v_sub_f32_e32 v34, v34, v39
	v_add_f32_e32 v34, v34, v38
	v_exp_f32_e32 v34, v34
	v_cvt_i32_f32_e32 v38, v39
	v_cmp_ngt_f32_e32 vcc, s91, v1
	v_lshl_add_u64 v[158:159], v[158:159], 0, s[84:85]
	v_lshl_add_u64 v[160:161], v[160:161], 0, s[84:85]
	v_ldexp_f32 v34, v34, v38
	v_cndmask_b32_e32 v34, 0, v34, vcc
	v_cmp_nlt_f32_e32 vcc, s97, v1
	v_lshl_add_u64 v[162:163], v[162:163], 0, s[84:85]
	v_lshl_add_u64 v[164:165], v[164:165], 0, s[84:85]
	v_cndmask_b32_e32 v1, v99, v34, vcc
	v_cndmask_b32_e64 v38, 0, v1, s[22:23]
	v_sub_f32_e32 v1, v35, v41
	v_mul_f32_e32 v34, 0x3fb8aa3b, v1
	v_fma_f32 v35, v1, s88, -v34
	v_rndne_f32_e32 v39, v34
	v_fmac_f32_e32 v35, 0x32a5705f, v1
	v_sub_f32_e32 v34, v34, v39
	v_add_f32_e32 v34, v34, v35
	v_exp_f32_e32 v34, v34
	v_cvt_i32_f32_e32 v35, v39
	v_cmp_ngt_f32_e32 vcc, s91, v1
	v_lshl_add_u64 v[144:145], v[144:145], 0, s[82:83]
	v_lshl_add_u64 v[146:147], v[146:147], 0, s[82:83]
	v_ldexp_f32 v34, v34, v35
	v_cndmask_b32_e32 v34, 0, v34, vcc
	v_cmp_nlt_f32_e32 vcc, s97, v1
	v_mov_b32_e32 v1, s41
	v_lshl_add_u64 v[178:179], v[178:179], 0, s[82:83]
	v_cndmask_b32_e32 v34, v99, v34, vcc
	v_add_f32_e32 v39, v34, v38
	v_cndmask_b32_e64 v35, v1, v34, s[24:25]
	v_sub_f32_e32 v34, v36, v41
	v_mul_f32_e32 v36, 0x3fb8aa3b, v34
	v_cndmask_b32_e64 v1, v38, v39, s[24:25]
	v_fma_f32 v39, v34, s88, -v36
	v_rndne_f32_e32 v40, v36
	v_fmac_f32_e32 v39, 0x32a5705f, v34
	v_sub_f32_e32 v36, v36, v40
	v_add_f32_e32 v36, v36, v39
	v_exp_f32_e32 v36, v36
	v_cvt_i32_f32_e32 v39, v40
	v_cmp_ngt_f32_e32 vcc, s91, v34
	v_cvt_pk_f16_f32 v38, v38, v35
	v_lshl_add_u64 v[180:181], v[180:181], 0, s[82:83]
	v_ldexp_f32 v36, v36, v39
	v_cndmask_b32_e32 v36, 0, v36, vcc
	v_cmp_nlt_f32_e32 vcc, s97, v34
	v_mov_b32_e32 v34, s41
	v_lshl_add_u64 v[182:183], v[182:183], 0, s[82:83]
	v_cndmask_b32_e32 v36, v99, v36, vcc
	v_cndmask_b32_e64 v40, v34, v36, s[26:27]
	v_sub_f32_e32 v34, v37, v41
	v_add_f32_e32 v39, v1, v36
	v_mul_f32_e32 v36, 0x3fb8aa3b, v34
	v_cndmask_b32_e64 v1, v1, v39, s[26:27]
	v_fma_f32 v37, v34, s88, -v36
	v_rndne_f32_e32 v39, v36
	v_fmac_f32_e32 v37, 0x32a5705f, v34
	v_sub_f32_e32 v36, v36, v39
	v_add_f32_e32 v36, v36, v37
	v_exp_f32_e32 v36, v36
	v_cvt_i32_f32_e32 v37, v39
	v_cmp_ngt_f32_e32 vcc, s91, v34
	v_lshl_add_u64 v[184:185], v[184:185], 0, s[82:83]
	v_lshl_add_u64 v[186:187], v[186:187], 0, s[82:83]
	v_ldexp_f32 v36, v36, v37
	v_cndmask_b32_e32 v36, 0, v36, vcc
	v_cmp_nlt_f32_e32 vcc, s97, v34
	v_mov_b32_e32 v37, s41
	v_lshl_add_u64 v[188:189], v[188:189], 0, s[82:83]
	v_cndmask_b32_e32 v34, v99, v36, vcc
	v_add_f32_e32 v36, v1, v34
	v_cndmask_b32_e64 v39, v37, v34, s[28:29]
	v_sub_f32_e32 v34, v42, v41
	v_cndmask_b32_e64 v1, v1, v36, s[28:29]
	v_mul_f32_e32 v36, 0x3fb8aa3b, v34
	v_fma_f32 v37, v34, s88, -v36
	v_rndne_f32_e32 v42, v36
	v_fmac_f32_e32 v37, 0x32a5705f, v34
	v_sub_f32_e32 v36, v36, v42
	v_add_f32_e32 v36, v36, v37
	v_exp_f32_e32 v36, v36
	v_cvt_i32_f32_e32 v37, v42
	v_cmp_ngt_f32_e32 vcc, s91, v34
	v_cvt_pk_f16_f32 v39, v40, v39
	v_ldexp_f32 v36, v36, v37
	v_cndmask_b32_e32 v36, 0, v36, vcc
	v_cmp_nlt_f32_e32 vcc, s97, v34
	v_mov_b32_e32 v34, s41
	s_nop 0
	v_cndmask_b32_e32 v36, v99, v36, vcc
	v_add_f32_e32 v37, v36, v1
	v_cndmask_b32_e64 v34, v34, v36, s[30:31]
	v_cndmask_b32_e64 v36, v1, v37, s[30:31]
	v_sub_f32_e32 v1, v43, v41
	v_mul_f32_e32 v37, 0x3fb8aa3b, v1
	v_fma_f32 v42, v1, s88, -v37
	v_rndne_f32_e32 v43, v37
	v_fmac_f32_e32 v42, 0x32a5705f, v1
	v_sub_f32_e32 v37, v37, v43
	v_add_f32_e32 v37, v37, v42
	v_exp_f32_e32 v37, v37
	v_cvt_i32_f32_e32 v42, v43
	v_cmp_ngt_f32_e32 vcc, s91, v1
	v_ldexp_f32 v37, v37, v42
	s_nop 0
	v_cndmask_b32_e32 v37, 0, v37, vcc
	v_cmp_nlt_f32_e32 vcc, s97, v1
	v_mov_b32_e32 v1, s41
	s_nop 0
	v_cndmask_b32_e32 v37, v99, v37, vcc
	v_add_f32_e32 v42, v37, v36
	v_cndmask_b32_e64 v1, v1, v37, s[34:35]
	v_cndmask_b32_e64 v37, v36, v42, s[34:35]
	v_sub_f32_e32 v36, v44, v41
	v_mul_f32_e32 v42, 0x3fb8aa3b, v36
	v_fma_f32 v43, v36, s88, -v42
	v_rndne_f32_e32 v44, v42
	v_fmac_f32_e32 v43, 0x32a5705f, v36
	v_sub_f32_e32 v42, v42, v44
	v_add_f32_e32 v42, v42, v43
	v_exp_f32_e32 v42, v42
	v_cvt_i32_f32_e32 v43, v44
	v_cmp_ngt_f32_e32 vcc, s91, v36
	v_cvt_pk_f16_f32 v34, v34, v1
	v_ldexp_f32 v42, v42, v43
	v_cndmask_b32_e32 v42, 0, v42, vcc
	v_cmp_nlt_f32_e32 vcc, s97, v36
	v_mov_b32_e32 v36, s41
	s_nop 0
	v_cndmask_b32_e32 v42, v99, v42, vcc
	v_add_f32_e32 v43, v42, v37
	v_cndmask_b32_e64 v36, v36, v42, s[36:37]
	v_cndmask_b32_e64 v42, v37, v43, s[36:37]
	v_sub_f32_e32 v37, v45, v41
	v_mul_f32_e32 v43, 0x3fb8aa3b, v37
	v_fma_f32 v44, v37, s88, -v43
	v_rndne_f32_e32 v45, v43
	v_fmac_f32_e32 v44, 0x32a5705f, v37
	v_sub_f32_e32 v43, v43, v45
	v_add_f32_e32 v43, v43, v44
	v_exp_f32_e32 v43, v43
	v_cvt_i32_f32_e32 v44, v45
	v_cmp_ngt_f32_e32 vcc, s91, v37
	v_ldexp_f32 v43, v43, v44
	s_nop 0
	v_cndmask_b32_e32 v43, 0, v43, vcc
	v_cmp_nlt_f32_e32 vcc, s97, v37
	v_mov_b32_e32 v37, s41
	s_nop 0
	v_cndmask_b32_e32 v43, v99, v43, vcc
	v_add_f32_e32 v44, v43, v42
	v_cndmask_b32_e64 v226, v37, v43, s[38:39]
	v_cndmask_b32_e64 v37, v42, v44, s[38:39]
	v_sub_f32_e32 v42, v53, v41
	v_mul_f32_e32 v43, 0x3fb8aa3b, v42
	v_fma_f32 v44, v42, s88, -v43
	v_rndne_f32_e32 v45, v43
	v_fmac_f32_e32 v44, 0x32a5705f, v42
	v_sub_f32_e32 v43, v43, v45
	v_add_f32_e32 v43, v43, v44
	v_exp_f32_e32 v43, v43
	v_cvt_i32_f32_e32 v44, v45
	v_cmp_ngt_f32_e32 vcc, s91, v42
	v_ldexp_f32 v43, v43, v44
	s_nop 0
	v_cndmask_b32_e32 v43, 0, v43, vcc
	v_cmp_nlt_f32_e32 vcc, s97, v42
	v_lshl_add_u64 v[44:45], v[142:143], 0, v[92:93]
	v_cndmask_b32_e64 v235, v48, v45, s[8:9]
	v_cndmask_b32_e32 v43, v99, v43, vcc
	v_cmp_le_f32_e32 vcc, s5, v42
	v_cndmask_b32_e64 v234, v101, v44, s[8:9]
	v_lshl_add_u64 v[44:45], v[166:167], 0, v[92:93]
	v_cndmask_b32_e32 v42, 0, v43, vcc
	v_fmac_f32_e32 v37, v51, v42
	v_cvt_f16_f32_e32 v42, v42
	v_cndmask_b32_e64 v237, v48, v45, s[10:11]
	v_cmp_ne_u32_e32 vcc, 0, v113
	v_lshl_add_u64 v[142:143], v[142:143], 0, s[80:81]
	v_mul_u32_u24_e32 v42, 0x10001, v42
	v_pk_mul_f16 v233, v193, v42
	v_pk_mul_f16 v193, v100, v42
	;; [unrolled: 1-line block ×5, first 2 shown]
	v_cndmask_b32_e64 v236, v101, v44, s[10:11]
	v_lshl_add_u64 v[44:45], v[168:169], 0, v[92:93]
	v_cndmask_b32_e64 v253, v48, v45, s[12:13]
	v_cndmask_b32_e64 v252, v101, v44, s[12:13]
	v_lshl_add_u64 v[44:45], v[170:171], 0, v[92:93]
	v_cndmask_b32_e64 v197, v48, v45, s[14:15]
	v_cndmask_b32_e64 v196, v101, v44, s[14:15]
	v_lshl_add_u64 v[44:45], v[172:173], 0, v[92:93]
	v_pk_mul_f16 v224, v209, v42
	v_pk_mul_f16 v208, v199, v42
	;; [unrolled: 1-line block ×27, first 2 shown]
	v_lshl_add_u64 v[42:43], v[140:141], 0, v[92:93]
	v_cndmask_b32_e64 v191, v48, v45, s[16:17]
	v_cndmask_b32_e64 v190, v101, v44, s[16:17]
	v_lshl_add_u64 v[44:45], v[174:175], 0, v[92:93]
	v_cndmask_b32_e64 v43, v48, v43, s[6:7]
	v_cndmask_b32_e64 v42, v101, v42, s[6:7]
	;; [unrolled: 1-line block ×4, first 2 shown]
	v_lshl_add_u64 v[44:45], v[176:177], 0, v[92:93]
	v_cndmask_b32_e64 v49, v48, v45, s[20:21]
	v_cndmask_b32_e64 v48, v101, v44, s[20:21]
	flat_load_dwordx4 v[42:45], v[42:43]
	v_cvt_f32_f16_sdwa v51, v208 dst_sel:DWORD dst_unused:UNUSED_PAD src0_sel:WORD_1
	v_cvt_f32_f16_e32 v225, v117
	v_cvt_f32_f16_sdwa v117, v117 dst_sel:DWORD dst_unused:UNUSED_PAD src0_sel:WORD_1
	v_cvt_f32_f16_e32 v231, v116
	v_accvgpr_write_b32 a3, v51
	v_cvt_f32_f16_sdwa v116, v116 dst_sel:DWORD dst_unused:UNUSED_PAD src0_sel:WORD_1
	v_cvt_f32_f16_e32 v198, v115
	v_cvt_f32_f16_sdwa v115, v115 dst_sel:DWORD dst_unused:UNUSED_PAD src0_sel:WORD_1
	v_lshl_add_u64 v[140:141], v[140:141], 0, s[80:81]
	v_lshl_add_u64 v[166:167], v[166:167], 0, s[80:81]
	v_lshl_add_u64 v[168:169], v[168:169], 0, s[80:81]
	v_lshl_add_u64 v[170:171], v[170:171], 0, s[80:81]
	v_lshl_add_u64 v[172:173], v[172:173], 0, s[80:81]
	v_lshl_add_u64 v[174:175], v[174:175], 0, s[80:81]
	v_lshl_add_u64 v[176:177], v[176:177], 0, s[80:81]
	s_and_b64 vcc, exec, vcc
	s_waitcnt vmcnt(0) lgkmcnt(0)
	ds_write_b128 v202, v[42:45]
	flat_load_dwordx4 v[42:45], v[234:235]
	s_waitcnt vmcnt(0) lgkmcnt(0)
	ds_write_b128 v248, v[42:45]
	flat_load_dwordx4 v[42:45], v[236:237]
	;; [unrolled: 3-line block ×4, first 2 shown]
	v_cvt_f32_f16_e32 v196, v126
	v_cvt_f32_f16_sdwa v197, v126 dst_sel:DWORD dst_unused:UNUSED_PAD src0_sel:WORD_1
	s_waitcnt vmcnt(0) lgkmcnt(0)
	ds_write_b128 v212, v[42:45]
	flat_load_dwordx4 v[42:45], v[190:191]
	v_cvt_f32_f16_e32 v190, v125
	v_cvt_f32_f16_sdwa v125, v125 dst_sel:DWORD dst_unused:UNUSED_PAD src0_sel:WORD_1
	s_waitcnt vmcnt(0) lgkmcnt(0)
	ds_write_b128 v221, v[42:45]
	flat_load_dwordx4 v[42:45], v[46:47]
	s_waitcnt vmcnt(0) lgkmcnt(0)
	ds_write_b128 v240, v[42:45]
	flat_load_dwordx4 v[42:45], v[48:49]
	v_cvt_f32_f16_sdwa v48, v224 dst_sel:DWORD dst_unused:UNUSED_PAD src0_sel:WORD_1
	v_cvt_f32_f16_e32 v49, v208
	v_cvt_f32_f16_e32 v208, v97
	v_cvt_f32_f16_sdwa v97, v97 dst_sel:DWORD dst_unused:UNUSED_PAD src0_sel:WORD_1
	v_accvgpr_write_b32 a1, v48
	v_accvgpr_write_b32 a2, v49
	s_waitcnt vmcnt(0) lgkmcnt(0)
	ds_write_b128 v239, v[42:45]
	s_waitcnt lgkmcnt(0)
	s_barrier
	ds_read_u16 v42, v205 offset:528
	ds_read_u16 v44, v205 offset:1056
	ds_read_u16 v46, v206
	ds_read_u16 v43, v206 offset:32
	v_cvt_f32_f16_e32 v45, v224
	v_cvt_f32_f16_e32 v224, v123
	v_cvt_f32_f16_sdwa v123, v123 dst_sel:DWORD dst_unused:UNUSED_PAD src0_sel:WORD_1
	s_waitcnt lgkmcnt(1)
	v_perm_b32 v47, v46, v44, s42
	ds_read_u16 v46, v205
	ds_read_u16 v44, v205 offset:32
	v_accvgpr_write_b32 a0, v45
	s_waitcnt lgkmcnt(1)
	v_perm_b32 v46, v42, v46, s42
	s_nop 1
	v_mfma_f32_16x16x16_f16 a[0:3], v[46:47], v[38:39], a[0:3]
	ds_read_u16 v46, v205 offset:16896
	ds_read_u16 v48, v205 offset:17424
	;; [unrolled: 1-line block ×4, first 2 shown]
	s_nop 3
	v_accvgpr_read_b32 v35, a0
	v_accvgpr_read_b32 v40, a1
	;; [unrolled: 1-line block ×4, first 2 shown]
	v_cvt_f16_f32_e32 v35, v35
	v_cvt_f16_f32_e32 v40, v40
	v_cvt_f16_f32_e32 v42, v42
	v_cvt_f16_f32_e32 v45, v45
	v_cvt_f32_f16_e32 v51, v35
	v_cvt_f32_f16_e32 v40, v40
	;; [unrolled: 1-line block ×4, first 2 shown]
	s_waitcnt lgkmcnt(0)
	v_perm_b32 v47, v49, v47, s42
	v_perm_b32 v46, v48, v46, s42
	v_cvt_pk_f16_f32 v35, v36, v226
	v_accvgpr_write_b32 a0, v51
	v_accvgpr_write_b32 a1, v40
	;; [unrolled: 1-line block ×4, first 2 shown]
	v_cvt_f32_f16_sdwa v48, v233 dst_sel:DWORD dst_unused:UNUSED_PAD src0_sel:WORD_1
	v_cvt_f32_f16_e32 v49, v210
	v_mfma_f32_16x16x16_f16 a[0:3], v[46:47], v[34:35], a[0:3]
	ds_read_u16 v46, v205 offset:560
	ds_read_u16 v45, v205 offset:1088
	v_cvt_f32_f16_e32 v47, v233
	v_cvt_f32_f16_sdwa v51, v210 dst_sel:DWORD dst_unused:UNUSED_PAD src0_sel:WORD_1
	s_waitcnt lgkmcnt(1)
	v_perm_b32 v44, v46, v44, s42
	s_waitcnt lgkmcnt(0)
	v_perm_b32 v45, v43, v45, s42
	v_accvgpr_read_b32 v1, a0
	v_accvgpr_read_b32 v36, a1
	;; [unrolled: 1-line block ×4, first 2 shown]
	v_accvgpr_write_b32 a0, v47
	v_accvgpr_write_b32 a1, v48
	;; [unrolled: 1-line block ×4, first 2 shown]
	ds_read_u16 v47, v205 offset:16928
	ds_read_u16 v48, v205 offset:17456
	;; [unrolled: 1-line block ×4, first 2 shown]
	v_mfma_f32_16x16x16_f16 a[0:3], v[44:45], v[38:39], a[0:3]
	s_nop 7
	v_accvgpr_read_b32 v43, a0
	v_accvgpr_read_b32 v44, a1
	;; [unrolled: 1-line block ×4, first 2 shown]
	v_cvt_f16_f32_e32 v43, v43
	v_cvt_f16_f32_e32 v44, v44
	;; [unrolled: 1-line block ×4, first 2 shown]
	v_cvt_f32_f16_e32 v43, v43
	v_cvt_f32_f16_e32 v53, v44
	;; [unrolled: 1-line block ×4, first 2 shown]
	s_waitcnt lgkmcnt(0)
	v_perm_b32 v45, v51, v49, s42
	v_perm_b32 v44, v48, v47, s42
	ds_read_u16 v47, v205 offset:64
	ds_read_u16 v48, v205 offset:592
	;; [unrolled: 1-line block ×4, first 2 shown]
	v_accvgpr_write_b32 a0, v43
	v_accvgpr_write_b32 a1, v53
	;; [unrolled: 1-line block ×4, first 2 shown]
	v_cvt_f32_f16_e32 v53, v199
	v_cvt_f32_f16_sdwa v57, v199 dst_sel:DWORD dst_unused:UNUSED_PAD src0_sel:WORD_1
	v_mfma_f32_16x16x16_f16 a[0:3], v[44:45], v[34:35], a[0:3]
	s_waitcnt lgkmcnt(0)
	v_perm_b32 v49, v51, v49, s42
	v_perm_b32 v48, v48, v47, s42
	v_cvt_f32_f16_e32 v199, v193
	v_cvt_f32_f16_sdwa v193, v193 dst_sel:DWORD dst_unused:UNUSED_PAD src0_sel:WORD_1
	s_nop 2
	v_accvgpr_read_b32 v43, a0
	v_accvgpr_read_b32 v44, a1
	v_accvgpr_read_b32 v45, a2
	v_accvgpr_read_b32 v46, a3
	v_accvgpr_write_b32 a0, v53
	v_accvgpr_write_b32 a1, v57
	;; [unrolled: 1-line block ×4, first 2 shown]
	ds_read_u16 v53, v205 offset:16960
	ds_read_u16 v57, v205 offset:17488
	;; [unrolled: 1-line block ×4, first 2 shown]
	v_mfma_f32_16x16x16_f16 a[0:3], v[48:49], v[38:39], a[0:3]
	s_nop 7
	v_accvgpr_read_b32 v51, a3
	v_cvt_f16_f32_e32 v51, v51
	v_accvgpr_read_b32 v47, a0
	v_accvgpr_read_b32 v48, a1
	;; [unrolled: 1-line block ×3, first 2 shown]
	v_cvt_f16_f32_e32 v47, v47
	v_cvt_f16_f32_e32 v48, v48
	;; [unrolled: 1-line block ×3, first 2 shown]
	v_cvt_f32_f16_e32 v51, v51
	v_cvt_f32_f16_e32 v47, v47
	;; [unrolled: 1-line block ×4, first 2 shown]
	s_waitcnt lgkmcnt(0)
	v_perm_b32 v49, v190, v125, s42
	v_perm_b32 v48, v57, v53, s42
	v_accvgpr_write_b32 a3, v51
	ds_read_u16 v51, v205 offset:96
	ds_read_u16 v53, v205 offset:624
	;; [unrolled: 1-line block ×4, first 2 shown]
	v_accvgpr_write_b32 a0, v47
	v_accvgpr_write_b32 a1, v191
	;; [unrolled: 1-line block ×3, first 2 shown]
	v_cvt_f32_f16_e32 v191, v127
	v_cvt_f32_f16_sdwa v195, v127 dst_sel:DWORD dst_unused:UNUSED_PAD src0_sel:WORD_1
	v_mfma_f32_16x16x16_f16 a[0:3], v[48:49], v[34:35], a[0:3]
	s_waitcnt lgkmcnt(0)
	v_perm_b32 v127, v190, v57, s42
	v_perm_b32 v126, v53, v51, s42
	s_nop 4
	v_accvgpr_read_b32 v47, a0
	v_accvgpr_read_b32 v48, a1
	;; [unrolled: 1-line block ×4, first 2 shown]
	v_accvgpr_write_b32 a0, v191
	v_accvgpr_write_b32 a1, v195
	;; [unrolled: 1-line block ×4, first 2 shown]
	v_cvt_pk_f16_f32 v125, v49, v125
	s_nop 0
	v_mfma_f32_16x16x16_f16 a[0:3], v[126:127], v[38:39], a[0:3]
	ds_read_u16 v190, v205 offset:16992
	ds_read_u16 v191, v205 offset:17520
	;; [unrolled: 1-line block ×4, first 2 shown]
	s_waitcnt lgkmcnt(0)
	v_perm_b32 v127, v195, v127, s42
	s_nop 1
	v_accvgpr_read_b32 v51, a0
	v_accvgpr_read_b32 v53, a1
	;; [unrolled: 1-line block ×3, first 2 shown]
	v_cvt_f16_f32_e32 v51, v51
	v_cvt_f16_f32_e32 v53, v53
	;; [unrolled: 1-line block ×3, first 2 shown]
	v_accvgpr_read_b32 v126, a3
	v_cvt_f16_f32_e32 v126, v126
	v_cvt_f32_f16_e32 v51, v51
	v_cvt_f32_f16_e32 v53, v53
	;; [unrolled: 1-line block ×4, first 2 shown]
	v_perm_b32 v126, v191, v190, s42
	v_accvgpr_write_b32 a0, v51
	v_accvgpr_write_b32 a1, v53
	;; [unrolled: 1-line block ×3, first 2 shown]
	ds_read_u16 v51, v205 offset:128
	ds_read_u16 v53, v205 offset:656
	;; [unrolled: 1-line block ×4, first 2 shown]
	v_accvgpr_write_b32 a3, v196
	s_waitcnt lgkmcnt(2)
	v_perm_b32 v196, v53, v51, s42
	v_mfma_f32_16x16x16_f16 a[0:3], v[126:127], v[34:35], a[0:3]
	s_waitcnt lgkmcnt(0)
	v_perm_b32 v197, v195, v57, s42
	s_nop 5
	v_accvgpr_read_b32 v190, a0
	v_accvgpr_read_b32 v191, a1
	;; [unrolled: 1-line block ×4, first 2 shown]
	v_accvgpr_write_b32 a0, v199
	v_accvgpr_write_b32 a1, v193
	;; [unrolled: 1-line block ×4, first 2 shown]
	v_cvt_f32_f16_sdwa v208, v209 dst_sel:DWORD dst_unused:UNUSED_PAD src0_sel:WORD_1
	v_cvt_pk_f16_f32 v190, v190, v191
	v_mfma_f32_16x16x16_f16 a[0:3], v[196:197], v[38:39], a[0:3]
	ds_read_u16 v193, v205 offset:17024
	ds_read_u16 v195, v205 offset:17552
	;; [unrolled: 1-line block ×4, first 2 shown]
	v_cvt_pk_f16_f32 v126, v126, v127
	v_cvt_pk_f16_f32 v127, v47, v48
	;; [unrolled: 1-line block ×3, first 2 shown]
	s_waitcnt lgkmcnt(0)
	v_perm_b32 v197, v197, v196, s42
	v_accvgpr_read_b32 v51, a0
	v_accvgpr_read_b32 v53, a1
	;; [unrolled: 1-line block ×4, first 2 shown]
	v_cvt_f16_f32_e32 v51, v51
	v_cvt_f16_f32_e32 v53, v53
	;; [unrolled: 1-line block ×4, first 2 shown]
	v_cvt_f32_f16_e32 v51, v51
	v_cvt_f32_f16_e32 v53, v53
	;; [unrolled: 1-line block ×4, first 2 shown]
	v_perm_b32 v196, v195, v193, s42
	v_accvgpr_write_b32 a0, v51
	v_accvgpr_write_b32 a1, v53
	;; [unrolled: 1-line block ×4, first 2 shown]
	ds_read_u16 v51, v205 offset:160
	ds_read_u16 v53, v205 offset:688
	;; [unrolled: 1-line block ×4, first 2 shown]
	v_mfma_f32_16x16x16_f16 a[0:3], v[196:197], v[34:35], a[0:3]
	v_cvt_f32_f16_e32 v195, v209
	v_cvt_f32_f16_e32 v209, v0
	v_cvt_f32_f16_sdwa v0, v0 dst_sel:DWORD dst_unused:UNUSED_PAD src0_sel:WORD_1
	s_waitcnt lgkmcnt(0)
	v_perm_b32 v197, v97, v57, s42
	v_perm_b32 v196, v53, v51, s42
	s_nop 1
	v_accvgpr_read_b32 v210, a0
	v_accvgpr_read_b32 v193, a1
	;; [unrolled: 1-line block ×4, first 2 shown]
	v_accvgpr_write_b32 a0, v195
	v_accvgpr_write_b32 a1, v208
	;; [unrolled: 1-line block ×4, first 2 shown]
	v_cvt_f32_f16_sdwa v208, v243 dst_sel:DWORD dst_unused:UNUSED_PAD src0_sel:WORD_1
	s_nop 0
	v_mfma_f32_16x16x16_f16 a[0:3], v[196:197], v[38:39], a[0:3]
	ds_read_u16 v97, v205 offset:17056
	ds_read_u16 v195, v205 offset:17584
	;; [unrolled: 1-line block ×4, first 2 shown]
	s_waitcnt lgkmcnt(0)
	v_perm_b32 v197, v197, v196, s42
	s_nop 1
	v_accvgpr_read_b32 v51, a1
	v_accvgpr_read_b32 v53, a2
	;; [unrolled: 1-line block ×3, first 2 shown]
	v_cvt_f16_f32_e32 v51, v51
	v_cvt_f16_f32_e32 v53, v53
	;; [unrolled: 1-line block ×3, first 2 shown]
	v_accvgpr_read_b32 v0, a0
	v_cvt_f16_f32_e32 v0, v0
	v_cvt_f32_f16_e32 v51, v51
	v_cvt_f32_f16_e32 v53, v53
	;; [unrolled: 1-line block ×4, first 2 shown]
	v_perm_b32 v196, v195, v97, s42
	v_accvgpr_write_b32 a1, v51
	v_accvgpr_write_b32 a2, v53
	;; [unrolled: 1-line block ×3, first 2 shown]
	ds_read_u16 v51, v205 offset:192
	ds_read_u16 v53, v205 offset:720
	;; [unrolled: 1-line block ×4, first 2 shown]
	v_accvgpr_write_b32 a0, v0
	v_cvt_f32_f16_e32 v195, v100
	v_cvt_f32_f16_sdwa v100, v100 dst_sel:DWORD dst_unused:UNUSED_PAD src0_sel:WORD_1
	v_mfma_f32_16x16x16_f16 a[0:3], v[196:197], v[34:35], a[0:3]
	v_cvt_f32_f16_e32 v196, v96
	v_cvt_f32_f16_sdwa v197, v96 dst_sel:DWORD dst_unused:UNUSED_PAD src0_sel:WORD_1
	s_waitcnt lgkmcnt(0)
	v_perm_b32 v97, v97, v57, s42
	v_perm_b32 v96, v53, v51, s42
	s_nop 2
	v_accvgpr_read_b32 v209, a0
	v_accvgpr_read_b32 v253, a1
	;; [unrolled: 1-line block ×4, first 2 shown]
	v_accvgpr_write_b32 a0, v195
	v_accvgpr_write_b32 a1, v100
	;; [unrolled: 1-line block ×4, first 2 shown]
	v_cvt_pk_f16_f32 v0, v235, v0
	s_nop 0
	v_mfma_f32_16x16x16_f16 a[0:3], v[96:97], v[38:39], a[0:3]
	ds_read_u16 v100, v205 offset:17088
	ds_read_u16 v195, v205 offset:17616
	;; [unrolled: 1-line block ×4, first 2 shown]
	s_waitcnt lgkmcnt(0)
	v_perm_b32 v97, v196, v97, s42
	s_nop 1
	v_accvgpr_read_b32 v51, a0
	v_accvgpr_read_b32 v53, a1
	;; [unrolled: 1-line block ×4, first 2 shown]
	v_cvt_f16_f32_e32 v51, v51
	v_cvt_f16_f32_e32 v53, v53
	v_cvt_f16_f32_e32 v57, v57
	v_cvt_f16_f32_e32 v96, v96
	v_cvt_f32_f16_e32 v51, v51
	v_cvt_f32_f16_e32 v53, v53
	;; [unrolled: 1-line block ×4, first 2 shown]
	v_perm_b32 v96, v195, v100, s42
	v_accvgpr_write_b32 a0, v51
	v_accvgpr_write_b32 a1, v53
	;; [unrolled: 1-line block ×4, first 2 shown]
	v_cvt_f32_f16_sdwa v195, v95 dst_sel:DWORD dst_unused:UNUSED_PAD src0_sel:WORD_1
	v_cvt_f32_f16_e32 v196, v94
	v_mfma_f32_16x16x16_f16 a[0:3], v[96:97], v[34:35], a[0:3]
	ds_read_u16 v51, v205 offset:224
	ds_read_u16 v53, v205 offset:752
	;; [unrolled: 1-line block ×4, first 2 shown]
	v_cvt_f32_f16_e32 v97, v95
	v_cvt_f32_f16_sdwa v197, v94 dst_sel:DWORD dst_unused:UNUSED_PAD src0_sel:WORD_1
	s_waitcnt lgkmcnt(2)
	v_perm_b32 v94, v53, v51, s42
	s_waitcnt lgkmcnt(0)
	v_perm_b32 v95, v96, v57, s42
	v_accvgpr_read_b32 v100, a0
	v_accvgpr_read_b32 v249, a1
	;; [unrolled: 1-line block ×4, first 2 shown]
	v_accvgpr_write_b32 a0, v97
	v_accvgpr_write_b32 a1, v195
	;; [unrolled: 1-line block ×4, first 2 shown]
	v_cvt_f32_f16_e32 v197, v243
	s_nop 0
	v_mfma_f32_16x16x16_f16 a[0:3], v[94:95], v[38:39], a[0:3]
	ds_read_u16 v96, v205 offset:17120
	ds_read_u16 v97, v205 offset:17648
	;; [unrolled: 1-line block ×4, first 2 shown]
	s_waitcnt lgkmcnt(0)
	v_perm_b32 v95, v195, v95, s42
	s_nop 1
	v_accvgpr_read_b32 v51, a0
	v_accvgpr_read_b32 v53, a1
	;; [unrolled: 1-line block ×3, first 2 shown]
	v_cvt_f16_f32_e32 v51, v51
	v_cvt_f16_f32_e32 v53, v53
	;; [unrolled: 1-line block ×3, first 2 shown]
	v_accvgpr_read_b32 v94, a3
	v_cvt_f16_f32_e32 v94, v94
	v_cvt_f32_f16_e32 v51, v51
	v_cvt_f32_f16_e32 v53, v53
	;; [unrolled: 1-line block ×4, first 2 shown]
	v_perm_b32 v94, v97, v96, s42
	v_accvgpr_write_b32 a0, v51
	v_accvgpr_write_b32 a1, v53
	;; [unrolled: 1-line block ×3, first 2 shown]
	ds_read_u16 v51, v205 offset:256
	ds_read_u16 v53, v205 offset:784
	ds_read_u16 v57, v205 offset:1312
	ds_read_u16 v96, v206 offset:256
	v_accvgpr_write_b32 a3, v196
	v_cvt_f32_f16_e32 v195, v242
	v_cvt_f32_f16_sdwa v196, v242 dst_sel:DWORD dst_unused:UNUSED_PAD src0_sel:WORD_1
	v_mfma_f32_16x16x16_f16 a[0:3], v[94:95], v[34:35], a[0:3]
	s_waitcnt lgkmcnt(0)
	v_perm_b32 v97, v96, v57, s42
	v_perm_b32 v96, v53, v51, s42
	s_nop 4
	v_accvgpr_read_b32 v241, a0
	v_accvgpr_read_b32 v211, a1
	;; [unrolled: 1-line block ×4, first 2 shown]
	v_accvgpr_write_b32 a0, v195
	v_accvgpr_write_b32 a1, v196
	;; [unrolled: 1-line block ×4, first 2 shown]
	s_nop 1
	v_mfma_f32_16x16x16_f16 a[0:3], v[96:97], v[38:39], a[0:3]
	ds_read_u16 v195, v205 offset:17152
	ds_read_u16 v196, v205 offset:17680
	;; [unrolled: 1-line block ×4, first 2 shown]
	s_waitcnt lgkmcnt(0)
	v_perm_b32 v97, v197, v97, s42
	s_nop 1
	v_accvgpr_read_b32 v51, a0
	v_accvgpr_read_b32 v53, a1
	;; [unrolled: 1-line block ×4, first 2 shown]
	v_cvt_f16_f32_e32 v51, v51
	v_cvt_f16_f32_e32 v53, v53
	;; [unrolled: 1-line block ×4, first 2 shown]
	v_cvt_f32_f16_e32 v51, v51
	v_cvt_f32_f16_e32 v53, v53
	;; [unrolled: 1-line block ×4, first 2 shown]
	v_perm_b32 v96, v196, v195, s42
	v_accvgpr_write_b32 a0, v51
	v_accvgpr_write_b32 a1, v53
	;; [unrolled: 1-line block ×4, first 2 shown]
	v_cvt_f32_f16_e32 v196, v194
	v_cvt_f32_f16_sdwa v197, v194 dst_sel:DWORD dst_unused:UNUSED_PAD src0_sel:WORD_1
	v_mfma_f32_16x16x16_f16 a[0:3], v[96:97], v[34:35], a[0:3]
	ds_read_u16 v51, v205 offset:288
	ds_read_u16 v53, v205 offset:816
	;; [unrolled: 1-line block ×4, first 2 shown]
	v_cvt_f32_f16_e32 v208, v216
	v_cvt_f32_f16_sdwa v216, v216 dst_sel:DWORD dst_unused:UNUSED_PAD src0_sel:WORD_1
	s_waitcnt lgkmcnt(2)
	v_perm_b32 v194, v53, v51, s42
	s_waitcnt lgkmcnt(0)
	v_perm_b32 v195, v97, v57, s42
	v_accvgpr_read_b32 v242, a0
	v_accvgpr_read_b32 v243, a1
	;; [unrolled: 1-line block ×4, first 2 shown]
	v_accvgpr_write_b32 a0, v196
	v_accvgpr_write_b32 a1, v197
	;; [unrolled: 1-line block ×4, first 2 shown]
	v_cvt_f32_f16_e32 v208, v124
	v_cvt_f32_f16_sdwa v124, v124 dst_sel:DWORD dst_unused:UNUSED_PAD src0_sel:WORD_1
	v_mfma_f32_16x16x16_f16 a[0:3], v[194:195], v[38:39], a[0:3]
	ds_read_u16 v194, v205 offset:17184
	ds_read_u16 v196, v205 offset:17712
	;; [unrolled: 1-line block ×4, first 2 shown]
	v_cvt_pk_f16_f32 v242, v242, v243
	s_waitcnt lgkmcnt(2)
	v_perm_b32 v194, v196, v194, s42
	s_waitcnt lgkmcnt(0)
	v_perm_b32 v195, v197, v195, s42
	v_accvgpr_read_b32 v51, a0
	v_accvgpr_read_b32 v53, a1
	;; [unrolled: 1-line block ×4, first 2 shown]
	v_cvt_f16_f32_e32 v51, v51
	v_cvt_f16_f32_e32 v53, v53
	;; [unrolled: 1-line block ×4, first 2 shown]
	v_cvt_f32_f16_e32 v51, v51
	v_cvt_f32_f16_e32 v53, v53
	;; [unrolled: 1-line block ×4, first 2 shown]
	v_accvgpr_write_b32 a0, v51
	v_accvgpr_write_b32 a1, v53
	;; [unrolled: 1-line block ×4, first 2 shown]
	s_nop 1
	v_mfma_f32_16x16x16_f16 a[0:3], v[194:195], v[34:35], a[0:3]
	ds_read_u16 v51, v205 offset:320
	ds_read_u16 v53, v205 offset:848
	;; [unrolled: 1-line block ×4, first 2 shown]
	s_waitcnt lgkmcnt(2)
	v_perm_b32 v196, v53, v51, s42
	s_waitcnt lgkmcnt(0)
	v_perm_b32 v197, v195, v57, s42
	v_accvgpr_read_b32 v194, a0
	v_accvgpr_read_b32 v216, a1
	;; [unrolled: 1-line block ×4, first 2 shown]
	v_accvgpr_write_b32 a0, v208
	v_accvgpr_write_b32 a1, v124
	;; [unrolled: 1-line block ×4, first 2 shown]
	v_cvt_f32_f16_e32 v208, v122
	v_cvt_f32_f16_sdwa v122, v122 dst_sel:DWORD dst_unused:UNUSED_PAD src0_sel:WORD_1
	v_mfma_f32_16x16x16_f16 a[0:3], v[196:197], v[38:39], a[0:3]
	ds_read_u16 v124, v205 offset:17216
	ds_read_u16 v195, v205 offset:17744
	;; [unrolled: 1-line block ×4, first 2 shown]
	v_cvt_f32_f16_e32 v224, v121
	v_cvt_f32_f16_sdwa v121, v121 dst_sel:DWORD dst_unused:UNUSED_PAD src0_sel:WORD_1
	v_cvt_pk_f16_f32 v194, v194, v216
	v_cvt_pk_f16_f32 v216, v97, v229
	v_accvgpr_read_b32 v51, a0
	v_accvgpr_read_b32 v53, a1
	;; [unrolled: 1-line block ×3, first 2 shown]
	v_cvt_f16_f32_e32 v51, v51
	v_cvt_f16_f32_e32 v53, v53
	;; [unrolled: 1-line block ×3, first 2 shown]
	v_accvgpr_read_b32 v123, a3
	v_cvt_f16_f32_e32 v123, v123
	v_cvt_f32_f16_e32 v51, v51
	v_cvt_f32_f16_e32 v53, v53
	v_cvt_f32_f16_e32 v57, v57
	v_cvt_f32_f16_e32 v123, v123
	s_waitcnt lgkmcnt(0)
	v_perm_b32 v197, v197, v196, s42
	v_perm_b32 v196, v195, v124, s42
	v_accvgpr_write_b32 a0, v51
	v_accvgpr_write_b32 a1, v53
	v_accvgpr_write_b32 a2, v57
	ds_read_u16 v51, v205 offset:352
	ds_read_u16 v53, v205 offset:880
	;; [unrolled: 1-line block ×4, first 2 shown]
	v_accvgpr_write_b32 a3, v123
	v_cvt_pk_f16_f32 v229, v236, v96
	v_cvt_pk_f16_f32 v236, v241, v211
	v_mfma_f32_16x16x16_f16 a[0:3], v[196:197], v[34:35], a[0:3]
	s_waitcnt lgkmcnt(0)
	v_perm_b32 v197, v195, v57, s42
	v_perm_b32 v196, v53, v51, s42
	v_cvt_pk_f16_f32 v211, v94, v95
	v_cvt_pk_f16_f32 v96, v100, v249
	;; [unrolled: 1-line block ×6, first 2 shown]
	v_accvgpr_read_b32 v123, a0
	v_accvgpr_read_b32 v124, a1
	;; [unrolled: 1-line block ×4, first 2 shown]
	v_accvgpr_write_b32 a0, v208
	v_accvgpr_write_b32 a1, v122
	;; [unrolled: 1-line block ×4, first 2 shown]
	v_cvt_f32_f16_e32 v208, v120
	v_cvt_f32_f16_sdwa v120, v120 dst_sel:DWORD dst_unused:UNUSED_PAD src0_sel:WORD_1
	v_mfma_f32_16x16x16_f16 a[0:3], v[196:197], v[38:39], a[0:3]
	ds_read_u16 v122, v205 offset:17248
	ds_read_u16 v195, v205 offset:17776
	;; [unrolled: 1-line block ×4, first 2 shown]
	v_cvt_f32_f16_e32 v224, v119
	v_cvt_f32_f16_sdwa v119, v119 dst_sel:DWORD dst_unused:UNUSED_PAD src0_sel:WORD_1
	v_cvt_pk_f16_f32 v124, v123, v124
	v_cvt_pk_f16_f32 v123, v233, v234
	v_accvgpr_read_b32 v51, a0
	v_accvgpr_read_b32 v53, a1
	v_accvgpr_read_b32 v57, a2
	v_cvt_f16_f32_e32 v51, v51
	v_cvt_f16_f32_e32 v53, v53
	;; [unrolled: 1-line block ×3, first 2 shown]
	v_accvgpr_read_b32 v121, a3
	v_cvt_f16_f32_e32 v121, v121
	v_cvt_f32_f16_e32 v51, v51
	v_cvt_f32_f16_e32 v53, v53
	;; [unrolled: 1-line block ×4, first 2 shown]
	s_waitcnt lgkmcnt(0)
	v_perm_b32 v197, v197, v196, s42
	v_perm_b32 v196, v195, v122, s42
	v_accvgpr_write_b32 a0, v51
	v_accvgpr_write_b32 a1, v53
	;; [unrolled: 1-line block ×3, first 2 shown]
	ds_read_u16 v51, v205 offset:384
	ds_read_u16 v53, v205 offset:912
	;; [unrolled: 1-line block ×4, first 2 shown]
	v_accvgpr_write_b32 a3, v121
	v_cvt_pk_f16_f32 v193, v43, v44
	v_cvt_pk_f16_f32 v209, v1, v36
	v_mfma_f32_16x16x16_f16 a[0:3], v[196:197], v[34:35], a[0:3]
	s_waitcnt lgkmcnt(0)
	v_perm_b32 v197, v195, v57, s42
	v_perm_b32 v196, v53, v51, s42
	v_cvt_pk_f16_f32 v199, v40, v42
	s_nop 3
	v_accvgpr_read_b32 v121, a0
	v_accvgpr_read_b32 v122, a1
	;; [unrolled: 1-line block ×4, first 2 shown]
	v_accvgpr_write_b32 a0, v208
	v_accvgpr_write_b32 a1, v120
	;; [unrolled: 1-line block ×4, first 2 shown]
	v_cvt_f32_f16_e32 v208, v118
	v_cvt_f32_f16_sdwa v118, v118 dst_sel:DWORD dst_unused:UNUSED_PAD src0_sel:WORD_1
	v_mfma_f32_16x16x16_f16 a[0:3], v[196:197], v[38:39], a[0:3]
	ds_read_u16 v120, v205 offset:17280
	ds_read_u16 v195, v205 offset:17808
	;; [unrolled: 1-line block ×4, first 2 shown]
	v_cvt_pk_f16_f32 v122, v121, v122
	v_cvt_pk_f16_f32 v121, v252, v226
	s_waitcnt lgkmcnt(0)
	v_perm_b32 v197, v197, v196, s42
	v_accvgpr_read_b32 v51, a0
	v_accvgpr_read_b32 v53, a1
	;; [unrolled: 1-line block ×3, first 2 shown]
	v_cvt_f16_f32_e32 v51, v51
	v_cvt_f16_f32_e32 v53, v53
	;; [unrolled: 1-line block ×3, first 2 shown]
	v_accvgpr_read_b32 v119, a3
	v_cvt_f16_f32_e32 v119, v119
	v_cvt_f32_f16_e32 v51, v51
	v_cvt_f32_f16_e32 v53, v53
	;; [unrolled: 1-line block ×4, first 2 shown]
	v_perm_b32 v196, v195, v120, s42
	v_accvgpr_write_b32 a0, v51
	v_accvgpr_write_b32 a1, v53
	;; [unrolled: 1-line block ×3, first 2 shown]
	ds_read_u16 v51, v205 offset:416
	ds_read_u16 v53, v205 offset:944
	;; [unrolled: 1-line block ×4, first 2 shown]
	v_accvgpr_write_b32 a3, v119
	s_nop 1
	v_mfma_f32_16x16x16_f16 a[0:3], v[196:197], v[34:35], a[0:3]
	s_waitcnt lgkmcnt(0)
	v_perm_b32 v197, v195, v57, s42
	v_perm_b32 v196, v53, v51, s42
	s_nop 4
	v_accvgpr_read_b32 v119, a0
	v_accvgpr_read_b32 v120, a1
	;; [unrolled: 1-line block ×4, first 2 shown]
	v_accvgpr_write_b32 a0, v208
	v_accvgpr_write_b32 a1, v118
	;; [unrolled: 1-line block ×4, first 2 shown]
	v_cvt_pk_f16_f32 v120, v119, v120
	v_cvt_pk_f16_f32 v119, v238, v224
	v_mfma_f32_16x16x16_f16 a[0:3], v[196:197], v[38:39], a[0:3]
	ds_read_u16 v118, v205 offset:17312
	ds_read_u16 v195, v205 offset:17840
	;; [unrolled: 1-line block ×4, first 2 shown]
	s_waitcnt lgkmcnt(0)
	v_perm_b32 v197, v197, v196, s42
	s_nop 1
	v_accvgpr_read_b32 v51, a0
	v_accvgpr_read_b32 v53, a1
	;; [unrolled: 1-line block ×3, first 2 shown]
	v_cvt_f16_f32_e32 v51, v51
	v_cvt_f16_f32_e32 v53, v53
	;; [unrolled: 1-line block ×3, first 2 shown]
	v_accvgpr_read_b32 v117, a3
	v_cvt_f16_f32_e32 v117, v117
	v_cvt_f32_f16_e32 v51, v51
	v_cvt_f32_f16_e32 v53, v53
	;; [unrolled: 1-line block ×4, first 2 shown]
	v_perm_b32 v196, v195, v118, s42
	v_accvgpr_write_b32 a0, v51
	v_accvgpr_write_b32 a1, v53
	;; [unrolled: 1-line block ×3, first 2 shown]
	ds_read_u16 v51, v205 offset:448
	ds_read_u16 v53, v205 offset:976
	;; [unrolled: 1-line block ×4, first 2 shown]
	v_accvgpr_write_b32 a3, v117
	s_nop 1
	v_mfma_f32_16x16x16_f16 a[0:3], v[196:197], v[34:35], a[0:3]
	s_waitcnt lgkmcnt(0)
	v_perm_b32 v197, v195, v57, s42
	v_perm_b32 v196, v53, v51, s42
	s_nop 4
	v_accvgpr_read_b32 v117, a0
	v_accvgpr_read_b32 v118, a1
	;; [unrolled: 1-line block ×4, first 2 shown]
	v_accvgpr_write_b32 a0, v231
	v_accvgpr_write_b32 a1, v116
	;; [unrolled: 1-line block ×4, first 2 shown]
	v_cvt_f32_f16_e32 v198, v114
	v_cvt_f32_f16_sdwa v114, v114 dst_sel:DWORD dst_unused:UNUSED_PAD src0_sel:WORD_1
	v_mfma_f32_16x16x16_f16 a[0:3], v[196:197], v[38:39], a[0:3]
	ds_read_u16 v116, v205 offset:17344
	ds_read_u16 v195, v205 offset:17872
	;; [unrolled: 1-line block ×4, first 2 shown]
	v_cvt_f32_f16_e32 v231, v135
	v_cvt_f32_f16_sdwa v135, v135 dst_sel:DWORD dst_unused:UNUSED_PAD src0_sel:WORD_1
	v_cvt_pk_f16_f32 v118, v117, v118
	v_cvt_pk_f16_f32 v117, v225, v208
	v_accvgpr_read_b32 v51, a0
	v_accvgpr_read_b32 v53, a1
	;; [unrolled: 1-line block ×4, first 2 shown]
	v_cvt_f16_f32_e32 v51, v51
	v_cvt_f16_f32_e32 v53, v53
	;; [unrolled: 1-line block ×4, first 2 shown]
	v_cvt_f32_f16_e32 v51, v51
	v_cvt_f32_f16_e32 v53, v53
	;; [unrolled: 1-line block ×4, first 2 shown]
	s_waitcnt lgkmcnt(0)
	v_perm_b32 v197, v197, v196, s42
	v_perm_b32 v196, v195, v116, s42
	v_accvgpr_write_b32 a0, v51
	v_accvgpr_write_b32 a1, v53
	v_accvgpr_write_b32 a2, v57
	v_accvgpr_write_b32 a3, v115
	s_nop 1
	v_mfma_f32_16x16x16_f16 a[0:3], v[196:197], v[34:35], a[0:3]
	ds_read_u16 v57, v205 offset:480
	ds_read_u16 v195, v205 offset:1008
	;; [unrolled: 1-line block ×4, first 2 shown]
	s_waitcnt lgkmcnt(0)
	v_perm_b32 v197, v197, v196, s42
	v_perm_b32 v196, v195, v57, s42
	s_nop 0
	v_accvgpr_read_b32 v115, a0
	v_accvgpr_read_b32 v116, a1
	;; [unrolled: 1-line block ×4, first 2 shown]
	v_accvgpr_write_b32 a0, v198
	v_accvgpr_write_b32 a1, v114
	;; [unrolled: 1-line block ×4, first 2 shown]
	v_cvt_pk_f16_f32 v116, v115, v116
	v_cvt_pk_f16_f32 v115, v51, v53
	v_mfma_f32_16x16x16_f16 a[0:3], v[196:197], v[38:39], a[0:3]
	s_nop 7
	v_accvgpr_read_b32 v57, a2
	v_cvt_f16_f32_e32 v114, v57
	v_accvgpr_read_b32 v57, a3
	v_accvgpr_read_b32 v38, a0
	;; [unrolled: 1-line block ×3, first 2 shown]
	v_cvt_f16_f32_e32 v231, v57
	ds_read_u16 v135, v205 offset:17376
	ds_read_u16 v57, v205 offset:17904
	;; [unrolled: 1-line block ×4, first 2 shown]
	v_cvt_f16_f32_e32 v38, v38
	v_cvt_f16_f32_e32 v39, v39
	v_cvt_f32_f16_e32 v114, v114
	v_cvt_f32_f16_e32 v231, v231
	v_cvt_f32_f16_e32 v197, v38
	v_cvt_f32_f16_e32 v198, v39
	s_waitcnt lgkmcnt(0)
	v_perm_b32 v39, v196, v195, s42
	v_perm_b32 v38, v57, v135, s42
	v_accvgpr_write_b32 a0, v197
	v_accvgpr_write_b32 a1, v198
	;; [unrolled: 1-line block ×4, first 2 shown]
	s_barrier
	s_nop 0
	v_mfma_f32_16x16x16_f16 a[0:3], v[38:39], v[34:35], a[0:3]
	s_nop 7
	v_accvgpr_read_b32 v34, a0
	v_accvgpr_read_b32 v35, a1
	;; [unrolled: 1-line block ×4, first 2 shown]
	v_cvt_pk_f16_f32 v114, v34, v35
	v_cvt_pk_f16_f32 v231, v38, v39
	s_cbranch_vccz .LBB30_316
; %bb.313:                              ;   in Loop: Header=BB30_277 Depth=2
	v_mov_b32_e32 v51, v37
	v_mov_b32_e32 v53, v41
	s_andn2_b64 vcc, exec, s[44:45]
	s_cbranch_vccz .LBB30_272
	s_branch .LBB30_277
.LBB30_314:                             ;   in Loop: Header=BB30_277 Depth=2
                                        ; implicit-def: $vgpr34_vgpr35_vgpr36_vgpr37
                                        ; implicit-def: $vgpr42_vgpr43_vgpr44_vgpr45
	s_branch .LBB30_311
.LBB30_315:                             ;   in Loop: Header=BB30_14 Depth=1
	v_mov_b32_e32 v41, 0xfeffffff
	v_mov_b32_e32 v37, 0
	v_mov_b32_e32 v199, 0
	v_mov_b32_e32 v54, 0
	v_mov_b32_e32 v209, 0
	v_mov_b32_e32 v191, 0
	v_mov_b32_e32 v193, 0
	v_mov_b32_e32 v125, 0
	v_mov_b32_e32 v127, 0
	v_mov_b32_e32 v126, 0
	v_mov_b32_e32 v190, 0
	v_mov_b32_e32 v97, 0
	v_mov_b32_e32 v100, 0
	v_mov_b32_e32 v0, 0
	v_mov_b32_e32 v94, 0
	v_mov_b32_e32 v95, 0
	v_mov_b32_e32 v96, 0
	v_mov_b32_e32 v211, 0
	v_mov_b32_e32 v236, 0
	v_mov_b32_e32 v229, 0
	v_mov_b32_e32 v242, 0
	v_mov_b32_e32 v216, 0
	v_mov_b32_e32 v194, 0
	v_mov_b32_e32 v123, 0
	v_mov_b32_e32 v124, 0
	v_mov_b32_e32 v121, 0
	v_mov_b32_e32 v122, 0
	v_mov_b32_e32 v119, 0
	v_mov_b32_e32 v120, 0
	v_mov_b32_e32 v117, 0
	v_mov_b32_e32 v118, 0
	v_mov_b32_e32 v115, 0
	v_mov_b32_e32 v116, 0
	v_mov_b32_e32 v231, 0
	v_mov_b32_e32 v114, 0
	s_branch .LBB30_317
.LBB30_316:                             ;   in Loop: Header=BB30_14 Depth=1
	v_lshlrev_b32_e32 v54, 6, v54
	v_accvgpr_read_b32 v159, a46
	v_accvgpr_read_b32 v160, a47
	;; [unrolled: 1-line block ×11, first 2 shown]
.LBB30_317:                             ;   in Loop: Header=BB30_14 Depth=1
	v_cmp_eq_u64_e32 vcc, 0, v[136:137]
	v_readlane_b32 s46, v254, 3
	v_readlane_b32 s47, v254, 4
	s_nop 0
	v_sub_u32_e32 v1, s46, v54
	s_cbranch_vccnz .LBB30_327
; %bb.318:                              ;   in Loop: Header=BB30_14 Depth=1
	v_cmp_ge_i32_e32 vcc, v52, v1
	s_and_saveexec_b64 s[46:47], vcc
	s_xor_b64 s[46:47], exec, s[46:47]
	s_cbranch_execz .LBB30_320
; %bb.319:                              ;   in Loop: Header=BB30_14 Depth=1
	ds_write_b16 v227, v55 offset:33792
	ds_write_b16 v218, v55 offset:33792
                                        ; implicit-def: $vgpr103
                                        ; implicit-def: $vgpr105
                                        ; implicit-def: $vgpr106
                                        ; implicit-def: $vgpr109
.LBB30_320:                             ;   in Loop: Header=BB30_14 Depth=1
	s_or_saveexec_b64 s[46:47], s[46:47]
	v_lshlrev_b64 v[34:35], 1, v[54:55]
	v_lshl_add_u64 v[34:35], v[136:137], 0, v[34:35]
	v_lshlrev_b32_e32 v38, 1, v52
	v_mov_b32_e32 v39, v55
	v_lshl_add_u64 v[34:35], v[34:35], 0, v[38:39]
	v_mov_b32_e32 v36, 0
	v_mov_b32_e32 v38, 0
	s_xor_b64 exec, exec, s[46:47]
	s_cbranch_execz .LBB30_322
; %bb.321:                              ;   in Loop: Header=BB30_14 Depth=1
	v_mul_hi_u32 v36, s68, v103
	v_add_u32_e32 v36, v103, v36
	v_lshrrev_b32_e32 v36, s69, v36
	v_mul_lo_u32 v36, v36, s96
	v_sub_u32_e32 v36, v103, v36
	v_mad_i64_i32 v[38:39], s[48:49], v36, s86, 0
	v_lshl_add_u64 v[38:39], v[38:39], 1, v[34:35]
	global_load_ushort v36, v[38:39], off
	v_mul_hi_u32 v38, s68, v105
	v_add_u32_e32 v38, v105, v38
	v_lshrrev_b32_e32 v38, s69, v38
	v_mul_lo_u32 v38, v38, s96
	v_sub_u32_e32 v38, v105, v38
	v_mad_i64_i32 v[38:39], s[48:49], v38, s86, 0
	v_lshl_add_u64 v[38:39], v[38:39], 1, v[34:35]
	global_load_ushort v38, v[38:39], off
	s_waitcnt vmcnt(1)
	ds_write_b16 v227, v36 offset:33792
	s_waitcnt vmcnt(0)
	ds_write_b16 v218, v38 offset:33792
	v_mul_hi_u32 v36, s68, v106
	v_add_u32_e32 v36, v106, v36
	v_lshrrev_b32_e32 v36, s69, v36
	v_mul_lo_u32 v36, v36, s96
	v_sub_u32_e32 v36, v106, v36
	v_mad_i64_i32 v[38:39], s[48:49], v36, s86, 0
	v_lshl_add_u64 v[38:39], v[38:39], 1, v[34:35]
	global_load_ushort v36, v[38:39], off
	v_mul_hi_u32 v38, s68, v109
	v_add_u32_e32 v38, v109, v38
	v_lshrrev_b32_e32 v38, s69, v38
	v_mul_lo_u32 v38, v38, s96
	v_sub_u32_e32 v38, v109, v38
	v_mad_i64_i32 v[38:39], s[48:49], v38, s86, 0
	v_lshl_add_u64 v[38:39], v[38:39], 1, v[34:35]
	global_load_ushort v38, v[38:39], off
.LBB30_322:                             ;   in Loop: Header=BB30_14 Depth=1
	s_or_b64 exec, exec, s[46:47]
	s_waitcnt vmcnt(1)
	ds_write_b16 v217, v36 offset:33792
	s_waitcnt vmcnt(0)
	ds_write_b16 v223, v38 offset:33792
	s_and_saveexec_b64 s[46:47], vcc
	s_xor_b64 s[46:47], exec, s[46:47]
	s_cbranch_execz .LBB30_324
; %bb.323:                              ;   in Loop: Header=BB30_14 Depth=1
	ds_write_b16 v215, v55 offset:33792
	ds_write_b16 v214, v55 offset:33792
                                        ; implicit-def: $vgpr104
                                        ; implicit-def: $vgpr34_vgpr35
                                        ; implicit-def: $vgpr107
                                        ; implicit-def: $vgpr108
                                        ; implicit-def: $vgpr110
.LBB30_324:                             ;   in Loop: Header=BB30_14 Depth=1
	s_or_saveexec_b64 s[46:47], s[46:47]
	v_mov_b32_e32 v36, 0
	v_mov_b32_e32 v38, 0
	s_xor_b64 exec, exec, s[46:47]
	s_cbranch_execz .LBB30_326
; %bb.325:                              ;   in Loop: Header=BB30_14 Depth=1
	v_mul_hi_u32 v36, s68, v104
	v_add_u32_e32 v36, v104, v36
	v_lshrrev_b32_e32 v36, s69, v36
	v_mul_lo_u32 v36, v36, s96
	v_sub_u32_e32 v36, v104, v36
	v_mad_i64_i32 v[38:39], s[48:49], v36, s86, 0
	v_lshl_add_u64 v[38:39], v[38:39], 1, v[34:35]
	global_load_ushort v36, v[38:39], off
	v_mul_hi_u32 v38, s68, v107
	v_add_u32_e32 v38, v107, v38
	v_lshrrev_b32_e32 v38, s69, v38
	v_mul_lo_u32 v38, v38, s96
	v_sub_u32_e32 v38, v107, v38
	v_mad_i64_i32 v[38:39], s[48:49], v38, s86, 0
	v_lshl_add_u64 v[38:39], v[38:39], 1, v[34:35]
	global_load_ushort v38, v[38:39], off
	s_waitcnt vmcnt(1)
	ds_write_b16 v215, v36 offset:33792
	s_waitcnt vmcnt(0)
	ds_write_b16 v214, v38 offset:33792
	v_mul_hi_u32 v36, s68, v108
	v_add_u32_e32 v36, v108, v36
	v_lshrrev_b32_e32 v36, s69, v36
	v_mul_lo_u32 v36, v36, s96
	v_sub_u32_e32 v36, v108, v36
	v_mad_i64_i32 v[38:39], s[48:49], v36, s86, 0
	v_lshl_add_u64 v[38:39], v[38:39], 1, v[34:35]
	global_load_ushort v36, v[38:39], off
	v_mul_hi_u32 v38, s68, v110
	v_add_u32_e32 v38, v110, v38
	v_lshrrev_b32_e32 v38, s69, v38
	v_mul_lo_u32 v38, v38, s96
	v_sub_u32_e32 v38, v110, v38
	v_mad_i64_i32 v[38:39], s[48:49], v38, s86, 0
	v_lshl_add_u64 v[34:35], v[38:39], 1, v[34:35]
	global_load_ushort v38, v[34:35], off
.LBB30_326:                             ;   in Loop: Header=BB30_14 Depth=1
	s_or_b64 exec, exec, s[46:47]
	s_waitcnt vmcnt(1)
	ds_write_b16 v213, v36 offset:33792
	s_waitcnt vmcnt(0)
	ds_write_b16 v250, v38 offset:33792
.LBB30_327:                             ;   in Loop: Header=BB30_14 Depth=1
	v_mul_lo_u32 v34, v54, s79
	v_mul_hi_u32 v35, v54, s78
	v_add_u32_e32 v35, v35, v34
	v_mul_lo_u32 v34, v54, s78
	v_lshlrev_b64 v[34:35], 2, v[34:35]
	v_lshl_add_u64 v[38:39], v[138:139], 0, v[34:35]
	v_lshl_add_u64 v[42:43], v[60:61], 2, v[38:39]
	v_lshlrev_b32_e32 v34, 2, v56
	v_mov_b32_e32 v35, v55
	v_lshl_add_u64 v[42:43], v[42:43], 0, v[34:35]
	v_mov_b32_e32 v36, s43
	v_cmp_lt_i32_e64 s[46:47], v201, v1
	scratch_store_dwordx4 off, a[8:11], off
	v_lshl_add_u64 v[46:47], v[62:63], 2, v[38:39]
	v_cndmask_b32_e64 v43, v36, v43, s[46:47]
	v_cndmask_b32_e64 v42, v101, v42, s[46:47]
	flat_load_dwordx4 v[42:45], v[42:43]
	v_lshl_add_u64 v[46:47], v[46:47], 0, v[34:35]
	v_cmp_lt_i32_e64 s[48:49], v161, v1
	v_cmp_lt_i32_e64 s[50:51], v162, v1
	v_cmp_lt_i32_e64 s[52:53], v163, v1
	v_cndmask_b32_e64 v47, v36, v47, s[48:49]
	v_cndmask_b32_e64 v46, v101, v46, s[48:49]
	v_cmp_lt_i32_e64 s[54:55], v164, v1
	v_cmp_lt_i32_e64 s[56:57], v165, v1
	v_cmp_lt_i32_e64 s[58:59], v166, v1
	v_cmp_lt_i32_e64 s[60:61], v167, v1
	s_waitcnt vmcnt(0) lgkmcnt(0)
	ds_write_b128 v202, v[42:45]
	flat_load_dwordx4 v[42:45], v[46:47]
	v_lshl_add_u64 v[46:47], v[64:65], 2, v[38:39]
	v_lshl_add_u64 v[46:47], v[46:47], 0, v[34:35]
	v_cndmask_b32_e64 v47, v36, v47, s[50:51]
	v_cndmask_b32_e64 v46, v101, v46, s[50:51]
	s_waitcnt vmcnt(0) lgkmcnt(0)
	ds_write_b128 v248, v[42:45]
	flat_load_dwordx4 v[42:45], v[46:47]
	v_lshl_add_u64 v[46:47], v[66:67], 2, v[38:39]
	v_lshl_add_u64 v[46:47], v[46:47], 0, v[34:35]
	v_cndmask_b32_e64 v47, v36, v47, s[52:53]
	v_cndmask_b32_e64 v46, v101, v46, s[52:53]
	;; [unrolled: 7-line block ×5, first 2 shown]
	v_lshl_add_u64 v[38:39], v[74:75], 2, v[38:39]
	v_lshl_add_u64 v[38:39], v[38:39], 0, v[34:35]
	v_cndmask_b32_e64 v39, v36, v39, s[60:61]
	v_cndmask_b32_e64 v38, v101, v38, s[60:61]
	v_add_u32_e32 v35, 0x4000, v203
	s_waitcnt vmcnt(0) lgkmcnt(0)
	ds_write_b128 v221, v[42:45]
	flat_load_dwordx4 v[42:45], v[46:47]
	s_waitcnt vmcnt(0) lgkmcnt(0)
	ds_write_b128 v240, v[42:45]
	flat_load_dwordx4 v[42:45], v[38:39]
	s_waitcnt vmcnt(0) lgkmcnt(0)
	ds_write_b128 v239, v[42:45]
	s_waitcnt lgkmcnt(0)
	s_barrier
	ds_read2_b64 v[42:45], v203 offset1:4
	ds_read2_b64 v[46:49], v35 offset0:64 offset1:68
	s_waitcnt lgkmcnt(1)
	v_mfma_f32_16x16x16_f16 a[0:3], v[42:43], v[30:31], 0
	s_waitcnt lgkmcnt(0)
	v_mfma_f32_16x16x16_f16 a[4:7], v[46:47], v[30:31], 0
	v_mfma_f32_16x16x16_f16 a[0:3], v[44:45], v[32:33], a[0:3]
	ds_read2_b64 v[42:45], v35 offset0:72 offset1:76
	v_mfma_f32_16x16x16_f16 a[4:7], v[48:49], v[32:33], a[4:7]
	ds_read2_b64 v[30:33], v203 offset0:8 offset1:12
	s_waitcnt lgkmcnt(0)
	v_mfma_f32_16x16x16_f16 a[0:3], v[30:31], v[26:27], a[0:3]
	v_mfma_f32_16x16x16_f16 a[4:7], v[42:43], v[26:27], a[4:7]
	v_mfma_f32_16x16x16_f16 a[0:3], v[32:33], v[28:29], a[0:3]
	ds_read2_b64 v[30:33], v35 offset0:80 offset1:84
	v_mfma_f32_16x16x16_f16 a[4:7], v[44:45], v[28:29], a[4:7]
	ds_read2_b64 v[26:29], v203 offset0:16 offset1:20
	s_waitcnt lgkmcnt(0)
	v_mfma_f32_16x16x16_f16 a[0:3], v[26:27], v[22:23], a[0:3]
	;; [unrolled: 7-line block ×6, first 2 shown]
	v_mfma_f32_16x16x16_f16 a[4:7], v[14:15], v[6:7], a[4:7]
	v_mfma_f32_16x16x16_f16 a[0:3], v[12:13], v[8:9], a[0:3]
	ds_read2_b64 v[10:13], v35 offset0:120 offset1:124
	v_mfma_f32_16x16x16_f16 a[4:7], v[16:17], v[8:9], a[4:7]
	ds_read2_b64 v[6:9], v203 offset0:56 offset1:60
	s_waitcnt lgkmcnt(0)
	s_barrier
	v_mfma_f32_16x16x16_f16 a[0:3], v[6:7], v[2:3], a[0:3]
	v_mfma_f32_16x16x16_f16 a[12:15], v[10:11], v[2:3], a[4:7]
                                        ; implicit-def: $vgpr11
	v_mfma_f32_16x16x16_f16 a[4:7], v[8:9], v[4:5], a[0:3]
	v_mfma_f32_16x16x16_f16 a[0:3], v[12:13], v[4:5], a[12:15]
	s_nop 6
	v_accvgpr_read_b32 v10, a4
	v_cmp_nlt_f32_e64 s[62:63], |v10|, s94
	s_and_saveexec_b64 s[64:65], s[62:63]
	s_xor_b64 s[62:63], exec, s[64:65]
	s_cbranch_execz .LBB30_329
; %bb.328:                              ;   in Loop: Header=BB30_14 Depth=1
	v_add_f32_e64 v2, |v10|, |v10|
	v_mul_f32_e32 v3, 0x3fb8aa3b, v2
	v_rndne_f32_e32 v4, v3
	v_sub_f32_e32 v5, v3, v4
	v_fma_f32 v3, v2, s88, -v3
	v_fmac_f32_e32 v3, 0x32a5705f, v2
	v_add_f32_e32 v3, v5, v3
	v_cvt_i32_f32_e32 v4, v4
	v_exp_f32_e32 v3, v3
	v_cmp_ngt_f32_e32 vcc, s91, v2
	v_ldexp_f32 v3, v3, v4
	s_nop 0
	v_cndmask_b32_e32 v3, 0, v3, vcc
	v_cmp_nlt_f32_e32 vcc, s97, v2
	s_nop 1
	v_cndmask_b32_e32 v2, v99, v3, vcc
	v_add_f32_e32 v2, 1.0, v2
	v_rcp_f32_e32 v2, v2
	s_nop 0
	v_fma_f32 v11, v2, -2.0, 1.0
.LBB30_329:                             ;   in Loop: Header=BB30_14 Depth=1
	s_andn2_saveexec_b64 s[62:63], s[62:63]
; %bb.330:                              ;   in Loop: Header=BB30_14 Depth=1
	v_mul_f32_e32 v2, v10, v10
	v_fmamk_f32 v3, v2, 0xbbbac73d, v98
	v_fmaak_f32 v3, v2, v3, 0xbd5c1c4e
	v_fmaak_f32 v3, v2, v3, 0x3e088382
	;; [unrolled: 1-line block ×3, first 2 shown]
	v_mul_f32_e64 v3, |v10|, v3
	v_fma_f32 v11, v2, v3, |v10|
; %bb.331:                              ;   in Loop: Header=BB30_14 Depth=1
	s_or_b64 exec, exec, s[62:63]
	v_accvgpr_read_b32 v2, a4
	v_accvgpr_read_b32 v3, a5
	;; [unrolled: 1-line block ×4, first 2 shown]
	v_cmp_nlt_f32_e64 s[62:63], |v3|, s94
                                        ; implicit-def: $vgpr2
	s_and_saveexec_b64 s[64:65], s[62:63]
	s_xor_b64 s[62:63], exec, s[64:65]
	s_cbranch_execz .LBB30_333
; %bb.332:                              ;   in Loop: Header=BB30_14 Depth=1
	v_add_f32_e64 v2, |v3|, |v3|
	v_mul_f32_e32 v6, 0x3fb8aa3b, v2
	v_rndne_f32_e32 v7, v6
	v_sub_f32_e32 v8, v6, v7
	v_fma_f32 v6, v2, s88, -v6
	v_fmac_f32_e32 v6, 0x32a5705f, v2
	v_add_f32_e32 v6, v8, v6
	v_cvt_i32_f32_e32 v7, v7
	v_exp_f32_e32 v6, v6
	v_cmp_ngt_f32_e32 vcc, s91, v2
	v_ldexp_f32 v6, v6, v7
	s_nop 0
	v_cndmask_b32_e32 v6, 0, v6, vcc
	v_cmp_nlt_f32_e32 vcc, s97, v2
	s_nop 1
	v_cndmask_b32_e32 v2, v99, v6, vcc
	v_add_f32_e32 v2, 1.0, v2
	v_rcp_f32_e32 v2, v2
	s_nop 0
	v_fma_f32 v2, v2, -2.0, 1.0
.LBB30_333:                             ;   in Loop: Header=BB30_14 Depth=1
	s_andn2_saveexec_b64 s[62:63], s[62:63]
; %bb.334:                              ;   in Loop: Header=BB30_14 Depth=1
	v_mul_f32_e32 v2, v3, v3
	v_fmamk_f32 v6, v2, 0xbbbac73d, v98
	v_fmaak_f32 v6, v2, v6, 0xbd5c1c4e
	v_fmaak_f32 v6, v2, v6, 0x3e088382
	;; [unrolled: 1-line block ×3, first 2 shown]
	v_mul_f32_e64 v6, |v3|, v6
	v_fma_f32 v2, v2, v6, |v3|
; %bb.335:                              ;   in Loop: Header=BB30_14 Depth=1
	s_or_b64 exec, exec, s[62:63]
	v_cmp_nlt_f32_e64 s[62:63], |v4|, s94
                                        ; implicit-def: $vgpr12
	s_and_saveexec_b64 s[64:65], s[62:63]
	s_xor_b64 s[62:63], exec, s[64:65]
	s_cbranch_execz .LBB30_337
; %bb.336:                              ;   in Loop: Header=BB30_14 Depth=1
	v_add_f32_e64 v6, |v4|, |v4|
	v_mul_f32_e32 v7, 0x3fb8aa3b, v6
	v_rndne_f32_e32 v8, v7
	v_sub_f32_e32 v9, v7, v8
	v_fma_f32 v7, v6, s88, -v7
	v_fmac_f32_e32 v7, 0x32a5705f, v6
	v_add_f32_e32 v7, v9, v7
	v_cvt_i32_f32_e32 v8, v8
	v_exp_f32_e32 v7, v7
	v_cmp_ngt_f32_e32 vcc, s91, v6
	v_ldexp_f32 v7, v7, v8
	s_nop 0
	v_cndmask_b32_e32 v7, 0, v7, vcc
	v_cmp_nlt_f32_e32 vcc, s97, v6
	s_nop 1
	v_cndmask_b32_e32 v6, v99, v7, vcc
	v_add_f32_e32 v6, 1.0, v6
	v_rcp_f32_e32 v6, v6
	s_nop 0
	v_fma_f32 v12, v6, -2.0, 1.0
.LBB30_337:                             ;   in Loop: Header=BB30_14 Depth=1
	s_andn2_saveexec_b64 s[62:63], s[62:63]
; %bb.338:                              ;   in Loop: Header=BB30_14 Depth=1
	v_mul_f32_e32 v6, v4, v4
	v_fmamk_f32 v7, v6, 0xbbbac73d, v98
	v_fmaak_f32 v7, v6, v7, 0xbd5c1c4e
	v_fmaak_f32 v7, v6, v7, 0x3e088382
	;; [unrolled: 1-line block ×3, first 2 shown]
	v_mul_f32_e64 v7, |v4|, v7
	v_fma_f32 v12, v6, v7, |v4|
; %bb.339:                              ;   in Loop: Header=BB30_14 Depth=1
	s_or_b64 exec, exec, s[62:63]
	v_cmp_nlt_f32_e64 s[62:63], |v5|, s94
                                        ; implicit-def: $vgpr13
	s_and_saveexec_b64 s[64:65], s[62:63]
	s_xor_b64 s[62:63], exec, s[64:65]
	s_cbranch_execz .LBB30_341
; %bb.340:                              ;   in Loop: Header=BB30_14 Depth=1
	v_add_f32_e64 v6, |v5|, |v5|
	v_mul_f32_e32 v7, 0x3fb8aa3b, v6
	v_rndne_f32_e32 v8, v7
	v_sub_f32_e32 v9, v7, v8
	v_fma_f32 v7, v6, s88, -v7
	v_fmac_f32_e32 v7, 0x32a5705f, v6
	v_add_f32_e32 v7, v9, v7
	v_cvt_i32_f32_e32 v8, v8
	v_exp_f32_e32 v7, v7
	v_cmp_ngt_f32_e32 vcc, s91, v6
	v_ldexp_f32 v7, v7, v8
	s_nop 0
	v_cndmask_b32_e32 v7, 0, v7, vcc
	v_cmp_nlt_f32_e32 vcc, s97, v6
	s_nop 1
	v_cndmask_b32_e32 v6, v99, v7, vcc
	v_add_f32_e32 v6, 1.0, v6
	v_rcp_f32_e32 v6, v6
	s_nop 0
	v_fma_f32 v13, v6, -2.0, 1.0
.LBB30_341:                             ;   in Loop: Header=BB30_14 Depth=1
	s_andn2_saveexec_b64 s[62:63], s[62:63]
; %bb.342:                              ;   in Loop: Header=BB30_14 Depth=1
	v_mul_f32_e32 v6, v5, v5
	v_fmamk_f32 v7, v6, 0xbbbac73d, v98
	v_fmaak_f32 v7, v6, v7, 0xbd5c1c4e
	v_fmaak_f32 v7, v6, v7, 0x3e088382
	v_fmaak_f32 v7, v6, v7, 0xbeaaaa99
	v_mul_f32_e64 v7, |v5|, v7
	v_fma_f32 v13, v6, v7, |v5|
; %bb.343:                              ;   in Loop: Header=BB30_14 Depth=1
	s_or_b64 exec, exec, s[62:63]
	v_accvgpr_read_b32 v9, a3
	v_accvgpr_read_b32 v6, a0
	;; [unrolled: 1-line block ×4, first 2 shown]
	v_cmp_nlt_f32_e64 s[62:63], |v6|, s94
                                        ; implicit-def: $vgpr14
	s_and_saveexec_b64 s[64:65], s[62:63]
	s_xor_b64 s[62:63], exec, s[64:65]
	s_cbranch_execz .LBB30_345
; %bb.344:                              ;   in Loop: Header=BB30_14 Depth=1
	v_add_f32_e64 v14, |v6|, |v6|
	v_mul_f32_e32 v15, 0x3fb8aa3b, v14
	v_rndne_f32_e32 v16, v15
	v_sub_f32_e32 v17, v15, v16
	v_fma_f32 v15, v14, s88, -v15
	v_fmac_f32_e32 v15, 0x32a5705f, v14
	v_add_f32_e32 v15, v17, v15
	v_cvt_i32_f32_e32 v16, v16
	v_exp_f32_e32 v15, v15
	v_cmp_ngt_f32_e32 vcc, s91, v14
	v_ldexp_f32 v15, v15, v16
	s_nop 0
	v_cndmask_b32_e32 v15, 0, v15, vcc
	v_cmp_nlt_f32_e32 vcc, s97, v14
	s_nop 1
	v_cndmask_b32_e32 v14, v99, v15, vcc
	v_add_f32_e32 v14, 1.0, v14
	v_rcp_f32_e32 v14, v14
	s_nop 0
	v_fma_f32 v14, v14, -2.0, 1.0
.LBB30_345:                             ;   in Loop: Header=BB30_14 Depth=1
	s_andn2_saveexec_b64 s[62:63], s[62:63]
; %bb.346:                              ;   in Loop: Header=BB30_14 Depth=1
	v_mul_f32_e32 v14, v6, v6
	v_fmamk_f32 v15, v14, 0xbbbac73d, v98
	v_fmaak_f32 v15, v14, v15, 0xbd5c1c4e
	v_fmaak_f32 v15, v14, v15, 0x3e088382
	;; [unrolled: 1-line block ×3, first 2 shown]
	v_mul_f32_e64 v15, |v6|, v15
	v_fma_f32 v14, v14, v15, |v6|
; %bb.347:                              ;   in Loop: Header=BB30_14 Depth=1
	s_or_b64 exec, exec, s[62:63]
	v_cmp_nlt_f32_e64 s[62:63], |v7|, s94
                                        ; implicit-def: $vgpr15
	s_and_saveexec_b64 s[64:65], s[62:63]
	s_xor_b64 s[62:63], exec, s[64:65]
	s_cbranch_execz .LBB30_349
; %bb.348:                              ;   in Loop: Header=BB30_14 Depth=1
	v_add_f32_e64 v15, |v7|, |v7|
	v_mul_f32_e32 v16, 0x3fb8aa3b, v15
	v_rndne_f32_e32 v17, v16
	v_sub_f32_e32 v18, v16, v17
	v_fma_f32 v16, v15, s88, -v16
	v_fmac_f32_e32 v16, 0x32a5705f, v15
	v_add_f32_e32 v16, v18, v16
	v_cvt_i32_f32_e32 v17, v17
	v_exp_f32_e32 v16, v16
	v_cmp_ngt_f32_e32 vcc, s91, v15
	v_ldexp_f32 v16, v16, v17
	s_nop 0
	v_cndmask_b32_e32 v16, 0, v16, vcc
	v_cmp_nlt_f32_e32 vcc, s97, v15
	s_nop 1
	v_cndmask_b32_e32 v15, v99, v16, vcc
	v_add_f32_e32 v15, 1.0, v15
	v_rcp_f32_e32 v15, v15
	s_nop 0
	v_fma_f32 v15, v15, -2.0, 1.0
.LBB30_349:                             ;   in Loop: Header=BB30_14 Depth=1
	s_andn2_saveexec_b64 s[62:63], s[62:63]
; %bb.350:                              ;   in Loop: Header=BB30_14 Depth=1
	v_mul_f32_e32 v15, v7, v7
	v_fmamk_f32 v16, v15, 0xbbbac73d, v98
	v_fmaak_f32 v16, v15, v16, 0xbd5c1c4e
	v_fmaak_f32 v16, v15, v16, 0x3e088382
	;; [unrolled: 1-line block ×3, first 2 shown]
	v_mul_f32_e64 v16, |v7|, v16
	v_fma_f32 v15, v15, v16, |v7|
; %bb.351:                              ;   in Loop: Header=BB30_14 Depth=1
	s_or_b64 exec, exec, s[62:63]
	v_cmp_nlt_f32_e64 s[62:63], |v8|, s94
                                        ; implicit-def: $vgpr16
	s_and_saveexec_b64 s[64:65], s[62:63]
	s_xor_b64 s[62:63], exec, s[64:65]
	s_cbranch_execz .LBB30_353
; %bb.352:                              ;   in Loop: Header=BB30_14 Depth=1
	v_add_f32_e64 v16, |v8|, |v8|
	v_mul_f32_e32 v17, 0x3fb8aa3b, v16
	v_rndne_f32_e32 v18, v17
	v_sub_f32_e32 v19, v17, v18
	v_fma_f32 v17, v16, s88, -v17
	v_fmac_f32_e32 v17, 0x32a5705f, v16
	v_add_f32_e32 v17, v19, v17
	v_cvt_i32_f32_e32 v18, v18
	v_exp_f32_e32 v17, v17
	v_cmp_ngt_f32_e32 vcc, s91, v16
	v_ldexp_f32 v17, v17, v18
	s_nop 0
	v_cndmask_b32_e32 v17, 0, v17, vcc
	v_cmp_nlt_f32_e32 vcc, s97, v16
	s_nop 1
	v_cndmask_b32_e32 v16, v99, v17, vcc
	v_add_f32_e32 v16, 1.0, v16
	v_rcp_f32_e32 v16, v16
	s_nop 0
	v_fma_f32 v16, v16, -2.0, 1.0
.LBB30_353:                             ;   in Loop: Header=BB30_14 Depth=1
	s_andn2_saveexec_b64 s[62:63], s[62:63]
; %bb.354:                              ;   in Loop: Header=BB30_14 Depth=1
	v_mul_f32_e32 v16, v8, v8
	v_fmamk_f32 v17, v16, 0xbbbac73d, v98
	v_fmaak_f32 v17, v16, v17, 0xbd5c1c4e
	v_fmaak_f32 v17, v16, v17, 0x3e088382
	;; [unrolled: 1-line block ×3, first 2 shown]
	v_mul_f32_e64 v17, |v8|, v17
	v_fma_f32 v16, v16, v17, |v8|
; %bb.355:                              ;   in Loop: Header=BB30_14 Depth=1
	s_or_b64 exec, exec, s[62:63]
	v_cmp_nlt_f32_e64 s[62:63], |v9|, s94
                                        ; implicit-def: $vgpr18
	s_and_saveexec_b64 s[64:65], s[62:63]
	s_xor_b64 s[62:63], exec, s[64:65]
	s_cbranch_execz .LBB30_357
; %bb.356:                              ;   in Loop: Header=BB30_14 Depth=1
	v_add_f32_e64 v17, |v9|, |v9|
	v_mul_f32_e32 v18, 0x3fb8aa3b, v17
	v_rndne_f32_e32 v19, v18
	v_sub_f32_e32 v20, v18, v19
	v_fma_f32 v18, v17, s88, -v18
	v_fmac_f32_e32 v18, 0x32a5705f, v17
	v_add_f32_e32 v18, v20, v18
	v_cvt_i32_f32_e32 v19, v19
	v_exp_f32_e32 v18, v18
	v_cmp_ngt_f32_e32 vcc, s91, v17
	v_ldexp_f32 v18, v18, v19
	s_nop 0
	v_cndmask_b32_e32 v18, 0, v18, vcc
	v_cmp_nlt_f32_e32 vcc, s97, v17
	s_nop 1
	v_cndmask_b32_e32 v17, v99, v18, vcc
	v_add_f32_e32 v17, 1.0, v17
	v_rcp_f32_e32 v17, v17
	s_nop 0
	v_fma_f32 v18, v17, -2.0, 1.0
.LBB30_357:                             ;   in Loop: Header=BB30_14 Depth=1
	s_andn2_saveexec_b64 s[62:63], s[62:63]
; %bb.358:                              ;   in Loop: Header=BB30_14 Depth=1
	v_mul_f32_e32 v17, v9, v9
	v_fmamk_f32 v18, v17, 0xbbbac73d, v98
	v_fmaak_f32 v18, v17, v18, 0xbd5c1c4e
	v_fmaak_f32 v18, v17, v18, 0x3e088382
	;; [unrolled: 1-line block ×3, first 2 shown]
	v_mul_f32_e64 v18, |v9|, v18
	v_fma_f32 v18, v17, v18, |v9|
; %bb.359:                              ;   in Loop: Header=BB30_14 Depth=1
	s_or_b64 exec, exec, s[62:63]
	v_bfi_b32 v2, s92, v2, v3
	v_bfi_b32 v7, s92, v15, v7
	v_mul_f32_e32 v15, s3, v2
	v_bfi_b32 v2, s92, v12, v4
	v_bfi_b32 v8, s92, v16, v8
	v_mul_f32_e32 v16, s3, v2
	v_bfi_b32 v2, s92, v13, v5
	v_bfi_b32 v6, s92, v14, v6
	v_bfi_b32 v10, s92, v11, v10
	v_mul_f32_e32 v17, s3, v2
	v_bfi_b32 v2, s92, v18, v9
	v_mul_f32_e32 v6, s3, v6
	v_mul_f32_e32 v7, s3, v7
	;; [unrolled: 1-line block ×5, first 2 shown]
	s_and_b64 vcc, exec, s[44:45]
	s_cbranch_vccz .LBB30_451
; %bb.360:                              ;   in Loop: Header=BB30_14 Depth=1
	v_add_u32_e32 v2, 0x8400, v228
	ds_read2_b32 v[2:3], v2 offset1:1
	ds_read_b32 v4, v230 offset:33792
	ds_read_b32 v5, v232 offset:33792
	s_waitcnt lgkmcnt(2)
	v_cvt_f32_f16_e32 v10, v2
	v_cvt_f32_f16_sdwa v11, v2 dst_sel:DWORD dst_unused:UNUSED_PAD src0_sel:WORD_1
	v_cvt_f32_f16_e32 v2, v3
	v_cvt_f32_f16_sdwa v3, v3 dst_sel:DWORD dst_unused:UNUSED_PAD src0_sel:WORD_1
	s_waitcnt lgkmcnt(1)
	v_cvt_f32_f16_sdwa v19, v4 dst_sel:DWORD dst_unused:UNUSED_PAD src0_sel:WORD_1
	s_waitcnt lgkmcnt(0)
	v_cvt_f32_f16_sdwa v13, v5 dst_sel:DWORD dst_unused:UNUSED_PAD src0_sel:WORD_1
	v_cvt_f32_f16_e32 v12, v5
	v_cvt_f32_f16_e32 v18, v4
	v_pk_fma_f32 v[4:5], v[134:135], v[2:3], v[16:17] op_sel_hi:[0,1,1]
	v_pk_fma_f32 v[2:3], v[134:135], v[10:11], v[14:15] op_sel_hi:[0,1,1]
	;; [unrolled: 1-line block ×4, first 2 shown]
	s_cbranch_execnz .LBB30_362
.LBB30_361:                             ;   in Loop: Header=BB30_14 Depth=1
	v_mov_b64_e32 v[12:13], v[8:9]
	v_mov_b64_e32 v[2:3], v[14:15]
	;; [unrolled: 1-line block ×4, first 2 shown]
.LBB30_362:                             ;   in Loop: Header=BB30_14 Depth=1
	v_add_f32_e32 v6, 0x40051340, v2
	v_max_f32_e32 v7, v41, v41
	v_cmp_lt_u32_e64 s[70:71], v204, v1
	v_max_f32_e32 v6, v7, v6
	v_add_f32_e32 v7, 0x40051340, v3
	v_cndmask_b32_e64 v6, v41, v6, s[70:71]
	v_max_f32_e32 v8, v6, v6
	v_cmp_lt_u32_e64 s[72:73], v168, v1
	v_max_f32_e32 v7, v8, v7
	v_cmp_lt_u32_e64 s[74:75], v169, v1
	v_cndmask_b32_e64 v6, v6, v7, s[72:73]
	v_add_f32_e32 v7, 0x40051340, v4
	v_max_f32_e32 v8, v6, v6
	v_max_f32_e32 v7, v8, v7
	v_cndmask_b32_e64 v6, v6, v7, s[74:75]
	v_accvgpr_read_b32 v7, a101
	v_cmp_lt_u32_e64 s[66:67], v7, v1
	v_add_f32_e32 v7, 0x40051340, v5
	v_max_f32_e32 v8, v6, v6
	v_max_f32_e32 v7, v8, v7
	v_cndmask_b32_e64 v6, v6, v7, s[66:67]
	v_add_f32_e32 v7, 0x40051340, v10
	v_max_f32_e32 v8, v6, v6
	v_cmp_lt_u32_e64 s[64:65], v159, v1
	v_max_f32_e32 v7, v8, v7
	v_cmp_lt_u32_e64 s[44:45], v160, v1
	v_cndmask_b32_e64 v6, v6, v7, s[64:65]
	v_accvgpr_read_b32 v7, a102
	v_cmp_lt_u32_e64 s[62:63], v7, v1
	v_add_f32_e32 v7, 0x40051340, v11
	v_max_f32_e32 v8, v6, v6
	v_max_f32_e32 v7, v8, v7
	v_cndmask_b32_e64 v6, v6, v7, s[62:63]
	v_add_f32_e32 v7, 0x40051340, v12
	v_max_f32_e32 v8, v6, v6
	v_max_f32_e32 v7, v8, v7
	v_cndmask_b32_e64 v6, v6, v7, s[44:45]
	v_accvgpr_read_b32 v7, a103
	v_cmp_lt_u32_e32 vcc, v7, v1
	v_add_f32_e32 v1, 0x40051340, v13
	v_max_f32_e32 v7, v6, v6
	v_max_f32_e32 v1, v7, v1
	v_cndmask_b32_e32 v1, v6, v1, vcc
	v_and_b32_e32 v6, 64, v220
	v_add_u32_e32 v6, 64, v6
	v_xor_b32_e32 v7, 32, v220
	v_cmp_lt_i32_e64 s[76:77], v7, v6
	v_mov_b32_e32 v35, v55
	v_mov_b32_e32 v18, s43
	v_cndmask_b32_e64 v7, v220, v7, s[76:77]
	v_lshlrev_b32_e32 v15, 2, v7
	ds_bpermute_b32 v7, v15, v1
	v_max_f32_e32 v1, v1, v1
	scratch_store_dwordx4 off, a[8:11], off
	s_waitcnt lgkmcnt(0)
	v_max_f32_e32 v7, v7, v7
	v_max_f32_e32 v1, v1, v7
	v_xor_b32_e32 v7, 16, v220
	v_cmp_lt_i32_e64 s[76:77], v7, v6
	s_nop 1
	v_cndmask_b32_e64 v6, v220, v7, s[76:77]
	v_lshlrev_b32_e32 v9, 2, v6
	ds_bpermute_b32 v6, v9, v1
	s_waitcnt lgkmcnt(0)
	v_max_f32_e32 v6, v6, v6
	v_max_f32_e32 v14, v1, v6
	v_sub_f32_e32 v1, v2, v14
	v_mul_f32_e32 v2, 0x3fb8aa3b, v1
	v_fma_f32 v6, v1, s88, -v2
	v_rndne_f32_e32 v7, v2
	v_fmac_f32_e32 v6, 0x32a5705f, v1
	v_sub_f32_e32 v2, v2, v7
	v_add_f32_e32 v2, v2, v6
	v_exp_f32_e32 v2, v2
	v_cvt_i32_f32_e32 v6, v7
	v_cmp_ngt_f32_e64 s[76:77], s91, v1
	v_ldexp_f32 v2, v2, v6
	s_nop 0
	v_cndmask_b32_e64 v2, 0, v2, s[76:77]
	v_cmp_nlt_f32_e64 s[76:77], s97, v1
	s_nop 1
	v_cndmask_b32_e64 v1, v99, v2, s[76:77]
	v_cndmask_b32_e64 v6, 0, v1, s[70:71]
	v_sub_f32_e32 v1, v3, v14
	v_mul_f32_e32 v2, 0x3fb8aa3b, v1
	v_fma_f32 v3, v1, s88, -v2
	v_rndne_f32_e32 v7, v2
	v_fmac_f32_e32 v3, 0x32a5705f, v1
	v_sub_f32_e32 v2, v2, v7
	v_add_f32_e32 v2, v2, v3
	v_exp_f32_e32 v2, v2
	v_cvt_i32_f32_e32 v3, v7
	v_cmp_ngt_f32_e64 s[70:71], s91, v1
	v_ldexp_f32 v2, v2, v3
	s_nop 0
	v_cndmask_b32_e64 v2, 0, v2, s[70:71]
	v_cmp_nlt_f32_e64 s[70:71], s97, v1
	v_mov_b32_e32 v1, s41
	s_nop 0
	v_cndmask_b32_e64 v2, v99, v2, s[70:71]
	v_add_f32_e32 v7, v2, v6
	v_cndmask_b32_e64 v3, v1, v2, s[72:73]
	v_sub_f32_e32 v2, v4, v14
	v_mul_f32_e32 v4, 0x3fb8aa3b, v2
	v_cndmask_b32_e64 v1, v6, v7, s[72:73]
	v_fma_f32 v7, v2, s88, -v4
	v_rndne_f32_e32 v8, v4
	v_fmac_f32_e32 v7, 0x32a5705f, v2
	v_sub_f32_e32 v4, v4, v8
	v_add_f32_e32 v4, v4, v7
	v_exp_f32_e32 v4, v4
	v_cvt_i32_f32_e32 v7, v8
	v_cmp_ngt_f32_e64 s[70:71], s91, v2
	v_cvt_pk_f16_f32 v6, v6, v3
	v_ldexp_f32 v4, v4, v7
	v_cndmask_b32_e64 v4, 0, v4, s[70:71]
	v_cmp_nlt_f32_e64 s[70:71], s97, v2
	v_mov_b32_e32 v2, s41
	s_nop 0
	v_cndmask_b32_e64 v4, v99, v4, s[70:71]
	v_cndmask_b32_e64 v8, v2, v4, s[74:75]
	v_sub_f32_e32 v2, v5, v14
	v_add_f32_e32 v7, v1, v4
	v_mul_f32_e32 v4, 0x3fb8aa3b, v2
	v_cndmask_b32_e64 v1, v1, v7, s[74:75]
	v_fma_f32 v5, v2, s88, -v4
	v_rndne_f32_e32 v7, v4
	v_fmac_f32_e32 v5, 0x32a5705f, v2
	v_sub_f32_e32 v4, v4, v7
	v_add_f32_e32 v4, v4, v5
	v_exp_f32_e32 v4, v4
	v_cvt_i32_f32_e32 v5, v7
	v_cmp_ngt_f32_e64 s[70:71], s91, v2
	v_ldexp_f32 v4, v4, v5
	s_nop 0
	v_cndmask_b32_e64 v4, 0, v4, s[70:71]
	v_cmp_nlt_f32_e64 s[70:71], s97, v2
	v_mov_b32_e32 v5, s41
	s_nop 0
	v_cndmask_b32_e64 v2, v99, v4, s[70:71]
	v_add_f32_e32 v4, v1, v2
	v_cndmask_b32_e64 v7, v5, v2, s[66:67]
	v_sub_f32_e32 v2, v10, v14
	v_cndmask_b32_e64 v1, v1, v4, s[66:67]
	v_mul_f32_e32 v4, 0x3fb8aa3b, v2
	v_fma_f32 v5, v2, s88, -v4
	v_rndne_f32_e32 v10, v4
	v_fmac_f32_e32 v5, 0x32a5705f, v2
	v_sub_f32_e32 v4, v4, v10
	v_add_f32_e32 v4, v4, v5
	v_exp_f32_e32 v4, v4
	v_cvt_i32_f32_e32 v5, v10
	v_cmp_ngt_f32_e64 s[66:67], s91, v2
	v_cvt_pk_f16_f32 v7, v8, v7
	v_ldexp_f32 v4, v4, v5
	v_cndmask_b32_e64 v4, 0, v4, s[66:67]
	v_cmp_nlt_f32_e64 s[66:67], s97, v2
	v_mov_b32_e32 v2, s41
	s_nop 0
	v_cndmask_b32_e64 v4, v99, v4, s[66:67]
	v_add_f32_e32 v5, v4, v1
	v_cndmask_b32_e64 v2, v2, v4, s[64:65]
	v_cndmask_b32_e64 v4, v1, v5, s[64:65]
	v_sub_f32_e32 v1, v11, v14
	v_mul_f32_e32 v5, 0x3fb8aa3b, v1
	v_fma_f32 v10, v1, s88, -v5
	v_rndne_f32_e32 v11, v5
	v_fmac_f32_e32 v10, 0x32a5705f, v1
	v_sub_f32_e32 v5, v5, v11
	v_add_f32_e32 v5, v5, v10
	v_exp_f32_e32 v5, v5
	v_cvt_i32_f32_e32 v10, v11
	v_cmp_ngt_f32_e64 s[64:65], s91, v1
	v_ldexp_f32 v5, v5, v10
	s_nop 0
	v_cndmask_b32_e64 v5, 0, v5, s[64:65]
	v_cmp_nlt_f32_e64 s[64:65], s97, v1
	v_mov_b32_e32 v1, s41
	s_nop 0
	v_cndmask_b32_e64 v5, v99, v5, s[64:65]
	v_add_f32_e32 v10, v5, v4
	v_cndmask_b32_e64 v1, v1, v5, s[62:63]
	v_cndmask_b32_e64 v5, v4, v10, s[62:63]
	v_sub_f32_e32 v4, v12, v14
	v_mul_f32_e32 v10, 0x3fb8aa3b, v4
	v_fma_f32 v11, v4, s88, -v10
	v_rndne_f32_e32 v12, v10
	v_fmac_f32_e32 v11, 0x32a5705f, v4
	v_sub_f32_e32 v10, v10, v12
	v_add_f32_e32 v10, v10, v11
	v_exp_f32_e32 v10, v10
	v_cvt_i32_f32_e32 v11, v12
	v_cmp_ngt_f32_e64 s[62:63], s91, v4
	v_cvt_pk_f16_f32 v2, v2, v1
	v_ldexp_f32 v10, v10, v11
	v_cndmask_b32_e64 v10, 0, v10, s[62:63]
	v_cmp_nlt_f32_e64 s[62:63], s97, v4
	v_mov_b32_e32 v4, s41
	s_nop 0
	v_cndmask_b32_e64 v10, v99, v10, s[62:63]
	v_add_f32_e32 v11, v10, v5
	v_cndmask_b32_e64 v4, v4, v10, s[44:45]
	v_cndmask_b32_e64 v10, v5, v11, s[44:45]
	v_sub_f32_e32 v5, v13, v14
	v_mul_f32_e32 v11, 0x3fb8aa3b, v5
	v_fma_f32 v12, v5, s88, -v11
	v_rndne_f32_e32 v13, v11
	v_fmac_f32_e32 v12, 0x32a5705f, v5
	v_sub_f32_e32 v11, v11, v13
	v_add_f32_e32 v11, v11, v12
	v_exp_f32_e32 v11, v11
	v_cvt_i32_f32_e32 v12, v13
	v_cmp_ngt_f32_e64 s[44:45], s91, v5
	v_ldexp_f32 v11, v11, v12
	s_nop 0
	v_cndmask_b32_e64 v11, 0, v11, s[44:45]
	v_cmp_nlt_f32_e64 s[44:45], s97, v5
	v_mov_b32_e32 v5, s41
	s_nop 0
	v_cndmask_b32_e64 v11, v99, v11, s[44:45]
	v_add_f32_e32 v12, v11, v10
	v_cndmask_b32_e32 v103, v5, v11, vcc
	v_sub_f32_e32 v5, v41, v14
	v_cndmask_b32_e32 v22, v10, v12, vcc
	v_mul_f32_e32 v10, 0x3fb8aa3b, v5
	v_fma_f32 v11, v5, s88, -v10
	v_rndne_f32_e32 v12, v10
	v_fmac_f32_e32 v11, 0x32a5705f, v5
	v_sub_f32_e32 v10, v10, v12
	v_add_f32_e32 v10, v10, v11
	v_exp_f32_e32 v10, v10
	v_cvt_i32_f32_e32 v11, v12
	v_cmp_ngt_f32_e32 vcc, s91, v5
	v_ldexp_f32 v10, v10, v11
	s_nop 0
	v_cndmask_b32_e32 v10, 0, v10, vcc
	v_cmp_nlt_f32_e32 vcc, s97, v5
	v_mul_hi_u32 v11, v54, s98
	s_nop 0
	v_cndmask_b32_e32 v10, v99, v10, vcc
	v_cmp_le_f32_e32 vcc, s5, v5
	s_nop 1
	v_cndmask_b32_e32 v5, 0, v10, vcc
	v_fmac_f32_e32 v22, v37, v5
	v_cvt_f16_f32_e32 v5, v5
	ds_bpermute_b32 v15, v15, v22
	v_cmp_ne_u64_e32 vcc, 0, v[130:131]
	v_mul_u32_u24_e32 v10, 0x10001, v5
	v_pk_mul_f16 v106, v209, v10
	v_pk_mul_f16 v104, v199, v10
	;; [unrolled: 1-line block ×32, first 2 shown]
	v_mul_lo_u32 v10, v54, s99
	v_add_u32_e32 v11, v11, v10
	v_mul_lo_u32 v10, v54, s98
	v_lshlrev_b64 v[10:11], 2, v[10:11]
	v_lshl_add_u64 v[12:13], v[132:133], 0, v[10:11]
	v_lshl_add_u64 v[10:11], v[76:77], 2, v[12:13]
	;; [unrolled: 1-line block ×3, first 2 shown]
	v_cndmask_b32_e64 v97, v18, v11, s[46:47]
	v_cndmask_b32_e64 v96, v101, v10, s[46:47]
	flat_load_dwordx4 v[108:111], v[96:97]
	v_lshl_add_u64 v[10:11], v[78:79], 2, v[12:13]
	v_lshl_add_u64 v[10:11], v[10:11], 0, v[34:35]
	v_cndmask_b32_e64 v113, v18, v11, s[48:49]
	v_cndmask_b32_e64 v112, v101, v10, s[48:49]
	v_lshl_add_u64 v[10:11], v[80:81], 2, v[12:13]
	v_lshl_add_u64 v[10:11], v[10:11], 0, v[34:35]
	v_cndmask_b32_e64 v115, v18, v11, s[50:51]
	v_cndmask_b32_e64 v114, v101, v10, s[50:51]
	v_lshl_add_u64 v[10:11], v[82:83], 2, v[12:13]
	v_lshl_add_u64 v[10:11], v[10:11], 0, v[34:35]
	v_cndmask_b32_e64 v117, v18, v11, s[52:53]
	v_cndmask_b32_e64 v116, v101, v10, s[52:53]
	v_lshl_add_u64 v[16:17], v[86:87], 2, v[12:13]
	v_lshl_add_u64 v[10:11], v[84:85], 2, v[12:13]
	;; [unrolled: 1-line block ×4, first 2 shown]
	v_cndmask_b32_e64 v21, v18, v17, s[56:57]
	v_cndmask_b32_e64 v20, v101, v16, s[56:57]
	v_lshl_add_u64 v[16:17], v[88:89], 2, v[12:13]
	v_lshl_add_u64 v[12:13], v[90:91], 2, v[12:13]
	v_cndmask_b32_e64 v11, v18, v11, s[54:55]
	v_cndmask_b32_e64 v10, v101, v10, s[54:55]
	v_lshl_add_u64 v[16:17], v[16:17], 0, v[34:35]
	v_lshl_add_u64 v[12:13], v[12:13], 0, v[34:35]
	v_cndmask_b32_e64 v17, v18, v17, s[58:59]
	v_cndmask_b32_e64 v19, v18, v13, s[60:61]
	;; [unrolled: 1-line block ×4, first 2 shown]
	v_cvt_f32_f16_sdwa v35, v46 dst_sel:DWORD dst_unused:UNUSED_PAD src0_sel:WORD_1
	v_cvt_f32_f16_e32 v51, v45
	v_cvt_f32_f16_sdwa v53, v45 dst_sel:DWORD dst_unused:UNUSED_PAD src0_sel:WORD_1
	v_cvt_f32_f16_e32 v54, v44
	;; [unrolled: 2-line block ×14, first 2 shown]
	v_cvt_f32_f16_sdwa v23, v23 dst_sel:DWORD dst_unused:UNUSED_PAD src0_sel:WORD_1
	s_waitcnt lgkmcnt(0)
	v_add_f32_e32 v15, v22, v15
	ds_bpermute_b32 v22, v9, v15
	v_readlane_b32 s50, v254, 51
	v_readlane_b32 s51, v254, 52
	s_and_b64 s[46:47], s[50:51], vcc
	s_waitcnt lgkmcnt(0)
	v_add_f32_e32 v15, v15, v22
	s_waitcnt vmcnt(0)
	ds_write_b128 v202, v[108:111]
	flat_load_dwordx4 v[108:111], v[112:113]
	s_waitcnt vmcnt(0) lgkmcnt(0)
	ds_write_b128 v248, v[108:111]
	flat_load_dwordx4 v[108:111], v[114:115]
	s_waitcnt vmcnt(0) lgkmcnt(0)
	ds_write_b128 v246, v[108:111]
	flat_load_dwordx4 v[108:111], v[116:117]
	v_cvt_f32_f16_e32 v116, v38
	v_cvt_f32_f16_sdwa v38, v38 dst_sel:DWORD dst_unused:UNUSED_PAD src0_sel:WORD_1
	v_cvt_f32_f16_e32 v117, v37
	v_cvt_f32_f16_sdwa v37, v37 dst_sel:DWORD dst_unused:UNUSED_PAD src0_sel:WORD_1
	s_waitcnt vmcnt(0) lgkmcnt(0)
	ds_write_b128 v244, v[108:111]
	flat_load_dwordx4 v[10:13], v[10:11]
	s_waitcnt vmcnt(0) lgkmcnt(0)
	ds_write_b128 v212, v[10:13]
	flat_load_dwordx4 v[10:13], v[20:21]
	;; [unrolled: 3-line block ×4, first 2 shown]
	v_cvt_f32_f16_e32 v18, v104
	v_cvt_f32_f16_sdwa v19, v104 dst_sel:DWORD dst_unused:UNUSED_PAD src0_sel:WORD_1
	v_accvgpr_write_b32 a2, v18
	v_accvgpr_write_b32 a3, v19
	s_waitcnt vmcnt(0) lgkmcnt(0)
	ds_write_b128 v239, v[10:13]
	s_waitcnt lgkmcnt(0)
	s_barrier
	ds_read_u16 v10, v205 offset:528
	ds_read_u16 v11, v205 offset:1056
	ds_read_u16 v17, v206
	ds_read_u16 v16, v206 offset:32
	v_cvt_f32_f16_e32 v12, v106
	v_cvt_f32_f16_sdwa v13, v106 dst_sel:DWORD dst_unused:UNUSED_PAD src0_sel:WORD_1
	v_cvt_f32_f16_e32 v106, v48
	s_waitcnt lgkmcnt(1)
	v_perm_b32 v11, v17, v11, s42
	ds_read_u16 v20, v205
	ds_read_u16 v17, v205 offset:32
	v_accvgpr_write_b32 a0, v12
	v_accvgpr_write_b32 a1, v13
	ds_read_u16 v12, v205 offset:16896
	ds_read_u16 v13, v205 offset:17424
	;; [unrolled: 1-line block ×4, first 2 shown]
	s_waitcnt lgkmcnt(5)
	v_perm_b32 v10, v10, v20, s42
	v_cvt_f32_f16_sdwa v48, v48 dst_sel:DWORD dst_unused:UNUSED_PAD src0_sel:WORD_1
	s_nop 0
	v_mfma_f32_16x16x16_f16 a[0:3], v[10:11], v[6:7], a[0:3]
	s_nop 7
	v_accvgpr_read_b32 v3, a0
	v_accvgpr_read_b32 v8, a1
	;; [unrolled: 1-line block ×4, first 2 shown]
	v_cvt_f16_f32_e32 v3, v3
	v_cvt_f16_f32_e32 v8, v8
	;; [unrolled: 1-line block ×4, first 2 shown]
	v_cvt_f32_f16_e32 v20, v3
	v_cvt_f32_f16_e32 v8, v8
	;; [unrolled: 1-line block ×4, first 2 shown]
	s_waitcnt lgkmcnt(0)
	v_perm_b32 v11, v19, v18, s42
	v_perm_b32 v10, v13, v12, s42
	v_cvt_pk_f16_f32 v3, v4, v103
	v_accvgpr_write_b32 a0, v20
	v_accvgpr_write_b32 a1, v8
	;; [unrolled: 1-line block ×4, first 2 shown]
	v_cvt_f32_f16_e32 v20, v47
	v_cvt_f32_f16_sdwa v21, v47 dst_sel:DWORD dst_unused:UNUSED_PAD src0_sel:WORD_1
	v_mfma_f32_16x16x16_f16 a[0:3], v[10:11], v[2:3], a[0:3]
	v_cvt_f32_f16_e32 v34, v46
	v_cvt_f32_f16_e32 v46, v42
	v_cvt_f32_f16_sdwa v42, v42 dst_sel:DWORD dst_unused:UNUSED_PAD src0_sel:WORD_1
	v_cvt_f32_f16_e32 v47, v41
	v_cvt_f32_f16_sdwa v41, v41 dst_sel:DWORD dst_unused:UNUSED_PAD src0_sel:WORD_1
	s_nop 2
	v_accvgpr_read_b32 v1, a2
	v_accvgpr_read_b32 v4, a3
	v_cvt_f16_f32_e32 v1, v1
	v_cvt_f16_f32_e32 v4, v4
	v_accvgpr_read_b32 v10, a0
	v_accvgpr_read_b32 v11, a1
	v_accvgpr_write_b32 a0, v20
	v_perm_b32 v1, v4, v1, s42
	ds_read_u16 v4, v205 offset:560
	ds_read_u16 v8, v205 offset:1088
	v_accvgpr_write_b32 a1, v21
	v_accvgpr_write_b32 a2, v34
	v_accvgpr_write_b32 a3, v35
	s_waitcnt lgkmcnt(1)
	v_perm_b32 v18, v4, v17, s42
	s_waitcnt lgkmcnt(0)
	v_perm_b32 v19, v16, v8, s42
	v_cvt_f16_f32_e32 v12, v10
	v_cvt_f16_f32_e32 v13, v11
	v_mfma_f32_16x16x16_f16 a[0:3], v[18:19], v[6:7], a[0:3]
	ds_read_u16 v18, v205 offset:16928
	ds_read_u16 v19, v205 offset:17456
	;; [unrolled: 1-line block ×4, first 2 shown]
	v_perm_b32 v12, v13, v12, s42
	s_nop 2
	v_accvgpr_read_b32 v4, a0
	v_accvgpr_read_b32 v8, a1
	;; [unrolled: 1-line block ×4, first 2 shown]
	v_cvt_f16_f32_e32 v4, v4
	v_cvt_f16_f32_e32 v8, v8
	;; [unrolled: 1-line block ×4, first 2 shown]
	v_cvt_f32_f16_e32 v4, v4
	v_cvt_f32_f16_e32 v8, v8
	;; [unrolled: 1-line block ×4, first 2 shown]
	s_waitcnt lgkmcnt(0)
	v_perm_b32 v17, v21, v20, s42
	v_perm_b32 v16, v19, v18, s42
	v_accvgpr_write_b32 a0, v4
	v_accvgpr_write_b32 a1, v8
	;; [unrolled: 1-line block ×4, first 2 shown]
	s_nop 1
	v_mfma_f32_16x16x16_f16 a[0:3], v[16:17], v[2:3], a[0:3]
	s_nop 7
	v_accvgpr_read_b32 v4, a2
	v_accvgpr_read_b32 v8, a3
	v_cvt_f16_f32_e32 v4, v4
	v_cvt_f16_f32_e32 v8, v8
	v_accvgpr_read_b32 v17, a0
	v_accvgpr_read_b32 v18, a1
	v_accvgpr_write_b32 a0, v46
	v_perm_b32 v8, v8, v4, s42
	ds_read_u16 v4, v205 offset:64
	ds_read_u16 v16, v205 offset:592
	;; [unrolled: 1-line block ×4, first 2 shown]
	v_accvgpr_write_b32 a1, v42
	v_accvgpr_write_b32 a2, v47
	;; [unrolled: 1-line block ×3, first 2 shown]
	v_cvt_f16_f32_e32 v19, v17
	s_waitcnt lgkmcnt(0)
	v_perm_b32 v35, v34, v21, s42
	v_perm_b32 v34, v16, v4, s42
	v_cvt_f16_f32_e32 v20, v18
	v_perm_b32 v19, v20, v19, s42
	v_mfma_f32_16x16x16_f16 a[0:3], v[34:35], v[6:7], a[0:3]
	ds_read_u16 v41, v205 offset:16960
	ds_read_u16 v42, v205 offset:17488
	;; [unrolled: 1-line block ×4, first 2 shown]
	s_waitcnt lgkmcnt(0)
	v_perm_b32 v35, v46, v35, s42
	s_nop 1
	v_accvgpr_read_b32 v4, a0
	v_accvgpr_read_b32 v16, a1
	;; [unrolled: 1-line block ×4, first 2 shown]
	v_cvt_f16_f32_e32 v4, v4
	v_cvt_f16_f32_e32 v16, v16
	;; [unrolled: 1-line block ×4, first 2 shown]
	v_cvt_f32_f16_e32 v4, v4
	v_cvt_f32_f16_e32 v16, v16
	;; [unrolled: 1-line block ×4, first 2 shown]
	v_perm_b32 v34, v42, v41, s42
	v_accvgpr_write_b32 a0, v4
	v_accvgpr_write_b32 a1, v16
	;; [unrolled: 1-line block ×4, first 2 shown]
	s_nop 1
	v_mfma_f32_16x16x16_f16 a[0:3], v[34:35], v[2:3], a[0:3]
	s_nop 7
	v_accvgpr_read_b32 v4, a2
	v_accvgpr_read_b32 v16, a3
	v_cvt_f16_f32_e32 v4, v4
	v_cvt_f16_f32_e32 v16, v16
	v_accvgpr_read_b32 v34, a0
	v_accvgpr_read_b32 v35, a1
	v_accvgpr_write_b32 a0, v51
	v_perm_b32 v16, v16, v4, s42
	ds_read_u16 v4, v205 offset:96
	ds_read_u16 v21, v205 offset:624
	;; [unrolled: 1-line block ×4, first 2 shown]
	v_accvgpr_write_b32 a1, v53
	v_accvgpr_write_b32 a2, v54
	s_waitcnt lgkmcnt(2)
	v_perm_b32 v44, v21, v4, s42
	v_accvgpr_write_b32 a3, v57
	s_waitcnt lgkmcnt(0)
	v_perm_b32 v45, v47, v46, s42
	ds_read_u16 v46, v205 offset:16992
	ds_read_u16 v47, v205 offset:17520
	;; [unrolled: 1-line block ×4, first 2 shown]
	v_mfma_f32_16x16x16_f16 a[0:3], v[44:45], v[6:7], a[0:3]
	v_cvt_f16_f32_e32 v41, v34
	v_cvt_f16_f32_e32 v42, v35
	v_perm_b32 v41, v42, v41, s42
	s_nop 4
	v_accvgpr_read_b32 v4, a0
	v_accvgpr_read_b32 v21, a1
	v_accvgpr_read_b32 v44, a2
	v_accvgpr_read_b32 v45, a3
	v_cvt_f16_f32_e32 v4, v4
	v_cvt_f16_f32_e32 v21, v21
	v_cvt_f16_f32_e32 v44, v44
	v_cvt_f16_f32_e32 v45, v45
	v_cvt_f32_f16_e32 v4, v4
	v_cvt_f32_f16_e32 v21, v21
	;; [unrolled: 1-line block ×4, first 2 shown]
	s_waitcnt lgkmcnt(0)
	v_perm_b32 v45, v53, v51, s42
	v_perm_b32 v44, v47, v46, s42
	v_accvgpr_write_b32 a0, v4
	v_accvgpr_write_b32 a1, v21
	;; [unrolled: 1-line block ×4, first 2 shown]
	v_cvt_f32_f16_e32 v57, v49
	v_cvt_f32_f16_sdwa v49, v49 dst_sel:DWORD dst_unused:UNUSED_PAD src0_sel:WORD_1
	v_mfma_f32_16x16x16_f16 a[0:3], v[44:45], v[2:3], a[0:3]
	s_nop 7
	v_accvgpr_read_b32 v4, a2
	v_accvgpr_read_b32 v21, a3
	v_cvt_f16_f32_e32 v4, v4
	v_cvt_f16_f32_e32 v21, v21
	v_accvgpr_read_b32 v44, a0
	v_accvgpr_read_b32 v45, a1
	v_accvgpr_write_b32 a0, v57
	v_perm_b32 v21, v21, v4, s42
	ds_read_u16 v4, v205 offset:128
	ds_read_u16 v51, v205 offset:656
	;; [unrolled: 1-line block ×4, first 2 shown]
	v_accvgpr_write_b32 a1, v49
	v_accvgpr_write_b32 a2, v95
	s_waitcnt lgkmcnt(2)
	v_perm_b32 v96, v51, v4, s42
	v_accvgpr_write_b32 a3, v43
	s_waitcnt lgkmcnt(0)
	v_perm_b32 v97, v54, v53, s42
	ds_read_u16 v53, v205 offset:17024
	ds_read_u16 v54, v205 offset:17552
	;; [unrolled: 1-line block ×4, first 2 shown]
	v_mfma_f32_16x16x16_f16 a[0:3], v[96:97], v[6:7], a[0:3]
	s_waitcnt lgkmcnt(0)
	v_perm_b32 v97, v95, v57, s42
	v_perm_b32 v96, v54, v53, s42
	v_cvt_f16_f32_e32 v46, v44
	v_cvt_f16_f32_e32 v47, v45
	v_perm_b32 v46, v47, v46, s42
	s_nop 1
	v_accvgpr_read_b32 v4, a0
	v_accvgpr_read_b32 v43, a1
	;; [unrolled: 1-line block ×4, first 2 shown]
	v_cvt_f16_f32_e32 v4, v4
	v_cvt_f16_f32_e32 v43, v43
	;; [unrolled: 1-line block ×4, first 2 shown]
	v_cvt_f32_f16_e32 v4, v4
	v_cvt_f32_f16_e32 v43, v43
	;; [unrolled: 1-line block ×4, first 2 shown]
	v_accvgpr_write_b32 a0, v4
	v_accvgpr_write_b32 a1, v43
	;; [unrolled: 1-line block ×4, first 2 shown]
	s_nop 1
	v_mfma_f32_16x16x16_f16 a[0:3], v[96:97], v[2:3], a[0:3]
	v_cvt_f32_f16_e32 v96, v94
	v_cvt_f32_f16_sdwa v97, v94 dst_sel:DWORD dst_unused:UNUSED_PAD src0_sel:WORD_1
	s_nop 5
	v_accvgpr_read_b32 v4, a2
	v_accvgpr_read_b32 v43, a3
	v_cvt_f16_f32_e32 v4, v4
	v_cvt_f16_f32_e32 v43, v43
	v_accvgpr_read_b32 v49, a0
	v_accvgpr_read_b32 v54, a1
	v_accvgpr_write_b32 a0, v96
	v_perm_b32 v43, v43, v4, s42
	ds_read_u16 v4, v205 offset:160
	ds_read_u16 v51, v205 offset:688
	;; [unrolled: 1-line block ×4, first 2 shown]
	v_accvgpr_write_b32 a1, v97
	v_accvgpr_write_b32 a2, v106
	s_waitcnt lgkmcnt(2)
	v_perm_b32 v94, v51, v4, s42
	v_accvgpr_write_b32 a3, v48
	s_waitcnt lgkmcnt(0)
	v_perm_b32 v95, v57, v53, s42
	v_cvt_f32_f16_sdwa v97, v105 dst_sel:DWORD dst_unused:UNUSED_PAD src0_sel:WORD_1
	v_cvt_f16_f32_e32 v103, v49
	v_mfma_f32_16x16x16_f16 a[0:3], v[94:95], v[6:7], a[0:3]
	ds_read_u16 v57, v205 offset:17056
	ds_read_u16 v94, v205 offset:17584
	;; [unrolled: 1-line block ×4, first 2 shown]
	v_cvt_f16_f32_e32 v104, v54
	s_waitcnt lgkmcnt(2)
	v_perm_b32 v94, v94, v57, s42
	s_nop 0
	v_accvgpr_read_b32 v4, a0
	v_accvgpr_read_b32 v48, a1
	;; [unrolled: 1-line block ×4, first 2 shown]
	v_cvt_f16_f32_e32 v4, v4
	v_cvt_f16_f32_e32 v48, v48
	;; [unrolled: 1-line block ×4, first 2 shown]
	v_cvt_f32_f16_e32 v4, v4
	v_cvt_f32_f16_e32 v48, v48
	;; [unrolled: 1-line block ×4, first 2 shown]
	s_waitcnt lgkmcnt(0)
	v_perm_b32 v95, v96, v95, s42
	v_accvgpr_write_b32 a0, v4
	v_accvgpr_write_b32 a1, v48
	;; [unrolled: 1-line block ×4, first 2 shown]
	v_cvt_f32_f16_e32 v96, v105
	v_cvt_f32_f16_e32 v105, v100
	v_mfma_f32_16x16x16_f16 a[0:3], v[94:95], v[2:3], a[0:3]
	v_cvt_f32_f16_sdwa v100, v100 dst_sel:DWORD dst_unused:UNUSED_PAD src0_sel:WORD_1
	v_perm_b32 v103, v104, v103, s42
	s_nop 5
	v_accvgpr_read_b32 v4, a2
	v_accvgpr_read_b32 v48, a3
	v_cvt_f16_f32_e32 v4, v4
	v_cvt_f16_f32_e32 v48, v48
	v_accvgpr_read_b32 v106, a0
	v_accvgpr_read_b32 v107, a1
	v_accvgpr_write_b32 a0, v96
	v_perm_b32 v48, v48, v4, s42
	ds_read_u16 v4, v205 offset:192
	ds_read_u16 v51, v205 offset:720
	;; [unrolled: 1-line block ×4, first 2 shown]
	v_accvgpr_write_b32 a1, v97
	v_accvgpr_write_b32 a2, v105
	s_waitcnt lgkmcnt(2)
	v_perm_b32 v94, v51, v4, s42
	v_accvgpr_write_b32 a3, v100
	s_waitcnt lgkmcnt(0)
	v_perm_b32 v95, v57, v53, s42
	v_cvt_f32_f16_e32 v100, v39
	v_cvt_f32_f16_sdwa v39, v39 dst_sel:DWORD dst_unused:UNUSED_PAD src0_sel:WORD_1
	v_mfma_f32_16x16x16_f16 a[0:3], v[94:95], v[6:7], a[0:3]
	ds_read_u16 v94, v205 offset:17088
	ds_read_u16 v96, v205 offset:17616
	;; [unrolled: 1-line block ×4, first 2 shown]
	v_cvt_f16_f32_e32 v108, v106
	v_cvt_f16_f32_e32 v109, v107
	s_nop 1
	v_accvgpr_read_b32 v4, a0
	v_accvgpr_read_b32 v51, a1
	;; [unrolled: 1-line block ×4, first 2 shown]
	v_cvt_f16_f32_e32 v4, v4
	v_cvt_f16_f32_e32 v51, v51
	;; [unrolled: 1-line block ×4, first 2 shown]
	v_cvt_f32_f16_e32 v4, v4
	v_cvt_f32_f16_e32 v51, v51
	;; [unrolled: 1-line block ×4, first 2 shown]
	s_waitcnt lgkmcnt(0)
	v_perm_b32 v95, v97, v95, s42
	v_perm_b32 v94, v96, v94, s42
	v_accvgpr_write_b32 a0, v4
	v_accvgpr_write_b32 a1, v51
	v_accvgpr_write_b32 a2, v53
	v_accvgpr_write_b32 a3, v57
	v_cvt_f32_f16_e32 v96, v0
	v_cvt_f32_f16_sdwa v0, v0 dst_sel:DWORD dst_unused:UNUSED_PAD src0_sel:WORD_1
	v_mfma_f32_16x16x16_f16 a[0:3], v[94:95], v[2:3], a[0:3]
	v_cvt_f32_f16_e32 v94, v5
	v_cvt_f32_f16_sdwa v95, v5 dst_sel:DWORD dst_unused:UNUSED_PAD src0_sel:WORD_1
	s_nop 5
	v_accvgpr_read_b32 v4, a2
	v_accvgpr_read_b32 v51, a3
	v_cvt_f16_f32_e32 v4, v4
	v_cvt_f16_f32_e32 v51, v51
	v_accvgpr_read_b32 v110, a0
	v_accvgpr_read_b32 v111, a1
	v_accvgpr_write_b32 a0, v94
	v_perm_b32 v105, v51, v4, s42
	ds_read_u16 v4, v205 offset:224
	ds_read_u16 v51, v205 offset:752
	;; [unrolled: 1-line block ×4, first 2 shown]
	v_accvgpr_write_b32 a1, v95
	v_accvgpr_write_b32 a2, v96
	s_waitcnt lgkmcnt(2)
	v_perm_b32 v4, v51, v4, s42
	v_accvgpr_write_b32 a3, v0
	s_waitcnt lgkmcnt(0)
	v_perm_b32 v5, v57, v53, s42
	ds_read_u16 v94, v205 offset:17120
	ds_read_u16 v95, v205 offset:17648
	;; [unrolled: 1-line block ×4, first 2 shown]
	v_mfma_f32_16x16x16_f16 a[0:3], v[4:5], v[6:7], a[0:3]
	v_cvt_f16_f32_e32 v112, v110
	v_cvt_f16_f32_e32 v113, v111
	s_nop 5
	v_accvgpr_read_b32 v0, a0
	v_accvgpr_read_b32 v4, a1
	;; [unrolled: 1-line block ×4, first 2 shown]
	v_cvt_f16_f32_e32 v0, v0
	v_cvt_f16_f32_e32 v4, v4
	;; [unrolled: 1-line block ×4, first 2 shown]
	v_cvt_f32_f16_e32 v57, v0
	v_cvt_f32_f16_e32 v0, v4
	;; [unrolled: 1-line block ×4, first 2 shown]
	s_waitcnt lgkmcnt(0)
	v_perm_b32 v5, v97, v96, s42
	v_perm_b32 v4, v95, v94, s42
	v_accvgpr_write_b32 a0, v57
	v_accvgpr_write_b32 a1, v0
	;; [unrolled: 1-line block ×4, first 2 shown]
	v_cvt_f32_f16_e32 v97, v40
	v_cvt_f32_f16_sdwa v40, v40 dst_sel:DWORD dst_unused:UNUSED_PAD src0_sel:WORD_1
	v_mfma_f32_16x16x16_f16 a[0:3], v[4:5], v[2:3], a[0:3]
	s_nop 7
	v_accvgpr_read_b32 v0, a2
	v_accvgpr_read_b32 v4, a3
	v_cvt_f16_f32_e32 v0, v0
	v_cvt_f16_f32_e32 v4, v4
	v_accvgpr_read_b32 v5, a0
	v_accvgpr_read_b32 v94, a1
	v_accvgpr_write_b32 a0, v97
	v_perm_b32 v0, v4, v0, s42
	ds_read_u16 v4, v205 offset:256
	ds_read_u16 v51, v205 offset:784
	;; [unrolled: 1-line block ×4, first 2 shown]
	v_accvgpr_write_b32 a1, v40
	v_accvgpr_write_b32 a2, v100
	s_waitcnt lgkmcnt(2)
	v_perm_b32 v114, v51, v4, s42
	v_accvgpr_write_b32 a3, v39
	s_waitcnt lgkmcnt(0)
	v_perm_b32 v115, v57, v53, s42
	ds_read_u16 v53, v205 offset:17152
	ds_read_u16 v57, v205 offset:17680
	;; [unrolled: 1-line block ×4, first 2 shown]
	v_mfma_f32_16x16x16_f16 a[0:3], v[114:115], v[6:7], a[0:3]
	s_waitcnt lgkmcnt(0)
	v_perm_b32 v115, v100, v97, s42
	v_perm_b32 v114, v57, v53, s42
	v_cvt_f16_f32_e32 v95, v5
	v_cvt_f16_f32_e32 v96, v94
	v_perm_b32 v95, v96, v95, s42
	s_nop 1
	v_accvgpr_read_b32 v4, a0
	v_accvgpr_read_b32 v39, a1
	;; [unrolled: 1-line block ×4, first 2 shown]
	v_cvt_f16_f32_e32 v4, v4
	v_cvt_f16_f32_e32 v39, v39
	;; [unrolled: 1-line block ×4, first 2 shown]
	v_cvt_f32_f16_e32 v4, v4
	v_cvt_f32_f16_e32 v39, v39
	;; [unrolled: 1-line block ×4, first 2 shown]
	v_accvgpr_write_b32 a0, v4
	v_accvgpr_write_b32 a1, v39
	;; [unrolled: 1-line block ×4, first 2 shown]
	v_perm_b32 v96, v113, v112, s42
	s_nop 0
	v_mfma_f32_16x16x16_f16 a[0:3], v[114:115], v[2:3], a[0:3]
	s_nop 7
	v_accvgpr_read_b32 v4, a2
	v_accvgpr_read_b32 v51, a3
	v_cvt_f16_f32_e32 v4, v4
	v_cvt_f16_f32_e32 v51, v51
	v_accvgpr_read_b32 v39, a0
	v_accvgpr_read_b32 v40, a1
	v_accvgpr_write_b32 a0, v116
	v_perm_b32 v4, v51, v4, s42
	ds_read_u16 v51, v205 offset:288
	ds_read_u16 v53, v205 offset:816
	;; [unrolled: 1-line block ×4, first 2 shown]
	v_accvgpr_write_b32 a1, v38
	v_accvgpr_write_b32 a2, v117
	;; [unrolled: 1-line block ×3, first 2 shown]
	v_cvt_f16_f32_e32 v97, v39
	s_waitcnt lgkmcnt(0)
	v_perm_b32 v115, v114, v57, s42
	v_perm_b32 v114, v53, v51, s42
	v_cvt_f16_f32_e32 v100, v40
	v_perm_b32 v97, v100, v97, s42
	v_mfma_f32_16x16x16_f16 a[0:3], v[114:115], v[6:7], a[0:3]
	ds_read_u16 v57, v205 offset:17184
	ds_read_u16 v114, v205 offset:17712
	;; [unrolled: 1-line block ×4, first 2 shown]
	v_perm_b32 v100, v109, v108, s42
	s_waitcnt lgkmcnt(2)
	v_perm_b32 v114, v114, v57, s42
	s_waitcnt lgkmcnt(0)
	v_perm_b32 v115, v116, v115, s42
	v_accvgpr_read_b32 v37, a0
	v_accvgpr_read_b32 v38, a1
	;; [unrolled: 1-line block ×4, first 2 shown]
	v_cvt_f16_f32_e32 v37, v37
	v_cvt_f16_f32_e32 v38, v38
	;; [unrolled: 1-line block ×4, first 2 shown]
	v_cvt_f32_f16_e32 v37, v37
	v_cvt_f32_f16_e32 v38, v38
	v_cvt_f32_f16_e32 v51, v51
	v_cvt_f32_f16_e32 v53, v53
	v_accvgpr_write_b32 a0, v37
	v_accvgpr_write_b32 a1, v38
	;; [unrolled: 1-line block ×4, first 2 shown]
	s_nop 1
	v_mfma_f32_16x16x16_f16 a[0:3], v[114:115], v[2:3], a[0:3]
	s_nop 7
	v_accvgpr_read_b32 v37, a2
	v_accvgpr_read_b32 v51, a3
	v_cvt_f16_f32_e32 v37, v37
	v_cvt_f16_f32_e32 v51, v51
	v_accvgpr_read_b32 v38, a0
	v_accvgpr_read_b32 v114, a1
	v_accvgpr_write_b32 a0, v120
	v_perm_b32 v37, v51, v37, s42
	ds_read_u16 v51, v205 offset:320
	ds_read_u16 v53, v205 offset:848
	;; [unrolled: 1-line block ×4, first 2 shown]
	v_accvgpr_write_b32 a1, v36
	v_accvgpr_write_b32 a2, v121
	s_waitcnt lgkmcnt(2)
	v_perm_b32 v118, v53, v51, s42
	v_accvgpr_write_b32 a3, v33
	s_waitcnt lgkmcnt(0)
	v_perm_b32 v119, v117, v57, s42
	v_cvt_f16_f32_e32 v115, v38
	v_cvt_f16_f32_e32 v116, v114
	v_mfma_f32_16x16x16_f16 a[0:3], v[118:119], v[6:7], a[0:3]
	ds_read_u16 v57, v205 offset:17216
	ds_read_u16 v117, v205 offset:17744
	;; [unrolled: 1-line block ×4, first 2 shown]
	s_waitcnt lgkmcnt(0)
	v_perm_b32 v119, v119, v118, s42
	s_nop 1
	v_accvgpr_read_b32 v33, a0
	v_accvgpr_read_b32 v36, a1
	;; [unrolled: 1-line block ×4, first 2 shown]
	v_cvt_f16_f32_e32 v33, v33
	v_cvt_f16_f32_e32 v36, v36
	;; [unrolled: 1-line block ×4, first 2 shown]
	v_cvt_f32_f16_e32 v33, v33
	v_cvt_f32_f16_e32 v36, v36
	v_cvt_f32_f16_e32 v51, v51
	v_cvt_f32_f16_e32 v53, v53
	v_perm_b32 v118, v117, v57, s42
	v_accvgpr_write_b32 a0, v33
	v_accvgpr_write_b32 a1, v36
	;; [unrolled: 1-line block ×4, first 2 shown]
	s_nop 1
	v_mfma_f32_16x16x16_f16 a[0:3], v[118:119], v[2:3], a[0:3]
	s_nop 7
	v_accvgpr_read_b32 v33, a2
	v_accvgpr_read_b32 v51, a3
	v_cvt_f16_f32_e32 v33, v33
	v_cvt_f16_f32_e32 v51, v51
	v_accvgpr_read_b32 v36, a0
	v_accvgpr_read_b32 v117, a1
	v_accvgpr_write_b32 a0, v122
	v_perm_b32 v33, v51, v33, s42
	ds_read_u16 v51, v205 offset:352
	ds_read_u16 v53, v205 offset:880
	;; [unrolled: 1-line block ×4, first 2 shown]
	v_accvgpr_write_b32 a1, v32
	v_accvgpr_write_b32 a2, v123
	;; [unrolled: 1-line block ×3, first 2 shown]
	v_cvt_f16_f32_e32 v118, v36
	s_waitcnt lgkmcnt(0)
	v_perm_b32 v121, v120, v57, s42
	v_perm_b32 v120, v53, v51, s42
	v_cvt_f16_f32_e32 v119, v117
	s_nop 0
	v_mfma_f32_16x16x16_f16 a[0:3], v[120:121], v[6:7], a[0:3]
	ds_read_u16 v57, v205 offset:17248
	ds_read_u16 v120, v205 offset:17776
	;; [unrolled: 1-line block ×4, first 2 shown]
	s_waitcnt lgkmcnt(2)
	v_perm_b32 v120, v120, v57, s42
	s_nop 1
	v_accvgpr_read_b32 v31, a0
	v_accvgpr_read_b32 v32, a1
	;; [unrolled: 1-line block ×4, first 2 shown]
	v_cvt_f16_f32_e32 v31, v31
	v_cvt_f16_f32_e32 v32, v32
	;; [unrolled: 1-line block ×4, first 2 shown]
	v_cvt_f32_f16_e32 v31, v31
	v_cvt_f32_f16_e32 v32, v32
	;; [unrolled: 1-line block ×4, first 2 shown]
	s_waitcnt lgkmcnt(0)
	v_perm_b32 v121, v122, v121, s42
	v_accvgpr_write_b32 a0, v31
	v_accvgpr_write_b32 a1, v32
	v_accvgpr_write_b32 a2, v51
	v_accvgpr_write_b32 a3, v53
	s_nop 1
	v_mfma_f32_16x16x16_f16 a[0:3], v[120:121], v[2:3], a[0:3]
	s_nop 7
	v_accvgpr_read_b32 v31, a2
	v_accvgpr_read_b32 v51, a3
	v_cvt_f16_f32_e32 v31, v31
	v_cvt_f16_f32_e32 v51, v51
	v_accvgpr_read_b32 v32, a0
	v_accvgpr_read_b32 v120, a1
	v_accvgpr_write_b32 a0, v126
	v_perm_b32 v31, v51, v31, s42
	ds_read_u16 v51, v205 offset:384
	ds_read_u16 v53, v205 offset:912
	ds_read_u16 v57, v205 offset:1440
	ds_read_u16 v123, v206 offset:384
	v_accvgpr_write_b32 a1, v30
	v_accvgpr_write_b32 a2, v127
	s_waitcnt lgkmcnt(2)
	v_perm_b32 v124, v53, v51, s42
	v_accvgpr_write_b32 a3, v29
	s_waitcnt lgkmcnt(0)
	v_perm_b32 v125, v123, v57, s42
	v_cvt_f32_f16_e32 v127, v28
	v_cvt_f32_f16_sdwa v28, v28 dst_sel:DWORD dst_unused:UNUSED_PAD src0_sel:WORD_1
	v_mfma_f32_16x16x16_f16 a[0:3], v[124:125], v[6:7], a[0:3]
	ds_read_u16 v57, v205 offset:17280
	ds_read_u16 v123, v205 offset:17808
	ds_read_u16 v124, v205 offset:18336
	ds_read_u16 v125, v206 offset:17280
	v_cvt_f16_f32_e32 v121, v32
	v_cvt_f16_f32_e32 v122, v120
	s_nop 1
	v_accvgpr_read_b32 v29, a0
	v_accvgpr_read_b32 v30, a1
	v_accvgpr_read_b32 v51, a2
	v_accvgpr_read_b32 v53, a3
	v_cvt_f16_f32_e32 v29, v29
	v_cvt_f16_f32_e32 v30, v30
	;; [unrolled: 1-line block ×4, first 2 shown]
	v_cvt_f32_f16_e32 v29, v29
	v_cvt_f32_f16_e32 v30, v30
	;; [unrolled: 1-line block ×4, first 2 shown]
	s_waitcnt lgkmcnt(0)
	v_perm_b32 v125, v125, v124, s42
	v_perm_b32 v124, v123, v57, s42
	v_accvgpr_write_b32 a0, v29
	v_accvgpr_write_b32 a1, v30
	;; [unrolled: 1-line block ×4, first 2 shown]
	s_nop 1
	v_mfma_f32_16x16x16_f16 a[0:3], v[124:125], v[2:3], a[0:3]
	s_nop 7
	v_accvgpr_read_b32 v29, a2
	v_accvgpr_read_b32 v57, a3
	v_cvt_f16_f32_e32 v29, v29
	v_cvt_f16_f32_e32 v57, v57
	v_accvgpr_read_b32 v30, a0
	v_accvgpr_read_b32 v123, a1
	v_accvgpr_write_b32 a0, v127
	v_perm_b32 v29, v57, v29, s42
	ds_read_u16 v57, v205 offset:416
	ds_read_u16 v124, v205 offset:944
	;; [unrolled: 1-line block ×4, first 2 shown]
	v_accvgpr_write_b32 a1, v28
	v_accvgpr_write_b32 a2, v132
	s_waitcnt lgkmcnt(2)
	v_perm_b32 v124, v124, v57, s42
	v_accvgpr_write_b32 a3, v27
	s_waitcnt lgkmcnt(0)
	v_perm_b32 v125, v126, v125, s42
	v_cvt_f16_f32_e32 v51, v30
	v_cvt_f16_f32_e32 v53, v123
	v_mfma_f32_16x16x16_f16 a[0:3], v[124:125], v[6:7], a[0:3]
	ds_read_u16 v126, v205 offset:17312
	ds_read_u16 v127, v205 offset:17840
	;; [unrolled: 1-line block ×4, first 2 shown]
	s_waitcnt lgkmcnt(0)
	v_perm_b32 v125, v132, v125, s42
	s_nop 1
	v_accvgpr_read_b32 v27, a0
	v_accvgpr_read_b32 v28, a1
	;; [unrolled: 1-line block ×4, first 2 shown]
	v_cvt_f16_f32_e32 v27, v27
	v_cvt_f16_f32_e32 v28, v28
	;; [unrolled: 1-line block ×4, first 2 shown]
	v_cvt_f32_f16_e32 v27, v27
	v_cvt_f32_f16_e32 v28, v28
	;; [unrolled: 1-line block ×4, first 2 shown]
	v_perm_b32 v124, v127, v126, s42
	v_accvgpr_write_b32 a0, v27
	v_accvgpr_write_b32 a1, v28
	;; [unrolled: 1-line block ×4, first 2 shown]
	s_nop 1
	v_mfma_f32_16x16x16_f16 a[0:3], v[124:125], v[2:3], a[0:3]
	s_nop 7
	v_accvgpr_read_b32 v27, a2
	v_accvgpr_read_b32 v57, a3
	v_cvt_f16_f32_e32 v27, v27
	v_cvt_f16_f32_e32 v57, v57
	v_accvgpr_read_b32 v28, a0
	v_accvgpr_read_b32 v124, a1
	v_accvgpr_write_b32 a0, v134
	v_perm_b32 v27, v57, v27, s42
	ds_read_u16 v57, v205 offset:448
	ds_read_u16 v127, v205 offset:976
	ds_read_u16 v132, v205 offset:1504
	ds_read_u16 v133, v206 offset:448
	v_accvgpr_write_b32 a1, v26
	v_accvgpr_write_b32 a2, v135
	;; [unrolled: 1-line block ×3, first 2 shown]
	v_cvt_f16_f32_e32 v125, v28
	s_waitcnt lgkmcnt(0)
	v_perm_b32 v133, v133, v132, s42
	v_perm_b32 v132, v127, v57, s42
	v_cvt_f16_f32_e32 v126, v124
	s_nop 0
	v_mfma_f32_16x16x16_f16 a[0:3], v[132:133], v[6:7], a[0:3]
	ds_read_u16 v132, v205 offset:17344
	ds_read_u16 v134, v205 offset:17872
	ds_read_u16 v133, v205 offset:18400
	ds_read_u16 v135, v206 offset:17344
	s_waitcnt lgkmcnt(2)
	v_perm_b32 v132, v134, v132, s42
	s_nop 1
	v_accvgpr_read_b32 v25, a0
	v_accvgpr_read_b32 v26, a1
	;; [unrolled: 1-line block ×4, first 2 shown]
	v_cvt_f16_f32_e32 v25, v25
	v_cvt_f16_f32_e32 v26, v26
	;; [unrolled: 1-line block ×4, first 2 shown]
	v_cvt_f32_f16_e32 v25, v25
	v_cvt_f32_f16_e32 v26, v26
	;; [unrolled: 1-line block ×4, first 2 shown]
	s_waitcnt lgkmcnt(0)
	v_perm_b32 v133, v135, v133, s42
	v_accvgpr_write_b32 a0, v25
	v_accvgpr_write_b32 a1, v26
	;; [unrolled: 1-line block ×4, first 2 shown]
	s_nop 1
	v_mfma_f32_16x16x16_f16 a[0:3], v[132:133], v[2:3], a[0:3]
	s_nop 7
	v_accvgpr_read_b32 v25, a2
	v_accvgpr_read_b32 v133, a3
	v_cvt_f16_f32_e32 v25, v25
	v_cvt_f16_f32_e32 v133, v133
	v_accvgpr_read_b32 v26, a0
	v_accvgpr_read_b32 v127, a1
	v_accvgpr_write_b32 a0, v137
	v_perm_b32 v25, v133, v25, s42
	ds_read_u16 v133, v205 offset:480
	ds_read_u16 v134, v205 offset:1008
	;; [unrolled: 1-line block ×4, first 2 shown]
	v_accvgpr_write_b32 a1, v24
	v_accvgpr_write_b32 a2, v138
	s_waitcnt lgkmcnt(2)
	v_perm_b32 v134, v134, v133, s42
	v_accvgpr_write_b32 a3, v23
	s_waitcnt lgkmcnt(0)
	v_perm_b32 v135, v136, v135, s42
	v_cvt_f16_f32_e32 v57, v26
	v_cvt_f16_f32_e32 v132, v127
	v_mfma_f32_16x16x16_f16 a[0:3], v[134:135], v[6:7], a[0:3]
	v_perm_b32 v22, v132, v57, s42
	v_perm_b32 v57, v116, v115, s42
	s_nop 5
	v_accvgpr_read_b32 v24, a3
	v_accvgpr_read_b32 v6, a0
	;; [unrolled: 1-line block ×4, first 2 shown]
	v_cvt_f16_f32_e32 v133, v24
	ds_read_u16 v24, v205 offset:17376
	ds_read_u16 v134, v205 offset:17904
	;; [unrolled: 1-line block ×4, first 2 shown]
	v_cvt_f16_f32_e32 v6, v6
	v_cvt_f16_f32_e32 v7, v7
	;; [unrolled: 1-line block ×3, first 2 shown]
	v_cvt_f32_f16_e32 v133, v133
	v_cvt_f32_f16_e32 v137, v6
	;; [unrolled: 1-line block ×4, first 2 shown]
	s_waitcnt lgkmcnt(0)
	v_perm_b32 v7, v136, v135, s42
	v_perm_b32 v6, v134, v24, s42
	v_accvgpr_write_b32 a0, v137
	v_accvgpr_write_b32 a1, v138
	;; [unrolled: 1-line block ×4, first 2 shown]
	s_barrier
	s_nop 0
	v_mfma_f32_16x16x16_f16 a[0:3], v[6:7], v[2:3], a[0:3]
	s_nop 7
	v_accvgpr_read_b32 v2, a0
	v_accvgpr_read_b32 v3, a1
	;; [unrolled: 1-line block ×4, first 2 shown]
	v_cvt_f16_f32_e32 v7, v2
	v_cvt_f16_f32_e32 v23, v3
	;; [unrolled: 1-line block ×4, first 2 shown]
	v_perm_b32 v7, v23, v7, s42
	v_perm_b32 v23, v126, v125, s42
	;; [unrolled: 1-line block ×6, first 2 shown]
	s_and_saveexec_b64 s[44:45], s[46:47]
	s_cbranch_execz .LBB30_364
; %bb.363:                              ;   in Loop: Header=BB30_14 Depth=1
	global_load_dword v7, v[130:131], off
	v_cvt_pk_f16_f32 v12, v10, v11
	v_max_f32_e32 v10, v14, v14
	v_cvt_pk_f16_f32 v13, v17, v18
	v_cvt_pk_f16_f32 v17, v34, v35
	;; [unrolled: 1-line block ×15, first 2 shown]
	s_waitcnt vmcnt(0)
	v_max_f32_e32 v11, v7, v7
	v_max_f32_e32 v10, v10, v11
	v_sub_f32_e32 v11, v14, v10
	v_sub_f32_e32 v7, v7, v10
	v_mul_f32_e32 v14, 0x3fb8aa3b, v11
	v_mul_f32_e32 v19, 0x3fb8aa3b, v7
	v_fma_f32 v36, v11, s88, -v14
	v_rndne_f32_e32 v38, v14
	v_fma_f32 v39, v7, s88, -v19
	v_rndne_f32_e32 v40, v19
	v_fmac_f32_e32 v36, 0x32a5705f, v11
	v_sub_f32_e32 v14, v14, v38
	v_fmac_f32_e32 v39, 0x32a5705f, v7
	v_sub_f32_e32 v19, v19, v40
	v_add_f32_e32 v14, v14, v36
	v_cvt_i32_f32_e32 v38, v38
	v_add_f32_e32 v19, v19, v39
	v_exp_f32_e32 v14, v14
	v_cvt_i32_f32_e32 v40, v40
	v_exp_f32_e32 v19, v19
	v_cmp_ngt_f32_e32 vcc, s91, v11
	v_ldexp_f32 v3, v14, v38
	v_ldexp_f32 v14, v19, v40
	v_cndmask_b32_e32 v3, 0, v3, vcc
	v_cmp_ngt_f32_e32 vcc, s91, v7
	s_nop 1
	v_cndmask_b32_e32 v14, 0, v14, vcc
	v_cmp_nlt_f32_e32 vcc, s97, v11
	s_nop 1
	v_cndmask_b32_e32 v3, v99, v3, vcc
	v_cmp_le_f32_e32 vcc, s5, v11
	s_nop 1
	v_cndmask_b32_e32 v3, 0, v3, vcc
	v_cvt_f16_f32_e32 v19, v3
	v_cmp_nlt_f32_e32 vcc, s97, v7
	s_nop 1
	v_cndmask_b32_e32 v11, v99, v14, vcc
	v_fmac_f32_e32 v11, v15, v3
	v_mul_u32_u24_e32 v3, 0x10001, v19
	v_pk_mul_f16 v12, v12, v3
	v_pk_mul_f16 v1, v1, v3
	;; [unrolled: 1-line block ×32, first 2 shown]
	v_mov_b64_e32 v[14:15], v[10:11]
.LBB30_364:                             ;   in Loop: Header=BB30_14 Depth=1
	s_or_b64 exec, exec, s[44:45]
	s_mov_b64 s[44:45], exec
	v_readlane_b32 s46, v255, 0
	v_readlane_b32 s47, v255, 1
	s_and_b64 s[46:47], s[44:45], s[46:47]
	v_accvgpr_read_b32 v225, a19
	v_accvgpr_read_b32 v226, a20
	;; [unrolled: 1-line block ×9, first 2 shown]
	s_mov_b64 exec, s[46:47]
; %bb.365:                              ;   in Loop: Header=BB30_14 Depth=1
	v_accvgpr_read_b32 v2, a48
	v_add_u32_e32 v2, 0, v2
	ds_write2_b32 v2, v14, v15 offset0:128 offset1:129
; %bb.366:                              ;   in Loop: Header=BB30_14 Depth=1
	s_or_b64 exec, exec, s[44:45]
	s_waitcnt lgkmcnt(0)
	s_barrier
	s_mov_b64 s[44:45], exec
	v_readlane_b32 s46, v254, 53
	v_readlane_b32 s47, v254, 54
	s_and_b64 s[46:47], s[44:45], s[46:47]
	s_xor_b64 s[44:45], s[46:47], s[44:45]
	s_mov_b64 exec, s[46:47]
	s_cbranch_execz .LBB30_368
; %bb.367:                              ;   in Loop: Header=BB30_14 Depth=1
	s_barrier
                                        ; implicit-def: $vgpr9
.LBB30_368:                             ;   in Loop: Header=BB30_14 Depth=1
	s_andn2_saveexec_b64 s[44:45], s[44:45]
	s_cbranch_execz .LBB30_372
; %bb.369:                              ;   in Loop: Header=BB30_14 Depth=1
	v_accvgpr_read_b32 v2, a49
	v_add_u32_e32 v5, 0, v2
	ds_read_b64 v[2:3], v5 offset:512
	s_waitcnt lgkmcnt(0)
	s_barrier
	ds_bpermute_b32 v10, v9, v2
	v_max_f32_e32 v11, v2, v2
	s_waitcnt lgkmcnt(0)
	v_max_f32_e32 v10, v10, v10
	v_max_f32_e32 v10, v11, v10
	v_sub_f32_e32 v2, v2, v10
	v_mul_f32_e32 v10, 0x3fb8aa3b, v2
	v_fma_f32 v11, v2, s88, -v10
	v_rndne_f32_e32 v13, v10
	v_fmac_f32_e32 v11, 0x32a5705f, v2
	v_sub_f32_e32 v10, v10, v13
	v_add_f32_e32 v10, v10, v11
	v_cvt_i32_f32_e32 v13, v13
	v_exp_f32_e32 v10, v10
	v_cmp_ngt_f32_e32 vcc, s91, v2
	v_ldexp_f32 v10, v10, v13
	s_nop 0
	v_cndmask_b32_e32 v10, 0, v10, vcc
	v_cmp_nlt_f32_e32 vcc, s97, v2
	s_nop 1
	v_cndmask_b32_e32 v2, v99, v10, vcc
	v_mul_f32_e32 v3, v3, v2
	ds_bpermute_b32 v9, v9, v3
	s_mov_b64 s[46:47], exec
	v_readlane_b32 s48, v255, 2
	v_readlane_b32 s49, v255, 3
	s_and_b64 s[48:49], s[46:47], s[48:49]
	s_mov_b64 exec, s[48:49]
	s_cbranch_execz .LBB30_371
; %bb.370:                              ;   in Loop: Header=BB30_14 Depth=1
	s_waitcnt lgkmcnt(0)
	v_add_f32_e32 v3, v3, v9
	ds_write_b64 v5, v[2:3] offset:512
.LBB30_371:                             ;   in Loop: Header=BB30_14 Depth=1
	s_or_b64 exec, exec, s[46:47]
.LBB30_372:                             ;   in Loop: Header=BB30_14 Depth=1
	s_or_b64 exec, exec, s[44:45]
	ds_write2_b32 v207, v12, v1 offset1:1
	ds_write2_b32 v207, v19, v8 offset0:8 offset1:9
	ds_write2_b32 v207, v41, v16 offset0:16 offset1:17
	;; [unrolled: 1-line block ×15, first 2 shown]
	s_waitcnt lgkmcnt(0)
	s_barrier
	s_and_saveexec_b64 s[44:45], s[50:51]
	s_cbranch_execz .LBB30_12
; %bb.373:                              ;   in Loop: Header=BB30_14 Depth=1
	v_accvgpr_read_b32 v0, a27
	v_add_u32_e32 v0, v0, v102
	v_cmp_gt_i32_e32 vcc, s96, v0
	v_mov_b32_e32 v1, 0x47
	s_and_saveexec_b64 s[46:47], vcc
	s_cbranch_execz .LBB30_375
; %bb.374:                              ;   in Loop: Header=BB30_14 Depth=1
	v_accvgpr_read_b32 v1, a50
	ds_read2_b32 v[2:3], v1 offset0:128 offset1:129
	ds_read_b32 v4, v1 offset:8960
	v_accvgpr_read_b32 v1, a66
	ds_read2st64_b32 v[6:7], v1 offset1:1
	ds_read2st64_b32 v[8:9], v1 offset0:33 offset1:34
	v_readlane_b32 s48, v254, 59
	s_waitcnt lgkmcnt(1)
	v_cvt_f32_f16_sdwa v11, v6 dst_sel:DWORD dst_unused:UNUSED_PAD src0_sel:WORD_1
	v_cvt_f32_f16_e32 v10, v6
	s_waitcnt lgkmcnt(0)
	v_cvt_f32_f16_sdwa v13, v8 dst_sel:DWORD dst_unused:UNUSED_PAD src0_sel:WORD_1
	v_cvt_f32_f16_e32 v12, v8
	v_mad_u64_u32 v[0:1], s[48:49], s48, v0, v[52:53]
	v_pk_fma_f32 v[10:11], v[2:3], v[10:11], 0 op_sel_hi:[0,1,0]
	v_pk_fma_f32 v[10:11], v[4:5], v[12:13], v[10:11] op_sel_hi:[0,1,1]
	v_div_scale_f32 v5, s[48:49], v3, v3, v11
	v_rcp_f32_e32 v6, v5
	v_ashrrev_i32_e32 v1, 31, v0
	v_lshl_add_u64 v[0:1], v[0:1], 3, v[128:129]
	v_fma_f32 v8, -v5, v6, 1.0
	v_fmac_f32_e32 v6, v8, v6
	v_div_scale_f32 v8, vcc, v11, v3, v11
	v_mul_f32_e32 v12, v8, v6
	v_fma_f32 v13, -v5, v12, v8
	v_fmac_f32_e32 v12, v13, v6
	v_fma_f32 v5, -v5, v12, v8
	v_div_fmas_f32 v5, v5, v6, v12
	v_div_fixup_f32 v11, v5, v3, v11
	v_div_scale_f32 v5, s[48:49], v3, v3, v10
	v_rcp_f32_e32 v6, v5
	s_nop 0
	v_fma_f32 v8, -v5, v6, 1.0
	v_fmac_f32_e32 v6, v8, v6
	v_div_scale_f32 v8, vcc, v10, v3, v10
	v_mul_f32_e32 v12, v8, v6
	v_fma_f32 v13, -v5, v12, v8
	v_fmac_f32_e32 v12, v13, v6
	v_fma_f32 v5, -v5, v12, v8
	v_div_fmas_f32 v5, v5, v6, v12
	v_div_fixup_f32 v10, v5, v3, v10
	global_store_dwordx2 v[0:1], v[10:11], off
	v_cvt_f32_f16_sdwa v11, v7 dst_sel:DWORD dst_unused:UNUSED_PAD src0_sel:WORD_1
	v_cvt_f32_f16_e32 v10, v7
	v_pk_fma_f32 v[6:7], v[2:3], v[10:11], 0 op_sel_hi:[0,1,0]
	v_cvt_f32_f16_sdwa v11, v9 dst_sel:DWORD dst_unused:UNUSED_PAD src0_sel:WORD_1
	v_cvt_f32_f16_e32 v10, v9
	v_pk_fma_f32 v[4:5], v[4:5], v[10:11], v[6:7] op_sel_hi:[0,1,1]
	v_div_scale_f32 v2, s[48:49], v3, v3, v5
	v_rcp_f32_e32 v6, v2
	s_nop 0
	v_fma_f32 v7, -v2, v6, 1.0
	v_fmac_f32_e32 v6, v7, v6
	v_div_scale_f32 v7, vcc, v5, v3, v5
	v_mul_f32_e32 v8, v7, v6
	v_fma_f32 v9, -v2, v8, v7
	v_fmac_f32_e32 v8, v9, v6
	v_fma_f32 v2, -v2, v8, v7
	v_div_fmas_f32 v2, v2, v6, v8
	v_div_fixup_f32 v5, v2, v3, v5
	v_div_scale_f32 v2, s[48:49], v3, v3, v4
	v_rcp_f32_e32 v6, v2
	s_nop 0
	v_fma_f32 v7, -v2, v6, 1.0
	v_fmac_f32_e32 v6, v7, v6
	v_div_scale_f32 v7, vcc, v4, v3, v4
	v_mul_f32_e32 v8, v7, v6
	v_fma_f32 v9, -v2, v8, v7
	v_fmac_f32_e32 v8, v9, v6
	v_fma_f32 v2, -v2, v8, v7
	v_div_fmas_f32 v2, v2, v6, v8
	v_div_fixup_f32 v4, v2, v3, v4
	global_store_dwordx2 v[0:1], v[4:5], off offset:512
	v_mov_b32_e32 v1, 0
.LBB30_375:                             ;   in Loop: Header=BB30_14 Depth=1
	s_or_b64 exec, exec, s[46:47]
	s_movk_i32 s46, 0x47
	v_cmp_gt_i32_e32 vcc, s46, v1
	s_mov_b64 s[46:47], -1
	s_and_saveexec_b64 s[48:49], vcc
; %bb.376:                              ;   in Loop: Header=BB30_14 Depth=1
	v_cmp_eq_u32_e32 vcc, 0, v1
	s_orn2_b64 s[46:47], vcc, exec
; %bb.377:                              ;   in Loop: Header=BB30_14 Depth=1
	s_or_b64 exec, exec, s[48:49]
	s_and_b64 exec, exec, s[46:47]
	s_cbranch_execz .LBB30_12
; %bb.378:                              ;   in Loop: Header=BB30_14 Depth=1
	v_accvgpr_read_b32 v0, a28
	v_add_u32_e32 v0, v0, v102
	v_cmp_gt_i32_e32 vcc, s96, v0
	v_mov_b32_e32 v1, 0x47
	s_and_saveexec_b64 s[46:47], vcc
	s_cbranch_execz .LBB30_380
; %bb.379:                              ;   in Loop: Header=BB30_14 Depth=1
	v_accvgpr_read_b32 v1, a51
	ds_read2_b32 v[2:3], v1 offset0:128 offset1:129
	ds_read_b32 v4, v1 offset:8960
	v_accvgpr_read_b32 v1, a67
	ds_read2st64_b32 v[6:7], v1 offset1:1
	ds_read2st64_b32 v[8:9], v1 offset0:33 offset1:34
	v_readlane_b32 s48, v254, 59
	s_waitcnt lgkmcnt(1)
	v_cvt_f32_f16_sdwa v11, v6 dst_sel:DWORD dst_unused:UNUSED_PAD src0_sel:WORD_1
	v_cvt_f32_f16_e32 v10, v6
	s_waitcnt lgkmcnt(0)
	v_cvt_f32_f16_sdwa v13, v8 dst_sel:DWORD dst_unused:UNUSED_PAD src0_sel:WORD_1
	v_cvt_f32_f16_e32 v12, v8
	v_mad_u64_u32 v[0:1], s[48:49], s48, v0, v[52:53]
	v_pk_fma_f32 v[10:11], v[2:3], v[10:11], 0 op_sel_hi:[0,1,0]
	v_pk_fma_f32 v[10:11], v[4:5], v[12:13], v[10:11] op_sel_hi:[0,1,1]
	v_div_scale_f32 v5, s[48:49], v3, v3, v11
	v_rcp_f32_e32 v6, v5
	v_ashrrev_i32_e32 v1, 31, v0
	v_lshl_add_u64 v[0:1], v[0:1], 3, v[128:129]
	v_fma_f32 v8, -v5, v6, 1.0
	v_fmac_f32_e32 v6, v8, v6
	v_div_scale_f32 v8, vcc, v11, v3, v11
	v_mul_f32_e32 v12, v8, v6
	v_fma_f32 v13, -v5, v12, v8
	v_fmac_f32_e32 v12, v13, v6
	v_fma_f32 v5, -v5, v12, v8
	v_div_fmas_f32 v5, v5, v6, v12
	v_div_fixup_f32 v11, v5, v3, v11
	v_div_scale_f32 v5, s[48:49], v3, v3, v10
	v_rcp_f32_e32 v6, v5
	s_nop 0
	v_fma_f32 v8, -v5, v6, 1.0
	v_fmac_f32_e32 v6, v8, v6
	v_div_scale_f32 v8, vcc, v10, v3, v10
	v_mul_f32_e32 v12, v8, v6
	v_fma_f32 v13, -v5, v12, v8
	v_fmac_f32_e32 v12, v13, v6
	v_fma_f32 v5, -v5, v12, v8
	v_div_fmas_f32 v5, v5, v6, v12
	v_div_fixup_f32 v10, v5, v3, v10
	global_store_dwordx2 v[0:1], v[10:11], off
	v_cvt_f32_f16_sdwa v11, v7 dst_sel:DWORD dst_unused:UNUSED_PAD src0_sel:WORD_1
	v_cvt_f32_f16_e32 v10, v7
	v_pk_fma_f32 v[6:7], v[2:3], v[10:11], 0 op_sel_hi:[0,1,0]
	v_cvt_f32_f16_sdwa v11, v9 dst_sel:DWORD dst_unused:UNUSED_PAD src0_sel:WORD_1
	v_cvt_f32_f16_e32 v10, v9
	v_pk_fma_f32 v[4:5], v[4:5], v[10:11], v[6:7] op_sel_hi:[0,1,1]
	v_div_scale_f32 v2, s[48:49], v3, v3, v5
	v_rcp_f32_e32 v6, v2
	s_nop 0
	v_fma_f32 v7, -v2, v6, 1.0
	v_fmac_f32_e32 v6, v7, v6
	v_div_scale_f32 v7, vcc, v5, v3, v5
	v_mul_f32_e32 v8, v7, v6
	v_fma_f32 v9, -v2, v8, v7
	v_fmac_f32_e32 v8, v9, v6
	v_fma_f32 v2, -v2, v8, v7
	v_div_fmas_f32 v2, v2, v6, v8
	v_div_fixup_f32 v5, v2, v3, v5
	v_div_scale_f32 v2, s[48:49], v3, v3, v4
	v_rcp_f32_e32 v6, v2
	s_nop 0
	v_fma_f32 v7, -v2, v6, 1.0
	v_fmac_f32_e32 v6, v7, v6
	v_div_scale_f32 v7, vcc, v4, v3, v4
	v_mul_f32_e32 v8, v7, v6
	v_fma_f32 v9, -v2, v8, v7
	v_fmac_f32_e32 v8, v9, v6
	v_fma_f32 v2, -v2, v8, v7
	v_div_fmas_f32 v2, v2, v6, v8
	v_div_fixup_f32 v4, v2, v3, v4
	global_store_dwordx2 v[0:1], v[4:5], off offset:512
	v_mov_b32_e32 v1, 0
.LBB30_380:                             ;   in Loop: Header=BB30_14 Depth=1
	s_or_b64 exec, exec, s[46:47]
	s_movk_i32 s46, 0x47
	v_cmp_gt_i32_e32 vcc, s46, v1
	s_mov_b64 s[46:47], -1
	s_and_saveexec_b64 s[48:49], vcc
; %bb.381:                              ;   in Loop: Header=BB30_14 Depth=1
	v_cmp_eq_u32_e32 vcc, 0, v1
	s_orn2_b64 s[46:47], vcc, exec
; %bb.382:                              ;   in Loop: Header=BB30_14 Depth=1
	s_or_b64 exec, exec, s[48:49]
	s_and_b64 exec, exec, s[46:47]
	s_cbranch_execz .LBB30_12
; %bb.383:                              ;   in Loop: Header=BB30_14 Depth=1
	v_accvgpr_read_b32 v0, a29
	v_add_u32_e32 v0, v0, v102
	v_cmp_gt_i32_e32 vcc, s96, v0
	v_mov_b32_e32 v1, 0x47
	s_and_saveexec_b64 s[46:47], vcc
	s_cbranch_execz .LBB30_385
; %bb.384:                              ;   in Loop: Header=BB30_14 Depth=1
	v_accvgpr_read_b32 v1, a52
	ds_read2_b32 v[2:3], v1 offset0:128 offset1:129
	ds_read_b32 v4, v1 offset:8960
	v_accvgpr_read_b32 v1, a68
	ds_read2st64_b32 v[6:7], v1 offset1:1
	ds_read2st64_b32 v[8:9], v1 offset0:33 offset1:34
	v_readlane_b32 s48, v254, 59
	s_waitcnt lgkmcnt(1)
	v_cvt_f32_f16_sdwa v11, v6 dst_sel:DWORD dst_unused:UNUSED_PAD src0_sel:WORD_1
	v_cvt_f32_f16_e32 v10, v6
	s_waitcnt lgkmcnt(0)
	v_cvt_f32_f16_sdwa v13, v8 dst_sel:DWORD dst_unused:UNUSED_PAD src0_sel:WORD_1
	v_cvt_f32_f16_e32 v12, v8
	v_mad_u64_u32 v[0:1], s[48:49], s48, v0, v[52:53]
	v_pk_fma_f32 v[10:11], v[2:3], v[10:11], 0 op_sel_hi:[0,1,0]
	v_pk_fma_f32 v[10:11], v[4:5], v[12:13], v[10:11] op_sel_hi:[0,1,1]
	v_div_scale_f32 v5, s[48:49], v3, v3, v11
	v_rcp_f32_e32 v6, v5
	v_ashrrev_i32_e32 v1, 31, v0
	v_lshl_add_u64 v[0:1], v[0:1], 3, v[128:129]
	v_fma_f32 v8, -v5, v6, 1.0
	v_fmac_f32_e32 v6, v8, v6
	v_div_scale_f32 v8, vcc, v11, v3, v11
	v_mul_f32_e32 v12, v8, v6
	v_fma_f32 v13, -v5, v12, v8
	v_fmac_f32_e32 v12, v13, v6
	v_fma_f32 v5, -v5, v12, v8
	v_div_fmas_f32 v5, v5, v6, v12
	v_div_fixup_f32 v11, v5, v3, v11
	v_div_scale_f32 v5, s[48:49], v3, v3, v10
	v_rcp_f32_e32 v6, v5
	s_nop 0
	v_fma_f32 v8, -v5, v6, 1.0
	v_fmac_f32_e32 v6, v8, v6
	v_div_scale_f32 v8, vcc, v10, v3, v10
	v_mul_f32_e32 v12, v8, v6
	v_fma_f32 v13, -v5, v12, v8
	v_fmac_f32_e32 v12, v13, v6
	v_fma_f32 v5, -v5, v12, v8
	v_div_fmas_f32 v5, v5, v6, v12
	v_div_fixup_f32 v10, v5, v3, v10
	global_store_dwordx2 v[0:1], v[10:11], off
	v_cvt_f32_f16_sdwa v11, v7 dst_sel:DWORD dst_unused:UNUSED_PAD src0_sel:WORD_1
	v_cvt_f32_f16_e32 v10, v7
	v_pk_fma_f32 v[6:7], v[2:3], v[10:11], 0 op_sel_hi:[0,1,0]
	v_cvt_f32_f16_sdwa v11, v9 dst_sel:DWORD dst_unused:UNUSED_PAD src0_sel:WORD_1
	v_cvt_f32_f16_e32 v10, v9
	v_pk_fma_f32 v[4:5], v[4:5], v[10:11], v[6:7] op_sel_hi:[0,1,1]
	v_div_scale_f32 v2, s[48:49], v3, v3, v5
	v_rcp_f32_e32 v6, v2
	s_nop 0
	v_fma_f32 v7, -v2, v6, 1.0
	v_fmac_f32_e32 v6, v7, v6
	v_div_scale_f32 v7, vcc, v5, v3, v5
	v_mul_f32_e32 v8, v7, v6
	v_fma_f32 v9, -v2, v8, v7
	v_fmac_f32_e32 v8, v9, v6
	v_fma_f32 v2, -v2, v8, v7
	v_div_fmas_f32 v2, v2, v6, v8
	v_div_fixup_f32 v5, v2, v3, v5
	v_div_scale_f32 v2, s[48:49], v3, v3, v4
	v_rcp_f32_e32 v6, v2
	s_nop 0
	v_fma_f32 v7, -v2, v6, 1.0
	v_fmac_f32_e32 v6, v7, v6
	v_div_scale_f32 v7, vcc, v4, v3, v4
	v_mul_f32_e32 v8, v7, v6
	v_fma_f32 v9, -v2, v8, v7
	v_fmac_f32_e32 v8, v9, v6
	v_fma_f32 v2, -v2, v8, v7
	v_div_fmas_f32 v2, v2, v6, v8
	v_div_fixup_f32 v4, v2, v3, v4
	global_store_dwordx2 v[0:1], v[4:5], off offset:512
	v_mov_b32_e32 v1, 0
.LBB30_385:                             ;   in Loop: Header=BB30_14 Depth=1
	s_or_b64 exec, exec, s[46:47]
	s_movk_i32 s46, 0x47
	v_cmp_gt_i32_e32 vcc, s46, v1
	s_mov_b64 s[46:47], -1
	s_and_saveexec_b64 s[48:49], vcc
; %bb.386:                              ;   in Loop: Header=BB30_14 Depth=1
	v_cmp_eq_u32_e32 vcc, 0, v1
	s_orn2_b64 s[46:47], vcc, exec
; %bb.387:                              ;   in Loop: Header=BB30_14 Depth=1
	s_or_b64 exec, exec, s[48:49]
	s_and_b64 exec, exec, s[46:47]
	s_cbranch_execz .LBB30_12
; %bb.388:                              ;   in Loop: Header=BB30_14 Depth=1
	v_accvgpr_read_b32 v0, a30
	v_add_u32_e32 v0, v0, v102
	v_cmp_gt_i32_e32 vcc, s96, v0
	v_mov_b32_e32 v1, 0x47
	s_and_saveexec_b64 s[46:47], vcc
	s_cbranch_execz .LBB30_390
; %bb.389:                              ;   in Loop: Header=BB30_14 Depth=1
	v_accvgpr_read_b32 v1, a53
	ds_read2_b32 v[2:3], v1 offset0:128 offset1:129
	ds_read_b32 v4, v1 offset:8960
	v_accvgpr_read_b32 v1, a69
	ds_read2st64_b32 v[6:7], v1 offset1:1
	ds_read2st64_b32 v[8:9], v1 offset0:33 offset1:34
	v_readlane_b32 s48, v254, 59
	s_waitcnt lgkmcnt(1)
	v_cvt_f32_f16_sdwa v11, v6 dst_sel:DWORD dst_unused:UNUSED_PAD src0_sel:WORD_1
	v_cvt_f32_f16_e32 v10, v6
	s_waitcnt lgkmcnt(0)
	v_cvt_f32_f16_sdwa v13, v8 dst_sel:DWORD dst_unused:UNUSED_PAD src0_sel:WORD_1
	v_cvt_f32_f16_e32 v12, v8
	v_mad_u64_u32 v[0:1], s[48:49], s48, v0, v[52:53]
	v_pk_fma_f32 v[10:11], v[2:3], v[10:11], 0 op_sel_hi:[0,1,0]
	v_pk_fma_f32 v[10:11], v[4:5], v[12:13], v[10:11] op_sel_hi:[0,1,1]
	v_div_scale_f32 v5, s[48:49], v3, v3, v11
	v_rcp_f32_e32 v6, v5
	v_ashrrev_i32_e32 v1, 31, v0
	v_lshl_add_u64 v[0:1], v[0:1], 3, v[128:129]
	v_fma_f32 v8, -v5, v6, 1.0
	v_fmac_f32_e32 v6, v8, v6
	v_div_scale_f32 v8, vcc, v11, v3, v11
	v_mul_f32_e32 v12, v8, v6
	v_fma_f32 v13, -v5, v12, v8
	v_fmac_f32_e32 v12, v13, v6
	v_fma_f32 v5, -v5, v12, v8
	v_div_fmas_f32 v5, v5, v6, v12
	v_div_fixup_f32 v11, v5, v3, v11
	v_div_scale_f32 v5, s[48:49], v3, v3, v10
	v_rcp_f32_e32 v6, v5
	s_nop 0
	v_fma_f32 v8, -v5, v6, 1.0
	v_fmac_f32_e32 v6, v8, v6
	v_div_scale_f32 v8, vcc, v10, v3, v10
	v_mul_f32_e32 v12, v8, v6
	v_fma_f32 v13, -v5, v12, v8
	v_fmac_f32_e32 v12, v13, v6
	v_fma_f32 v5, -v5, v12, v8
	v_div_fmas_f32 v5, v5, v6, v12
	v_div_fixup_f32 v10, v5, v3, v10
	global_store_dwordx2 v[0:1], v[10:11], off
	v_cvt_f32_f16_sdwa v11, v7 dst_sel:DWORD dst_unused:UNUSED_PAD src0_sel:WORD_1
	v_cvt_f32_f16_e32 v10, v7
	v_pk_fma_f32 v[6:7], v[2:3], v[10:11], 0 op_sel_hi:[0,1,0]
	v_cvt_f32_f16_sdwa v11, v9 dst_sel:DWORD dst_unused:UNUSED_PAD src0_sel:WORD_1
	v_cvt_f32_f16_e32 v10, v9
	v_pk_fma_f32 v[4:5], v[4:5], v[10:11], v[6:7] op_sel_hi:[0,1,1]
	v_div_scale_f32 v2, s[48:49], v3, v3, v5
	v_rcp_f32_e32 v6, v2
	s_nop 0
	v_fma_f32 v7, -v2, v6, 1.0
	v_fmac_f32_e32 v6, v7, v6
	v_div_scale_f32 v7, vcc, v5, v3, v5
	v_mul_f32_e32 v8, v7, v6
	v_fma_f32 v9, -v2, v8, v7
	v_fmac_f32_e32 v8, v9, v6
	v_fma_f32 v2, -v2, v8, v7
	v_div_fmas_f32 v2, v2, v6, v8
	v_div_fixup_f32 v5, v2, v3, v5
	v_div_scale_f32 v2, s[48:49], v3, v3, v4
	v_rcp_f32_e32 v6, v2
	s_nop 0
	v_fma_f32 v7, -v2, v6, 1.0
	v_fmac_f32_e32 v6, v7, v6
	v_div_scale_f32 v7, vcc, v4, v3, v4
	v_mul_f32_e32 v8, v7, v6
	v_fma_f32 v9, -v2, v8, v7
	v_fmac_f32_e32 v8, v9, v6
	v_fma_f32 v2, -v2, v8, v7
	v_div_fmas_f32 v2, v2, v6, v8
	v_div_fixup_f32 v4, v2, v3, v4
	global_store_dwordx2 v[0:1], v[4:5], off offset:512
	v_mov_b32_e32 v1, 0
.LBB30_390:                             ;   in Loop: Header=BB30_14 Depth=1
	s_or_b64 exec, exec, s[46:47]
	s_movk_i32 s46, 0x47
	v_cmp_gt_i32_e32 vcc, s46, v1
	s_mov_b64 s[46:47], -1
	s_and_saveexec_b64 s[48:49], vcc
; %bb.391:                              ;   in Loop: Header=BB30_14 Depth=1
	v_cmp_eq_u32_e32 vcc, 0, v1
	s_orn2_b64 s[46:47], vcc, exec
; %bb.392:                              ;   in Loop: Header=BB30_14 Depth=1
	s_or_b64 exec, exec, s[48:49]
	s_and_b64 exec, exec, s[46:47]
	s_cbranch_execz .LBB30_12
; %bb.393:                              ;   in Loop: Header=BB30_14 Depth=1
	v_accvgpr_read_b32 v0, a31
	v_add_u32_e32 v0, v0, v102
	v_cmp_gt_i32_e32 vcc, s96, v0
	v_mov_b32_e32 v1, 0x47
	s_and_saveexec_b64 s[46:47], vcc
	s_cbranch_execz .LBB30_395
; %bb.394:                              ;   in Loop: Header=BB30_14 Depth=1
	v_accvgpr_read_b32 v1, a54
	ds_read2_b32 v[2:3], v1 offset0:128 offset1:129
	ds_read_b32 v4, v1 offset:8960
	v_accvgpr_read_b32 v1, a70
	ds_read2st64_b32 v[6:7], v1 offset1:1
	ds_read2st64_b32 v[8:9], v1 offset0:33 offset1:34
	v_readlane_b32 s48, v254, 59
	s_waitcnt lgkmcnt(1)
	v_cvt_f32_f16_sdwa v11, v6 dst_sel:DWORD dst_unused:UNUSED_PAD src0_sel:WORD_1
	v_cvt_f32_f16_e32 v10, v6
	s_waitcnt lgkmcnt(0)
	v_cvt_f32_f16_sdwa v13, v8 dst_sel:DWORD dst_unused:UNUSED_PAD src0_sel:WORD_1
	v_cvt_f32_f16_e32 v12, v8
	v_mad_u64_u32 v[0:1], s[48:49], s48, v0, v[52:53]
	v_pk_fma_f32 v[10:11], v[2:3], v[10:11], 0 op_sel_hi:[0,1,0]
	v_pk_fma_f32 v[10:11], v[4:5], v[12:13], v[10:11] op_sel_hi:[0,1,1]
	v_div_scale_f32 v5, s[48:49], v3, v3, v11
	v_rcp_f32_e32 v6, v5
	v_ashrrev_i32_e32 v1, 31, v0
	v_lshl_add_u64 v[0:1], v[0:1], 3, v[128:129]
	v_fma_f32 v8, -v5, v6, 1.0
	v_fmac_f32_e32 v6, v8, v6
	v_div_scale_f32 v8, vcc, v11, v3, v11
	v_mul_f32_e32 v12, v8, v6
	v_fma_f32 v13, -v5, v12, v8
	v_fmac_f32_e32 v12, v13, v6
	v_fma_f32 v5, -v5, v12, v8
	v_div_fmas_f32 v5, v5, v6, v12
	v_div_fixup_f32 v11, v5, v3, v11
	v_div_scale_f32 v5, s[48:49], v3, v3, v10
	v_rcp_f32_e32 v6, v5
	s_nop 0
	v_fma_f32 v8, -v5, v6, 1.0
	v_fmac_f32_e32 v6, v8, v6
	v_div_scale_f32 v8, vcc, v10, v3, v10
	v_mul_f32_e32 v12, v8, v6
	v_fma_f32 v13, -v5, v12, v8
	v_fmac_f32_e32 v12, v13, v6
	v_fma_f32 v5, -v5, v12, v8
	v_div_fmas_f32 v5, v5, v6, v12
	v_div_fixup_f32 v10, v5, v3, v10
	global_store_dwordx2 v[0:1], v[10:11], off
	v_cvt_f32_f16_sdwa v11, v7 dst_sel:DWORD dst_unused:UNUSED_PAD src0_sel:WORD_1
	v_cvt_f32_f16_e32 v10, v7
	v_pk_fma_f32 v[6:7], v[2:3], v[10:11], 0 op_sel_hi:[0,1,0]
	v_cvt_f32_f16_sdwa v11, v9 dst_sel:DWORD dst_unused:UNUSED_PAD src0_sel:WORD_1
	v_cvt_f32_f16_e32 v10, v9
	v_pk_fma_f32 v[4:5], v[4:5], v[10:11], v[6:7] op_sel_hi:[0,1,1]
	v_div_scale_f32 v2, s[48:49], v3, v3, v5
	v_rcp_f32_e32 v6, v2
	s_nop 0
	v_fma_f32 v7, -v2, v6, 1.0
	v_fmac_f32_e32 v6, v7, v6
	v_div_scale_f32 v7, vcc, v5, v3, v5
	v_mul_f32_e32 v8, v7, v6
	v_fma_f32 v9, -v2, v8, v7
	v_fmac_f32_e32 v8, v9, v6
	v_fma_f32 v2, -v2, v8, v7
	v_div_fmas_f32 v2, v2, v6, v8
	v_div_fixup_f32 v5, v2, v3, v5
	v_div_scale_f32 v2, s[48:49], v3, v3, v4
	v_rcp_f32_e32 v6, v2
	s_nop 0
	v_fma_f32 v7, -v2, v6, 1.0
	v_fmac_f32_e32 v6, v7, v6
	v_div_scale_f32 v7, vcc, v4, v3, v4
	v_mul_f32_e32 v8, v7, v6
	v_fma_f32 v9, -v2, v8, v7
	v_fmac_f32_e32 v8, v9, v6
	v_fma_f32 v2, -v2, v8, v7
	v_div_fmas_f32 v2, v2, v6, v8
	v_div_fixup_f32 v4, v2, v3, v4
	global_store_dwordx2 v[0:1], v[4:5], off offset:512
	v_mov_b32_e32 v1, 0
.LBB30_395:                             ;   in Loop: Header=BB30_14 Depth=1
	s_or_b64 exec, exec, s[46:47]
	s_movk_i32 s46, 0x47
	v_cmp_gt_i32_e32 vcc, s46, v1
	s_mov_b64 s[46:47], -1
	s_and_saveexec_b64 s[48:49], vcc
; %bb.396:                              ;   in Loop: Header=BB30_14 Depth=1
	v_cmp_eq_u32_e32 vcc, 0, v1
	s_orn2_b64 s[46:47], vcc, exec
; %bb.397:                              ;   in Loop: Header=BB30_14 Depth=1
	s_or_b64 exec, exec, s[48:49]
	s_and_b64 exec, exec, s[46:47]
	s_cbranch_execz .LBB30_12
; %bb.398:                              ;   in Loop: Header=BB30_14 Depth=1
	v_accvgpr_read_b32 v0, a32
	v_add_u32_e32 v0, v0, v102
	v_cmp_gt_i32_e32 vcc, s96, v0
	v_mov_b32_e32 v1, 0x47
	s_and_saveexec_b64 s[46:47], vcc
	s_cbranch_execz .LBB30_400
; %bb.399:                              ;   in Loop: Header=BB30_14 Depth=1
	v_accvgpr_read_b32 v1, a55
	ds_read2_b32 v[2:3], v1 offset0:128 offset1:129
	ds_read_b32 v4, v1 offset:8960
	v_accvgpr_read_b32 v1, a71
	ds_read2st64_b32 v[6:7], v1 offset1:1
	ds_read2st64_b32 v[8:9], v1 offset0:33 offset1:34
	v_readlane_b32 s48, v254, 59
	s_waitcnt lgkmcnt(1)
	v_cvt_f32_f16_sdwa v11, v6 dst_sel:DWORD dst_unused:UNUSED_PAD src0_sel:WORD_1
	v_cvt_f32_f16_e32 v10, v6
	s_waitcnt lgkmcnt(0)
	v_cvt_f32_f16_sdwa v13, v8 dst_sel:DWORD dst_unused:UNUSED_PAD src0_sel:WORD_1
	v_cvt_f32_f16_e32 v12, v8
	v_mad_u64_u32 v[0:1], s[48:49], s48, v0, v[52:53]
	v_pk_fma_f32 v[10:11], v[2:3], v[10:11], 0 op_sel_hi:[0,1,0]
	v_pk_fma_f32 v[10:11], v[4:5], v[12:13], v[10:11] op_sel_hi:[0,1,1]
	v_div_scale_f32 v5, s[48:49], v3, v3, v11
	v_rcp_f32_e32 v6, v5
	v_ashrrev_i32_e32 v1, 31, v0
	v_lshl_add_u64 v[0:1], v[0:1], 3, v[128:129]
	v_fma_f32 v8, -v5, v6, 1.0
	v_fmac_f32_e32 v6, v8, v6
	v_div_scale_f32 v8, vcc, v11, v3, v11
	v_mul_f32_e32 v12, v8, v6
	v_fma_f32 v13, -v5, v12, v8
	v_fmac_f32_e32 v12, v13, v6
	v_fma_f32 v5, -v5, v12, v8
	v_div_fmas_f32 v5, v5, v6, v12
	v_div_fixup_f32 v11, v5, v3, v11
	v_div_scale_f32 v5, s[48:49], v3, v3, v10
	v_rcp_f32_e32 v6, v5
	s_nop 0
	v_fma_f32 v8, -v5, v6, 1.0
	v_fmac_f32_e32 v6, v8, v6
	v_div_scale_f32 v8, vcc, v10, v3, v10
	v_mul_f32_e32 v12, v8, v6
	v_fma_f32 v13, -v5, v12, v8
	v_fmac_f32_e32 v12, v13, v6
	v_fma_f32 v5, -v5, v12, v8
	v_div_fmas_f32 v5, v5, v6, v12
	v_div_fixup_f32 v10, v5, v3, v10
	global_store_dwordx2 v[0:1], v[10:11], off
	v_cvt_f32_f16_sdwa v11, v7 dst_sel:DWORD dst_unused:UNUSED_PAD src0_sel:WORD_1
	v_cvt_f32_f16_e32 v10, v7
	v_pk_fma_f32 v[6:7], v[2:3], v[10:11], 0 op_sel_hi:[0,1,0]
	v_cvt_f32_f16_sdwa v11, v9 dst_sel:DWORD dst_unused:UNUSED_PAD src0_sel:WORD_1
	v_cvt_f32_f16_e32 v10, v9
	v_pk_fma_f32 v[4:5], v[4:5], v[10:11], v[6:7] op_sel_hi:[0,1,1]
	v_div_scale_f32 v2, s[48:49], v3, v3, v5
	v_rcp_f32_e32 v6, v2
	s_nop 0
	v_fma_f32 v7, -v2, v6, 1.0
	v_fmac_f32_e32 v6, v7, v6
	v_div_scale_f32 v7, vcc, v5, v3, v5
	v_mul_f32_e32 v8, v7, v6
	v_fma_f32 v9, -v2, v8, v7
	v_fmac_f32_e32 v8, v9, v6
	v_fma_f32 v2, -v2, v8, v7
	v_div_fmas_f32 v2, v2, v6, v8
	v_div_fixup_f32 v5, v2, v3, v5
	v_div_scale_f32 v2, s[48:49], v3, v3, v4
	v_rcp_f32_e32 v6, v2
	s_nop 0
	v_fma_f32 v7, -v2, v6, 1.0
	v_fmac_f32_e32 v6, v7, v6
	v_div_scale_f32 v7, vcc, v4, v3, v4
	v_mul_f32_e32 v8, v7, v6
	v_fma_f32 v9, -v2, v8, v7
	v_fmac_f32_e32 v8, v9, v6
	v_fma_f32 v2, -v2, v8, v7
	v_div_fmas_f32 v2, v2, v6, v8
	v_div_fixup_f32 v4, v2, v3, v4
	global_store_dwordx2 v[0:1], v[4:5], off offset:512
	v_mov_b32_e32 v1, 0
.LBB30_400:                             ;   in Loop: Header=BB30_14 Depth=1
	s_or_b64 exec, exec, s[46:47]
	s_movk_i32 s46, 0x47
	v_cmp_gt_i32_e32 vcc, s46, v1
	s_mov_b64 s[46:47], -1
	s_and_saveexec_b64 s[48:49], vcc
; %bb.401:                              ;   in Loop: Header=BB30_14 Depth=1
	v_cmp_eq_u32_e32 vcc, 0, v1
	s_orn2_b64 s[46:47], vcc, exec
; %bb.402:                              ;   in Loop: Header=BB30_14 Depth=1
	s_or_b64 exec, exec, s[48:49]
	s_and_b64 exec, exec, s[46:47]
	s_cbranch_execz .LBB30_12
; %bb.403:                              ;   in Loop: Header=BB30_14 Depth=1
	v_accvgpr_read_b32 v0, a33
	v_add_u32_e32 v0, v0, v102
	v_cmp_gt_i32_e32 vcc, s96, v0
	v_mov_b32_e32 v1, 0x47
	s_and_saveexec_b64 s[46:47], vcc
	s_cbranch_execz .LBB30_405
; %bb.404:                              ;   in Loop: Header=BB30_14 Depth=1
	v_accvgpr_read_b32 v1, a56
	ds_read2_b32 v[2:3], v1 offset0:128 offset1:129
	ds_read_b32 v4, v1 offset:8960
	v_accvgpr_read_b32 v1, a72
	ds_read2st64_b32 v[6:7], v1 offset1:1
	ds_read2st64_b32 v[8:9], v1 offset0:33 offset1:34
	v_readlane_b32 s48, v254, 59
	s_waitcnt lgkmcnt(1)
	v_cvt_f32_f16_sdwa v11, v6 dst_sel:DWORD dst_unused:UNUSED_PAD src0_sel:WORD_1
	v_cvt_f32_f16_e32 v10, v6
	s_waitcnt lgkmcnt(0)
	v_cvt_f32_f16_sdwa v13, v8 dst_sel:DWORD dst_unused:UNUSED_PAD src0_sel:WORD_1
	v_cvt_f32_f16_e32 v12, v8
	v_mad_u64_u32 v[0:1], s[48:49], s48, v0, v[52:53]
	v_pk_fma_f32 v[10:11], v[2:3], v[10:11], 0 op_sel_hi:[0,1,0]
	v_pk_fma_f32 v[10:11], v[4:5], v[12:13], v[10:11] op_sel_hi:[0,1,1]
	v_div_scale_f32 v5, s[48:49], v3, v3, v11
	v_rcp_f32_e32 v6, v5
	v_ashrrev_i32_e32 v1, 31, v0
	v_lshl_add_u64 v[0:1], v[0:1], 3, v[128:129]
	v_fma_f32 v8, -v5, v6, 1.0
	v_fmac_f32_e32 v6, v8, v6
	v_div_scale_f32 v8, vcc, v11, v3, v11
	v_mul_f32_e32 v12, v8, v6
	v_fma_f32 v13, -v5, v12, v8
	v_fmac_f32_e32 v12, v13, v6
	v_fma_f32 v5, -v5, v12, v8
	v_div_fmas_f32 v5, v5, v6, v12
	v_div_fixup_f32 v11, v5, v3, v11
	v_div_scale_f32 v5, s[48:49], v3, v3, v10
	v_rcp_f32_e32 v6, v5
	s_nop 0
	v_fma_f32 v8, -v5, v6, 1.0
	v_fmac_f32_e32 v6, v8, v6
	v_div_scale_f32 v8, vcc, v10, v3, v10
	v_mul_f32_e32 v12, v8, v6
	v_fma_f32 v13, -v5, v12, v8
	v_fmac_f32_e32 v12, v13, v6
	v_fma_f32 v5, -v5, v12, v8
	v_div_fmas_f32 v5, v5, v6, v12
	v_div_fixup_f32 v10, v5, v3, v10
	global_store_dwordx2 v[0:1], v[10:11], off
	v_cvt_f32_f16_sdwa v11, v7 dst_sel:DWORD dst_unused:UNUSED_PAD src0_sel:WORD_1
	v_cvt_f32_f16_e32 v10, v7
	v_pk_fma_f32 v[6:7], v[2:3], v[10:11], 0 op_sel_hi:[0,1,0]
	v_cvt_f32_f16_sdwa v11, v9 dst_sel:DWORD dst_unused:UNUSED_PAD src0_sel:WORD_1
	v_cvt_f32_f16_e32 v10, v9
	v_pk_fma_f32 v[4:5], v[4:5], v[10:11], v[6:7] op_sel_hi:[0,1,1]
	v_div_scale_f32 v2, s[48:49], v3, v3, v5
	v_rcp_f32_e32 v6, v2
	s_nop 0
	v_fma_f32 v7, -v2, v6, 1.0
	v_fmac_f32_e32 v6, v7, v6
	v_div_scale_f32 v7, vcc, v5, v3, v5
	v_mul_f32_e32 v8, v7, v6
	v_fma_f32 v9, -v2, v8, v7
	v_fmac_f32_e32 v8, v9, v6
	v_fma_f32 v2, -v2, v8, v7
	v_div_fmas_f32 v2, v2, v6, v8
	v_div_fixup_f32 v5, v2, v3, v5
	v_div_scale_f32 v2, s[48:49], v3, v3, v4
	v_rcp_f32_e32 v6, v2
	s_nop 0
	v_fma_f32 v7, -v2, v6, 1.0
	v_fmac_f32_e32 v6, v7, v6
	v_div_scale_f32 v7, vcc, v4, v3, v4
	v_mul_f32_e32 v8, v7, v6
	v_fma_f32 v9, -v2, v8, v7
	v_fmac_f32_e32 v8, v9, v6
	v_fma_f32 v2, -v2, v8, v7
	v_div_fmas_f32 v2, v2, v6, v8
	v_div_fixup_f32 v4, v2, v3, v4
	global_store_dwordx2 v[0:1], v[4:5], off offset:512
	v_mov_b32_e32 v1, 0
.LBB30_405:                             ;   in Loop: Header=BB30_14 Depth=1
	s_or_b64 exec, exec, s[46:47]
	s_movk_i32 s46, 0x47
	v_cmp_gt_i32_e32 vcc, s46, v1
	s_mov_b64 s[46:47], -1
	s_and_saveexec_b64 s[48:49], vcc
; %bb.406:                              ;   in Loop: Header=BB30_14 Depth=1
	v_cmp_eq_u32_e32 vcc, 0, v1
	s_orn2_b64 s[46:47], vcc, exec
; %bb.407:                              ;   in Loop: Header=BB30_14 Depth=1
	s_or_b64 exec, exec, s[48:49]
	s_and_b64 exec, exec, s[46:47]
	s_cbranch_execz .LBB30_12
; %bb.408:                              ;   in Loop: Header=BB30_14 Depth=1
	v_accvgpr_read_b32 v0, a34
	v_add_u32_e32 v0, v0, v102
	v_cmp_gt_i32_e32 vcc, s96, v0
	v_mov_b32_e32 v1, 0x47
	s_and_saveexec_b64 s[46:47], vcc
	s_cbranch_execz .LBB30_410
; %bb.409:                              ;   in Loop: Header=BB30_14 Depth=1
	v_accvgpr_read_b32 v1, a57
	ds_read2_b32 v[2:3], v1 offset0:128 offset1:129
	ds_read_b32 v4, v1 offset:8960
	v_accvgpr_read_b32 v1, a73
	ds_read2st64_b32 v[6:7], v1 offset1:1
	ds_read2st64_b32 v[8:9], v1 offset0:33 offset1:34
	v_readlane_b32 s48, v254, 59
	s_waitcnt lgkmcnt(1)
	v_cvt_f32_f16_sdwa v11, v6 dst_sel:DWORD dst_unused:UNUSED_PAD src0_sel:WORD_1
	v_cvt_f32_f16_e32 v10, v6
	s_waitcnt lgkmcnt(0)
	v_cvt_f32_f16_sdwa v13, v8 dst_sel:DWORD dst_unused:UNUSED_PAD src0_sel:WORD_1
	v_cvt_f32_f16_e32 v12, v8
	v_mad_u64_u32 v[0:1], s[48:49], s48, v0, v[52:53]
	v_pk_fma_f32 v[10:11], v[2:3], v[10:11], 0 op_sel_hi:[0,1,0]
	v_pk_fma_f32 v[10:11], v[4:5], v[12:13], v[10:11] op_sel_hi:[0,1,1]
	v_div_scale_f32 v5, s[48:49], v3, v3, v11
	v_rcp_f32_e32 v6, v5
	v_ashrrev_i32_e32 v1, 31, v0
	v_lshl_add_u64 v[0:1], v[0:1], 3, v[128:129]
	v_fma_f32 v8, -v5, v6, 1.0
	v_fmac_f32_e32 v6, v8, v6
	v_div_scale_f32 v8, vcc, v11, v3, v11
	v_mul_f32_e32 v12, v8, v6
	v_fma_f32 v13, -v5, v12, v8
	v_fmac_f32_e32 v12, v13, v6
	v_fma_f32 v5, -v5, v12, v8
	v_div_fmas_f32 v5, v5, v6, v12
	v_div_fixup_f32 v11, v5, v3, v11
	v_div_scale_f32 v5, s[48:49], v3, v3, v10
	v_rcp_f32_e32 v6, v5
	s_nop 0
	v_fma_f32 v8, -v5, v6, 1.0
	v_fmac_f32_e32 v6, v8, v6
	v_div_scale_f32 v8, vcc, v10, v3, v10
	v_mul_f32_e32 v12, v8, v6
	v_fma_f32 v13, -v5, v12, v8
	v_fmac_f32_e32 v12, v13, v6
	v_fma_f32 v5, -v5, v12, v8
	v_div_fmas_f32 v5, v5, v6, v12
	v_div_fixup_f32 v10, v5, v3, v10
	global_store_dwordx2 v[0:1], v[10:11], off
	v_cvt_f32_f16_sdwa v11, v7 dst_sel:DWORD dst_unused:UNUSED_PAD src0_sel:WORD_1
	v_cvt_f32_f16_e32 v10, v7
	v_pk_fma_f32 v[6:7], v[2:3], v[10:11], 0 op_sel_hi:[0,1,0]
	v_cvt_f32_f16_sdwa v11, v9 dst_sel:DWORD dst_unused:UNUSED_PAD src0_sel:WORD_1
	v_cvt_f32_f16_e32 v10, v9
	v_pk_fma_f32 v[4:5], v[4:5], v[10:11], v[6:7] op_sel_hi:[0,1,1]
	v_div_scale_f32 v2, s[48:49], v3, v3, v5
	v_rcp_f32_e32 v6, v2
	s_nop 0
	v_fma_f32 v7, -v2, v6, 1.0
	v_fmac_f32_e32 v6, v7, v6
	v_div_scale_f32 v7, vcc, v5, v3, v5
	v_mul_f32_e32 v8, v7, v6
	v_fma_f32 v9, -v2, v8, v7
	v_fmac_f32_e32 v8, v9, v6
	v_fma_f32 v2, -v2, v8, v7
	v_div_fmas_f32 v2, v2, v6, v8
	v_div_fixup_f32 v5, v2, v3, v5
	v_div_scale_f32 v2, s[48:49], v3, v3, v4
	v_rcp_f32_e32 v6, v2
	s_nop 0
	v_fma_f32 v7, -v2, v6, 1.0
	v_fmac_f32_e32 v6, v7, v6
	v_div_scale_f32 v7, vcc, v4, v3, v4
	v_mul_f32_e32 v8, v7, v6
	v_fma_f32 v9, -v2, v8, v7
	v_fmac_f32_e32 v8, v9, v6
	v_fma_f32 v2, -v2, v8, v7
	v_div_fmas_f32 v2, v2, v6, v8
	v_div_fixup_f32 v4, v2, v3, v4
	global_store_dwordx2 v[0:1], v[4:5], off offset:512
	v_mov_b32_e32 v1, 0
.LBB30_410:                             ;   in Loop: Header=BB30_14 Depth=1
	s_or_b64 exec, exec, s[46:47]
	s_movk_i32 s46, 0x47
	v_cmp_gt_i32_e32 vcc, s46, v1
	s_mov_b64 s[46:47], -1
	s_and_saveexec_b64 s[48:49], vcc
; %bb.411:                              ;   in Loop: Header=BB30_14 Depth=1
	v_cmp_eq_u32_e32 vcc, 0, v1
	s_orn2_b64 s[46:47], vcc, exec
; %bb.412:                              ;   in Loop: Header=BB30_14 Depth=1
	s_or_b64 exec, exec, s[48:49]
	s_and_b64 exec, exec, s[46:47]
	s_cbranch_execz .LBB30_12
; %bb.413:                              ;   in Loop: Header=BB30_14 Depth=1
	v_accvgpr_read_b32 v0, a35
	v_add_u32_e32 v0, v0, v102
	v_cmp_gt_i32_e32 vcc, s96, v0
	v_mov_b32_e32 v1, 0x47
	s_and_saveexec_b64 s[46:47], vcc
	s_cbranch_execz .LBB30_415
; %bb.414:                              ;   in Loop: Header=BB30_14 Depth=1
	v_accvgpr_read_b32 v1, a58
	ds_read2_b32 v[2:3], v1 offset0:128 offset1:129
	ds_read_b32 v4, v1 offset:8960
	v_accvgpr_read_b32 v1, a74
	ds_read2st64_b32 v[6:7], v1 offset1:1
	ds_read2st64_b32 v[8:9], v1 offset0:33 offset1:34
	v_readlane_b32 s48, v254, 59
	s_waitcnt lgkmcnt(1)
	v_cvt_f32_f16_sdwa v11, v6 dst_sel:DWORD dst_unused:UNUSED_PAD src0_sel:WORD_1
	v_cvt_f32_f16_e32 v10, v6
	s_waitcnt lgkmcnt(0)
	v_cvt_f32_f16_sdwa v13, v8 dst_sel:DWORD dst_unused:UNUSED_PAD src0_sel:WORD_1
	v_cvt_f32_f16_e32 v12, v8
	v_mad_u64_u32 v[0:1], s[48:49], s48, v0, v[52:53]
	v_pk_fma_f32 v[10:11], v[2:3], v[10:11], 0 op_sel_hi:[0,1,0]
	v_pk_fma_f32 v[10:11], v[4:5], v[12:13], v[10:11] op_sel_hi:[0,1,1]
	v_div_scale_f32 v5, s[48:49], v3, v3, v11
	v_rcp_f32_e32 v6, v5
	v_ashrrev_i32_e32 v1, 31, v0
	v_lshl_add_u64 v[0:1], v[0:1], 3, v[128:129]
	v_fma_f32 v8, -v5, v6, 1.0
	v_fmac_f32_e32 v6, v8, v6
	v_div_scale_f32 v8, vcc, v11, v3, v11
	v_mul_f32_e32 v12, v8, v6
	v_fma_f32 v13, -v5, v12, v8
	v_fmac_f32_e32 v12, v13, v6
	v_fma_f32 v5, -v5, v12, v8
	v_div_fmas_f32 v5, v5, v6, v12
	v_div_fixup_f32 v11, v5, v3, v11
	v_div_scale_f32 v5, s[48:49], v3, v3, v10
	v_rcp_f32_e32 v6, v5
	s_nop 0
	v_fma_f32 v8, -v5, v6, 1.0
	v_fmac_f32_e32 v6, v8, v6
	v_div_scale_f32 v8, vcc, v10, v3, v10
	v_mul_f32_e32 v12, v8, v6
	v_fma_f32 v13, -v5, v12, v8
	v_fmac_f32_e32 v12, v13, v6
	v_fma_f32 v5, -v5, v12, v8
	v_div_fmas_f32 v5, v5, v6, v12
	v_div_fixup_f32 v10, v5, v3, v10
	global_store_dwordx2 v[0:1], v[10:11], off
	v_cvt_f32_f16_sdwa v11, v7 dst_sel:DWORD dst_unused:UNUSED_PAD src0_sel:WORD_1
	v_cvt_f32_f16_e32 v10, v7
	v_pk_fma_f32 v[6:7], v[2:3], v[10:11], 0 op_sel_hi:[0,1,0]
	v_cvt_f32_f16_sdwa v11, v9 dst_sel:DWORD dst_unused:UNUSED_PAD src0_sel:WORD_1
	v_cvt_f32_f16_e32 v10, v9
	v_pk_fma_f32 v[4:5], v[4:5], v[10:11], v[6:7] op_sel_hi:[0,1,1]
	v_div_scale_f32 v2, s[48:49], v3, v3, v5
	v_rcp_f32_e32 v6, v2
	s_nop 0
	v_fma_f32 v7, -v2, v6, 1.0
	v_fmac_f32_e32 v6, v7, v6
	v_div_scale_f32 v7, vcc, v5, v3, v5
	v_mul_f32_e32 v8, v7, v6
	v_fma_f32 v9, -v2, v8, v7
	v_fmac_f32_e32 v8, v9, v6
	v_fma_f32 v2, -v2, v8, v7
	v_div_fmas_f32 v2, v2, v6, v8
	v_div_fixup_f32 v5, v2, v3, v5
	v_div_scale_f32 v2, s[48:49], v3, v3, v4
	v_rcp_f32_e32 v6, v2
	s_nop 0
	v_fma_f32 v7, -v2, v6, 1.0
	v_fmac_f32_e32 v6, v7, v6
	v_div_scale_f32 v7, vcc, v4, v3, v4
	v_mul_f32_e32 v8, v7, v6
	v_fma_f32 v9, -v2, v8, v7
	v_fmac_f32_e32 v8, v9, v6
	v_fma_f32 v2, -v2, v8, v7
	v_div_fmas_f32 v2, v2, v6, v8
	v_div_fixup_f32 v4, v2, v3, v4
	global_store_dwordx2 v[0:1], v[4:5], off offset:512
	v_mov_b32_e32 v1, 0
.LBB30_415:                             ;   in Loop: Header=BB30_14 Depth=1
	s_or_b64 exec, exec, s[46:47]
	s_movk_i32 s46, 0x47
	v_cmp_gt_i32_e32 vcc, s46, v1
	s_mov_b64 s[46:47], -1
	s_and_saveexec_b64 s[48:49], vcc
; %bb.416:                              ;   in Loop: Header=BB30_14 Depth=1
	v_cmp_eq_u32_e32 vcc, 0, v1
	s_orn2_b64 s[46:47], vcc, exec
; %bb.417:                              ;   in Loop: Header=BB30_14 Depth=1
	s_or_b64 exec, exec, s[48:49]
	s_and_b64 exec, exec, s[46:47]
	s_cbranch_execz .LBB30_12
; %bb.418:                              ;   in Loop: Header=BB30_14 Depth=1
	v_accvgpr_read_b32 v0, a36
	v_add_u32_e32 v0, v0, v102
	v_cmp_gt_i32_e32 vcc, s96, v0
	v_mov_b32_e32 v1, 0x47
	s_and_saveexec_b64 s[46:47], vcc
	s_cbranch_execz .LBB30_420
; %bb.419:                              ;   in Loop: Header=BB30_14 Depth=1
	v_accvgpr_read_b32 v1, a59
	ds_read2_b32 v[2:3], v1 offset0:128 offset1:129
	ds_read_b32 v4, v1 offset:8960
	v_accvgpr_read_b32 v1, a75
	ds_read2st64_b32 v[6:7], v1 offset1:1
	ds_read2st64_b32 v[8:9], v1 offset0:33 offset1:34
	v_readlane_b32 s48, v254, 59
	s_waitcnt lgkmcnt(1)
	v_cvt_f32_f16_sdwa v11, v6 dst_sel:DWORD dst_unused:UNUSED_PAD src0_sel:WORD_1
	v_cvt_f32_f16_e32 v10, v6
	s_waitcnt lgkmcnt(0)
	v_cvt_f32_f16_sdwa v13, v8 dst_sel:DWORD dst_unused:UNUSED_PAD src0_sel:WORD_1
	v_cvt_f32_f16_e32 v12, v8
	v_mad_u64_u32 v[0:1], s[48:49], s48, v0, v[52:53]
	v_pk_fma_f32 v[10:11], v[2:3], v[10:11], 0 op_sel_hi:[0,1,0]
	v_pk_fma_f32 v[10:11], v[4:5], v[12:13], v[10:11] op_sel_hi:[0,1,1]
	v_div_scale_f32 v5, s[48:49], v3, v3, v11
	v_rcp_f32_e32 v6, v5
	v_ashrrev_i32_e32 v1, 31, v0
	v_lshl_add_u64 v[0:1], v[0:1], 3, v[128:129]
	v_fma_f32 v8, -v5, v6, 1.0
	v_fmac_f32_e32 v6, v8, v6
	v_div_scale_f32 v8, vcc, v11, v3, v11
	v_mul_f32_e32 v12, v8, v6
	v_fma_f32 v13, -v5, v12, v8
	v_fmac_f32_e32 v12, v13, v6
	v_fma_f32 v5, -v5, v12, v8
	v_div_fmas_f32 v5, v5, v6, v12
	v_div_fixup_f32 v11, v5, v3, v11
	v_div_scale_f32 v5, s[48:49], v3, v3, v10
	v_rcp_f32_e32 v6, v5
	s_nop 0
	v_fma_f32 v8, -v5, v6, 1.0
	v_fmac_f32_e32 v6, v8, v6
	v_div_scale_f32 v8, vcc, v10, v3, v10
	v_mul_f32_e32 v12, v8, v6
	v_fma_f32 v13, -v5, v12, v8
	v_fmac_f32_e32 v12, v13, v6
	v_fma_f32 v5, -v5, v12, v8
	v_div_fmas_f32 v5, v5, v6, v12
	v_div_fixup_f32 v10, v5, v3, v10
	global_store_dwordx2 v[0:1], v[10:11], off
	v_cvt_f32_f16_sdwa v11, v7 dst_sel:DWORD dst_unused:UNUSED_PAD src0_sel:WORD_1
	v_cvt_f32_f16_e32 v10, v7
	v_pk_fma_f32 v[6:7], v[2:3], v[10:11], 0 op_sel_hi:[0,1,0]
	v_cvt_f32_f16_sdwa v11, v9 dst_sel:DWORD dst_unused:UNUSED_PAD src0_sel:WORD_1
	v_cvt_f32_f16_e32 v10, v9
	v_pk_fma_f32 v[4:5], v[4:5], v[10:11], v[6:7] op_sel_hi:[0,1,1]
	v_div_scale_f32 v2, s[48:49], v3, v3, v5
	v_rcp_f32_e32 v6, v2
	s_nop 0
	v_fma_f32 v7, -v2, v6, 1.0
	v_fmac_f32_e32 v6, v7, v6
	v_div_scale_f32 v7, vcc, v5, v3, v5
	v_mul_f32_e32 v8, v7, v6
	v_fma_f32 v9, -v2, v8, v7
	v_fmac_f32_e32 v8, v9, v6
	v_fma_f32 v2, -v2, v8, v7
	v_div_fmas_f32 v2, v2, v6, v8
	v_div_fixup_f32 v5, v2, v3, v5
	v_div_scale_f32 v2, s[48:49], v3, v3, v4
	v_rcp_f32_e32 v6, v2
	s_nop 0
	v_fma_f32 v7, -v2, v6, 1.0
	v_fmac_f32_e32 v6, v7, v6
	v_div_scale_f32 v7, vcc, v4, v3, v4
	v_mul_f32_e32 v8, v7, v6
	v_fma_f32 v9, -v2, v8, v7
	v_fmac_f32_e32 v8, v9, v6
	v_fma_f32 v2, -v2, v8, v7
	v_div_fmas_f32 v2, v2, v6, v8
	v_div_fixup_f32 v4, v2, v3, v4
	global_store_dwordx2 v[0:1], v[4:5], off offset:512
	v_mov_b32_e32 v1, 0
.LBB30_420:                             ;   in Loop: Header=BB30_14 Depth=1
	s_or_b64 exec, exec, s[46:47]
	s_movk_i32 s46, 0x47
	v_cmp_gt_i32_e32 vcc, s46, v1
	s_mov_b64 s[46:47], -1
	s_and_saveexec_b64 s[48:49], vcc
; %bb.421:                              ;   in Loop: Header=BB30_14 Depth=1
	v_cmp_eq_u32_e32 vcc, 0, v1
	s_orn2_b64 s[46:47], vcc, exec
; %bb.422:                              ;   in Loop: Header=BB30_14 Depth=1
	s_or_b64 exec, exec, s[48:49]
	s_and_b64 exec, exec, s[46:47]
	s_cbranch_execz .LBB30_12
; %bb.423:                              ;   in Loop: Header=BB30_14 Depth=1
	v_accvgpr_read_b32 v0, a37
	v_add_u32_e32 v0, v0, v102
	v_cmp_gt_i32_e32 vcc, s96, v0
	v_mov_b32_e32 v1, 0x47
	s_and_saveexec_b64 s[46:47], vcc
	s_cbranch_execz .LBB30_425
; %bb.424:                              ;   in Loop: Header=BB30_14 Depth=1
	v_accvgpr_read_b32 v1, a60
	ds_read2_b32 v[2:3], v1 offset0:128 offset1:129
	ds_read_b32 v4, v1 offset:8960
	v_accvgpr_read_b32 v1, a76
	ds_read2st64_b32 v[6:7], v1 offset1:1
	ds_read2st64_b32 v[8:9], v1 offset0:33 offset1:34
	v_readlane_b32 s48, v254, 59
	s_waitcnt lgkmcnt(1)
	v_cvt_f32_f16_sdwa v11, v6 dst_sel:DWORD dst_unused:UNUSED_PAD src0_sel:WORD_1
	v_cvt_f32_f16_e32 v10, v6
	s_waitcnt lgkmcnt(0)
	v_cvt_f32_f16_sdwa v13, v8 dst_sel:DWORD dst_unused:UNUSED_PAD src0_sel:WORD_1
	v_cvt_f32_f16_e32 v12, v8
	v_mad_u64_u32 v[0:1], s[48:49], s48, v0, v[52:53]
	v_pk_fma_f32 v[10:11], v[2:3], v[10:11], 0 op_sel_hi:[0,1,0]
	v_pk_fma_f32 v[10:11], v[4:5], v[12:13], v[10:11] op_sel_hi:[0,1,1]
	v_div_scale_f32 v5, s[48:49], v3, v3, v11
	v_rcp_f32_e32 v6, v5
	v_ashrrev_i32_e32 v1, 31, v0
	v_lshl_add_u64 v[0:1], v[0:1], 3, v[128:129]
	v_fma_f32 v8, -v5, v6, 1.0
	v_fmac_f32_e32 v6, v8, v6
	v_div_scale_f32 v8, vcc, v11, v3, v11
	v_mul_f32_e32 v12, v8, v6
	v_fma_f32 v13, -v5, v12, v8
	v_fmac_f32_e32 v12, v13, v6
	v_fma_f32 v5, -v5, v12, v8
	v_div_fmas_f32 v5, v5, v6, v12
	v_div_fixup_f32 v11, v5, v3, v11
	v_div_scale_f32 v5, s[48:49], v3, v3, v10
	v_rcp_f32_e32 v6, v5
	s_nop 0
	v_fma_f32 v8, -v5, v6, 1.0
	v_fmac_f32_e32 v6, v8, v6
	v_div_scale_f32 v8, vcc, v10, v3, v10
	v_mul_f32_e32 v12, v8, v6
	v_fma_f32 v13, -v5, v12, v8
	v_fmac_f32_e32 v12, v13, v6
	v_fma_f32 v5, -v5, v12, v8
	v_div_fmas_f32 v5, v5, v6, v12
	v_div_fixup_f32 v10, v5, v3, v10
	global_store_dwordx2 v[0:1], v[10:11], off
	v_cvt_f32_f16_sdwa v11, v7 dst_sel:DWORD dst_unused:UNUSED_PAD src0_sel:WORD_1
	v_cvt_f32_f16_e32 v10, v7
	v_pk_fma_f32 v[6:7], v[2:3], v[10:11], 0 op_sel_hi:[0,1,0]
	v_cvt_f32_f16_sdwa v11, v9 dst_sel:DWORD dst_unused:UNUSED_PAD src0_sel:WORD_1
	v_cvt_f32_f16_e32 v10, v9
	v_pk_fma_f32 v[4:5], v[4:5], v[10:11], v[6:7] op_sel_hi:[0,1,1]
	v_div_scale_f32 v2, s[48:49], v3, v3, v5
	v_rcp_f32_e32 v6, v2
	s_nop 0
	v_fma_f32 v7, -v2, v6, 1.0
	v_fmac_f32_e32 v6, v7, v6
	v_div_scale_f32 v7, vcc, v5, v3, v5
	v_mul_f32_e32 v8, v7, v6
	v_fma_f32 v9, -v2, v8, v7
	v_fmac_f32_e32 v8, v9, v6
	v_fma_f32 v2, -v2, v8, v7
	v_div_fmas_f32 v2, v2, v6, v8
	v_div_fixup_f32 v5, v2, v3, v5
	v_div_scale_f32 v2, s[48:49], v3, v3, v4
	v_rcp_f32_e32 v6, v2
	s_nop 0
	v_fma_f32 v7, -v2, v6, 1.0
	v_fmac_f32_e32 v6, v7, v6
	v_div_scale_f32 v7, vcc, v4, v3, v4
	v_mul_f32_e32 v8, v7, v6
	v_fma_f32 v9, -v2, v8, v7
	v_fmac_f32_e32 v8, v9, v6
	v_fma_f32 v2, -v2, v8, v7
	v_div_fmas_f32 v2, v2, v6, v8
	v_div_fixup_f32 v4, v2, v3, v4
	global_store_dwordx2 v[0:1], v[4:5], off offset:512
	v_mov_b32_e32 v1, 0
.LBB30_425:                             ;   in Loop: Header=BB30_14 Depth=1
	s_or_b64 exec, exec, s[46:47]
	s_movk_i32 s46, 0x47
	v_cmp_gt_i32_e32 vcc, s46, v1
	s_mov_b64 s[46:47], -1
	s_and_saveexec_b64 s[48:49], vcc
; %bb.426:                              ;   in Loop: Header=BB30_14 Depth=1
	v_cmp_eq_u32_e32 vcc, 0, v1
	s_orn2_b64 s[46:47], vcc, exec
; %bb.427:                              ;   in Loop: Header=BB30_14 Depth=1
	s_or_b64 exec, exec, s[48:49]
	s_and_b64 exec, exec, s[46:47]
	s_cbranch_execz .LBB30_12
; %bb.428:                              ;   in Loop: Header=BB30_14 Depth=1
	v_accvgpr_read_b32 v0, a38
	v_add_u32_e32 v0, v0, v102
	v_cmp_gt_i32_e32 vcc, s96, v0
	v_mov_b32_e32 v1, 0x47
	s_and_saveexec_b64 s[46:47], vcc
	s_cbranch_execz .LBB30_430
; %bb.429:                              ;   in Loop: Header=BB30_14 Depth=1
	v_accvgpr_read_b32 v1, a61
	ds_read2_b32 v[2:3], v1 offset0:128 offset1:129
	ds_read_b32 v4, v1 offset:8960
	v_accvgpr_read_b32 v1, a77
	ds_read2st64_b32 v[6:7], v1 offset1:1
	ds_read2st64_b32 v[8:9], v1 offset0:33 offset1:34
	v_readlane_b32 s48, v254, 59
	s_waitcnt lgkmcnt(1)
	v_cvt_f32_f16_sdwa v11, v6 dst_sel:DWORD dst_unused:UNUSED_PAD src0_sel:WORD_1
	v_cvt_f32_f16_e32 v10, v6
	s_waitcnt lgkmcnt(0)
	v_cvt_f32_f16_sdwa v13, v8 dst_sel:DWORD dst_unused:UNUSED_PAD src0_sel:WORD_1
	v_cvt_f32_f16_e32 v12, v8
	v_mad_u64_u32 v[0:1], s[48:49], s48, v0, v[52:53]
	v_pk_fma_f32 v[10:11], v[2:3], v[10:11], 0 op_sel_hi:[0,1,0]
	v_pk_fma_f32 v[10:11], v[4:5], v[12:13], v[10:11] op_sel_hi:[0,1,1]
	v_div_scale_f32 v5, s[48:49], v3, v3, v11
	v_rcp_f32_e32 v6, v5
	v_ashrrev_i32_e32 v1, 31, v0
	v_lshl_add_u64 v[0:1], v[0:1], 3, v[128:129]
	v_fma_f32 v8, -v5, v6, 1.0
	v_fmac_f32_e32 v6, v8, v6
	v_div_scale_f32 v8, vcc, v11, v3, v11
	v_mul_f32_e32 v12, v8, v6
	v_fma_f32 v13, -v5, v12, v8
	v_fmac_f32_e32 v12, v13, v6
	v_fma_f32 v5, -v5, v12, v8
	v_div_fmas_f32 v5, v5, v6, v12
	v_div_fixup_f32 v11, v5, v3, v11
	v_div_scale_f32 v5, s[48:49], v3, v3, v10
	v_rcp_f32_e32 v6, v5
	s_nop 0
	v_fma_f32 v8, -v5, v6, 1.0
	v_fmac_f32_e32 v6, v8, v6
	v_div_scale_f32 v8, vcc, v10, v3, v10
	v_mul_f32_e32 v12, v8, v6
	v_fma_f32 v13, -v5, v12, v8
	v_fmac_f32_e32 v12, v13, v6
	v_fma_f32 v5, -v5, v12, v8
	v_div_fmas_f32 v5, v5, v6, v12
	v_div_fixup_f32 v10, v5, v3, v10
	global_store_dwordx2 v[0:1], v[10:11], off
	v_cvt_f32_f16_sdwa v11, v7 dst_sel:DWORD dst_unused:UNUSED_PAD src0_sel:WORD_1
	v_cvt_f32_f16_e32 v10, v7
	v_pk_fma_f32 v[6:7], v[2:3], v[10:11], 0 op_sel_hi:[0,1,0]
	v_cvt_f32_f16_sdwa v11, v9 dst_sel:DWORD dst_unused:UNUSED_PAD src0_sel:WORD_1
	v_cvt_f32_f16_e32 v10, v9
	v_pk_fma_f32 v[4:5], v[4:5], v[10:11], v[6:7] op_sel_hi:[0,1,1]
	v_div_scale_f32 v2, s[48:49], v3, v3, v5
	v_rcp_f32_e32 v6, v2
	s_nop 0
	v_fma_f32 v7, -v2, v6, 1.0
	v_fmac_f32_e32 v6, v7, v6
	v_div_scale_f32 v7, vcc, v5, v3, v5
	v_mul_f32_e32 v8, v7, v6
	v_fma_f32 v9, -v2, v8, v7
	v_fmac_f32_e32 v8, v9, v6
	v_fma_f32 v2, -v2, v8, v7
	v_div_fmas_f32 v2, v2, v6, v8
	v_div_fixup_f32 v5, v2, v3, v5
	v_div_scale_f32 v2, s[48:49], v3, v3, v4
	v_rcp_f32_e32 v6, v2
	s_nop 0
	v_fma_f32 v7, -v2, v6, 1.0
	v_fmac_f32_e32 v6, v7, v6
	v_div_scale_f32 v7, vcc, v4, v3, v4
	v_mul_f32_e32 v8, v7, v6
	v_fma_f32 v9, -v2, v8, v7
	v_fmac_f32_e32 v8, v9, v6
	v_fma_f32 v2, -v2, v8, v7
	v_div_fmas_f32 v2, v2, v6, v8
	v_div_fixup_f32 v4, v2, v3, v4
	global_store_dwordx2 v[0:1], v[4:5], off offset:512
	v_mov_b32_e32 v1, 0
.LBB30_430:                             ;   in Loop: Header=BB30_14 Depth=1
	s_or_b64 exec, exec, s[46:47]
	s_movk_i32 s46, 0x47
	v_cmp_gt_i32_e32 vcc, s46, v1
	s_mov_b64 s[46:47], -1
	s_and_saveexec_b64 s[48:49], vcc
; %bb.431:                              ;   in Loop: Header=BB30_14 Depth=1
	v_cmp_eq_u32_e32 vcc, 0, v1
	s_orn2_b64 s[46:47], vcc, exec
; %bb.432:                              ;   in Loop: Header=BB30_14 Depth=1
	s_or_b64 exec, exec, s[48:49]
	s_and_b64 exec, exec, s[46:47]
	s_cbranch_execz .LBB30_12
; %bb.433:                              ;   in Loop: Header=BB30_14 Depth=1
	v_accvgpr_read_b32 v0, a39
	v_add_u32_e32 v0, v0, v102
	v_cmp_gt_i32_e32 vcc, s96, v0
	v_mov_b32_e32 v1, 0x47
	s_and_saveexec_b64 s[46:47], vcc
	s_cbranch_execz .LBB30_435
; %bb.434:                              ;   in Loop: Header=BB30_14 Depth=1
	v_accvgpr_read_b32 v1, a62
	ds_read2_b32 v[2:3], v1 offset0:128 offset1:129
	ds_read_b32 v4, v1 offset:8960
	v_accvgpr_read_b32 v1, a78
	ds_read2st64_b32 v[6:7], v1 offset1:1
	ds_read2st64_b32 v[8:9], v1 offset0:33 offset1:34
	v_readlane_b32 s48, v254, 59
	s_waitcnt lgkmcnt(1)
	v_cvt_f32_f16_sdwa v11, v6 dst_sel:DWORD dst_unused:UNUSED_PAD src0_sel:WORD_1
	v_cvt_f32_f16_e32 v10, v6
	s_waitcnt lgkmcnt(0)
	v_cvt_f32_f16_sdwa v13, v8 dst_sel:DWORD dst_unused:UNUSED_PAD src0_sel:WORD_1
	v_cvt_f32_f16_e32 v12, v8
	v_mad_u64_u32 v[0:1], s[48:49], s48, v0, v[52:53]
	v_pk_fma_f32 v[10:11], v[2:3], v[10:11], 0 op_sel_hi:[0,1,0]
	v_pk_fma_f32 v[10:11], v[4:5], v[12:13], v[10:11] op_sel_hi:[0,1,1]
	v_div_scale_f32 v5, s[48:49], v3, v3, v11
	v_rcp_f32_e32 v6, v5
	v_ashrrev_i32_e32 v1, 31, v0
	v_lshl_add_u64 v[0:1], v[0:1], 3, v[128:129]
	v_fma_f32 v8, -v5, v6, 1.0
	v_fmac_f32_e32 v6, v8, v6
	v_div_scale_f32 v8, vcc, v11, v3, v11
	v_mul_f32_e32 v12, v8, v6
	v_fma_f32 v13, -v5, v12, v8
	v_fmac_f32_e32 v12, v13, v6
	v_fma_f32 v5, -v5, v12, v8
	v_div_fmas_f32 v5, v5, v6, v12
	v_div_fixup_f32 v11, v5, v3, v11
	v_div_scale_f32 v5, s[48:49], v3, v3, v10
	v_rcp_f32_e32 v6, v5
	s_nop 0
	v_fma_f32 v8, -v5, v6, 1.0
	v_fmac_f32_e32 v6, v8, v6
	v_div_scale_f32 v8, vcc, v10, v3, v10
	v_mul_f32_e32 v12, v8, v6
	v_fma_f32 v13, -v5, v12, v8
	v_fmac_f32_e32 v12, v13, v6
	v_fma_f32 v5, -v5, v12, v8
	v_div_fmas_f32 v5, v5, v6, v12
	v_div_fixup_f32 v10, v5, v3, v10
	global_store_dwordx2 v[0:1], v[10:11], off
	v_cvt_f32_f16_sdwa v11, v7 dst_sel:DWORD dst_unused:UNUSED_PAD src0_sel:WORD_1
	v_cvt_f32_f16_e32 v10, v7
	v_pk_fma_f32 v[6:7], v[2:3], v[10:11], 0 op_sel_hi:[0,1,0]
	v_cvt_f32_f16_sdwa v11, v9 dst_sel:DWORD dst_unused:UNUSED_PAD src0_sel:WORD_1
	v_cvt_f32_f16_e32 v10, v9
	v_pk_fma_f32 v[4:5], v[4:5], v[10:11], v[6:7] op_sel_hi:[0,1,1]
	v_div_scale_f32 v2, s[48:49], v3, v3, v5
	v_rcp_f32_e32 v6, v2
	s_nop 0
	v_fma_f32 v7, -v2, v6, 1.0
	v_fmac_f32_e32 v6, v7, v6
	v_div_scale_f32 v7, vcc, v5, v3, v5
	v_mul_f32_e32 v8, v7, v6
	v_fma_f32 v9, -v2, v8, v7
	v_fmac_f32_e32 v8, v9, v6
	v_fma_f32 v2, -v2, v8, v7
	v_div_fmas_f32 v2, v2, v6, v8
	v_div_fixup_f32 v5, v2, v3, v5
	v_div_scale_f32 v2, s[48:49], v3, v3, v4
	v_rcp_f32_e32 v6, v2
	s_nop 0
	v_fma_f32 v7, -v2, v6, 1.0
	v_fmac_f32_e32 v6, v7, v6
	v_div_scale_f32 v7, vcc, v4, v3, v4
	v_mul_f32_e32 v8, v7, v6
	v_fma_f32 v9, -v2, v8, v7
	v_fmac_f32_e32 v8, v9, v6
	v_fma_f32 v2, -v2, v8, v7
	v_div_fmas_f32 v2, v2, v6, v8
	v_div_fixup_f32 v4, v2, v3, v4
	global_store_dwordx2 v[0:1], v[4:5], off offset:512
	v_mov_b32_e32 v1, 0
.LBB30_435:                             ;   in Loop: Header=BB30_14 Depth=1
	s_or_b64 exec, exec, s[46:47]
	s_movk_i32 s46, 0x47
	v_cmp_gt_i32_e32 vcc, s46, v1
	s_mov_b64 s[46:47], -1
	s_and_saveexec_b64 s[48:49], vcc
; %bb.436:                              ;   in Loop: Header=BB30_14 Depth=1
	v_cmp_eq_u32_e32 vcc, 0, v1
	s_orn2_b64 s[46:47], vcc, exec
; %bb.437:                              ;   in Loop: Header=BB30_14 Depth=1
	s_or_b64 exec, exec, s[48:49]
	s_and_b64 exec, exec, s[46:47]
	s_cbranch_execz .LBB30_12
; %bb.438:                              ;   in Loop: Header=BB30_14 Depth=1
	v_accvgpr_read_b32 v0, a40
	v_add_u32_e32 v0, v0, v102
	v_cmp_gt_i32_e32 vcc, s96, v0
	v_mov_b32_e32 v1, 0x47
	s_and_saveexec_b64 s[46:47], vcc
	s_cbranch_execz .LBB30_440
; %bb.439:                              ;   in Loop: Header=BB30_14 Depth=1
	v_accvgpr_read_b32 v1, a63
	ds_read2_b32 v[2:3], v1 offset0:128 offset1:129
	ds_read_b32 v4, v1 offset:8960
	v_accvgpr_read_b32 v1, a79
	ds_read2st64_b32 v[6:7], v1 offset1:1
	ds_read2st64_b32 v[8:9], v1 offset0:33 offset1:34
	v_readlane_b32 s48, v254, 59
	s_waitcnt lgkmcnt(1)
	v_cvt_f32_f16_sdwa v11, v6 dst_sel:DWORD dst_unused:UNUSED_PAD src0_sel:WORD_1
	v_cvt_f32_f16_e32 v10, v6
	s_waitcnt lgkmcnt(0)
	v_cvt_f32_f16_sdwa v13, v8 dst_sel:DWORD dst_unused:UNUSED_PAD src0_sel:WORD_1
	v_cvt_f32_f16_e32 v12, v8
	v_mad_u64_u32 v[0:1], s[48:49], s48, v0, v[52:53]
	v_pk_fma_f32 v[10:11], v[2:3], v[10:11], 0 op_sel_hi:[0,1,0]
	v_pk_fma_f32 v[10:11], v[4:5], v[12:13], v[10:11] op_sel_hi:[0,1,1]
	v_div_scale_f32 v5, s[48:49], v3, v3, v11
	v_rcp_f32_e32 v6, v5
	v_ashrrev_i32_e32 v1, 31, v0
	v_lshl_add_u64 v[0:1], v[0:1], 3, v[128:129]
	v_fma_f32 v8, -v5, v6, 1.0
	v_fmac_f32_e32 v6, v8, v6
	v_div_scale_f32 v8, vcc, v11, v3, v11
	v_mul_f32_e32 v12, v8, v6
	v_fma_f32 v13, -v5, v12, v8
	v_fmac_f32_e32 v12, v13, v6
	v_fma_f32 v5, -v5, v12, v8
	v_div_fmas_f32 v5, v5, v6, v12
	v_div_fixup_f32 v11, v5, v3, v11
	v_div_scale_f32 v5, s[48:49], v3, v3, v10
	v_rcp_f32_e32 v6, v5
	s_nop 0
	v_fma_f32 v8, -v5, v6, 1.0
	v_fmac_f32_e32 v6, v8, v6
	v_div_scale_f32 v8, vcc, v10, v3, v10
	v_mul_f32_e32 v12, v8, v6
	v_fma_f32 v13, -v5, v12, v8
	v_fmac_f32_e32 v12, v13, v6
	v_fma_f32 v5, -v5, v12, v8
	v_div_fmas_f32 v5, v5, v6, v12
	v_div_fixup_f32 v10, v5, v3, v10
	global_store_dwordx2 v[0:1], v[10:11], off
	v_cvt_f32_f16_sdwa v11, v7 dst_sel:DWORD dst_unused:UNUSED_PAD src0_sel:WORD_1
	v_cvt_f32_f16_e32 v10, v7
	v_pk_fma_f32 v[6:7], v[2:3], v[10:11], 0 op_sel_hi:[0,1,0]
	v_cvt_f32_f16_sdwa v11, v9 dst_sel:DWORD dst_unused:UNUSED_PAD src0_sel:WORD_1
	v_cvt_f32_f16_e32 v10, v9
	v_pk_fma_f32 v[4:5], v[4:5], v[10:11], v[6:7] op_sel_hi:[0,1,1]
	v_div_scale_f32 v2, s[48:49], v3, v3, v5
	v_rcp_f32_e32 v6, v2
	s_nop 0
	v_fma_f32 v7, -v2, v6, 1.0
	v_fmac_f32_e32 v6, v7, v6
	v_div_scale_f32 v7, vcc, v5, v3, v5
	v_mul_f32_e32 v8, v7, v6
	v_fma_f32 v9, -v2, v8, v7
	v_fmac_f32_e32 v8, v9, v6
	v_fma_f32 v2, -v2, v8, v7
	v_div_fmas_f32 v2, v2, v6, v8
	v_div_fixup_f32 v5, v2, v3, v5
	v_div_scale_f32 v2, s[48:49], v3, v3, v4
	v_rcp_f32_e32 v6, v2
	s_nop 0
	v_fma_f32 v7, -v2, v6, 1.0
	v_fmac_f32_e32 v6, v7, v6
	v_div_scale_f32 v7, vcc, v4, v3, v4
	v_mul_f32_e32 v8, v7, v6
	v_fma_f32 v9, -v2, v8, v7
	v_fmac_f32_e32 v8, v9, v6
	v_fma_f32 v2, -v2, v8, v7
	v_div_fmas_f32 v2, v2, v6, v8
	v_div_fixup_f32 v4, v2, v3, v4
	global_store_dwordx2 v[0:1], v[4:5], off offset:512
	v_mov_b32_e32 v1, 0
.LBB30_440:                             ;   in Loop: Header=BB30_14 Depth=1
	s_or_b64 exec, exec, s[46:47]
	s_movk_i32 s46, 0x47
	v_cmp_gt_i32_e32 vcc, s46, v1
	s_mov_b64 s[46:47], -1
	s_and_saveexec_b64 s[48:49], vcc
; %bb.441:                              ;   in Loop: Header=BB30_14 Depth=1
	v_cmp_eq_u32_e32 vcc, 0, v1
	s_orn2_b64 s[46:47], vcc, exec
; %bb.442:                              ;   in Loop: Header=BB30_14 Depth=1
	s_or_b64 exec, exec, s[48:49]
	s_and_b64 exec, exec, s[46:47]
	s_cbranch_execz .LBB30_12
; %bb.443:                              ;   in Loop: Header=BB30_14 Depth=1
	v_accvgpr_read_b32 v0, a41
	v_add_u32_e32 v0, v0, v102
	v_cmp_gt_i32_e32 vcc, s96, v0
	v_mov_b32_e32 v1, 0x47
	s_and_saveexec_b64 s[46:47], vcc
	s_cbranch_execz .LBB30_445
; %bb.444:                              ;   in Loop: Header=BB30_14 Depth=1
	v_accvgpr_read_b32 v1, a64
	ds_read2_b32 v[2:3], v1 offset0:128 offset1:129
	ds_read_b32 v4, v1 offset:8960
	v_accvgpr_read_b32 v1, a80
	ds_read2st64_b32 v[6:7], v1 offset1:1
	ds_read2st64_b32 v[8:9], v1 offset0:33 offset1:34
	v_readlane_b32 s48, v254, 59
	s_waitcnt lgkmcnt(1)
	v_cvt_f32_f16_sdwa v11, v6 dst_sel:DWORD dst_unused:UNUSED_PAD src0_sel:WORD_1
	v_cvt_f32_f16_e32 v10, v6
	s_waitcnt lgkmcnt(0)
	v_cvt_f32_f16_sdwa v13, v8 dst_sel:DWORD dst_unused:UNUSED_PAD src0_sel:WORD_1
	v_cvt_f32_f16_e32 v12, v8
	v_mad_u64_u32 v[0:1], s[48:49], s48, v0, v[52:53]
	v_pk_fma_f32 v[10:11], v[2:3], v[10:11], 0 op_sel_hi:[0,1,0]
	v_pk_fma_f32 v[10:11], v[4:5], v[12:13], v[10:11] op_sel_hi:[0,1,1]
	v_div_scale_f32 v5, s[48:49], v3, v3, v11
	v_rcp_f32_e32 v6, v5
	v_ashrrev_i32_e32 v1, 31, v0
	v_lshl_add_u64 v[0:1], v[0:1], 3, v[128:129]
	v_fma_f32 v8, -v5, v6, 1.0
	v_fmac_f32_e32 v6, v8, v6
	v_div_scale_f32 v8, vcc, v11, v3, v11
	v_mul_f32_e32 v12, v8, v6
	v_fma_f32 v13, -v5, v12, v8
	v_fmac_f32_e32 v12, v13, v6
	v_fma_f32 v5, -v5, v12, v8
	v_div_fmas_f32 v5, v5, v6, v12
	v_div_fixup_f32 v11, v5, v3, v11
	v_div_scale_f32 v5, s[48:49], v3, v3, v10
	v_rcp_f32_e32 v6, v5
	s_nop 0
	v_fma_f32 v8, -v5, v6, 1.0
	v_fmac_f32_e32 v6, v8, v6
	v_div_scale_f32 v8, vcc, v10, v3, v10
	v_mul_f32_e32 v12, v8, v6
	v_fma_f32 v13, -v5, v12, v8
	v_fmac_f32_e32 v12, v13, v6
	v_fma_f32 v5, -v5, v12, v8
	v_div_fmas_f32 v5, v5, v6, v12
	v_div_fixup_f32 v10, v5, v3, v10
	global_store_dwordx2 v[0:1], v[10:11], off
	v_cvt_f32_f16_sdwa v11, v7 dst_sel:DWORD dst_unused:UNUSED_PAD src0_sel:WORD_1
	v_cvt_f32_f16_e32 v10, v7
	v_pk_fma_f32 v[6:7], v[2:3], v[10:11], 0 op_sel_hi:[0,1,0]
	v_cvt_f32_f16_sdwa v11, v9 dst_sel:DWORD dst_unused:UNUSED_PAD src0_sel:WORD_1
	v_cvt_f32_f16_e32 v10, v9
	v_pk_fma_f32 v[4:5], v[4:5], v[10:11], v[6:7] op_sel_hi:[0,1,1]
	v_div_scale_f32 v2, s[48:49], v3, v3, v5
	v_rcp_f32_e32 v6, v2
	s_nop 0
	v_fma_f32 v7, -v2, v6, 1.0
	v_fmac_f32_e32 v6, v7, v6
	v_div_scale_f32 v7, vcc, v5, v3, v5
	v_mul_f32_e32 v8, v7, v6
	v_fma_f32 v9, -v2, v8, v7
	v_fmac_f32_e32 v8, v9, v6
	v_fma_f32 v2, -v2, v8, v7
	v_div_fmas_f32 v2, v2, v6, v8
	v_div_fixup_f32 v5, v2, v3, v5
	v_div_scale_f32 v2, s[48:49], v3, v3, v4
	v_rcp_f32_e32 v6, v2
	s_nop 0
	v_fma_f32 v7, -v2, v6, 1.0
	v_fmac_f32_e32 v6, v7, v6
	v_div_scale_f32 v7, vcc, v4, v3, v4
	v_mul_f32_e32 v8, v7, v6
	v_fma_f32 v9, -v2, v8, v7
	v_fmac_f32_e32 v8, v9, v6
	v_fma_f32 v2, -v2, v8, v7
	v_div_fmas_f32 v2, v2, v6, v8
	v_div_fixup_f32 v4, v2, v3, v4
	global_store_dwordx2 v[0:1], v[4:5], off offset:512
	v_mov_b32_e32 v1, 0
.LBB30_445:                             ;   in Loop: Header=BB30_14 Depth=1
	s_or_b64 exec, exec, s[46:47]
	s_movk_i32 s46, 0x47
	v_cmp_gt_i32_e32 vcc, s46, v1
	s_mov_b64 s[46:47], -1
	s_and_saveexec_b64 s[48:49], vcc
; %bb.446:                              ;   in Loop: Header=BB30_14 Depth=1
	v_cmp_eq_u32_e32 vcc, 0, v1
	s_orn2_b64 s[46:47], vcc, exec
; %bb.447:                              ;   in Loop: Header=BB30_14 Depth=1
	s_or_b64 exec, exec, s[48:49]
	s_and_b64 exec, exec, s[46:47]
	s_cbranch_execz .LBB30_12
; %bb.448:                              ;   in Loop: Header=BB30_14 Depth=1
	v_accvgpr_read_b32 v0, a42
	v_add_u32_e32 v0, v0, v102
	v_cmp_gt_i32_e32 vcc, s96, v0
	s_and_b64 exec, exec, vcc
	s_cbranch_execz .LBB30_12
; %bb.449:                              ;   in Loop: Header=BB30_14 Depth=1
	v_accvgpr_read_b32 v1, a65
	ds_read2_b32 v[2:3], v1 offset0:128 offset1:129
	ds_read_b32 v4, v1 offset:8960
	v_accvgpr_read_b32 v1, a81
	ds_read2st64_b32 v[6:7], v1 offset1:1
	ds_read2st64_b32 v[8:9], v1 offset0:33 offset1:34
	v_readlane_b32 s46, v254, 59
	s_waitcnt lgkmcnt(1)
	v_cvt_f32_f16_sdwa v11, v6 dst_sel:DWORD dst_unused:UNUSED_PAD src0_sel:WORD_1
	v_cvt_f32_f16_e32 v10, v6
	s_waitcnt lgkmcnt(0)
	v_cvt_f32_f16_sdwa v13, v8 dst_sel:DWORD dst_unused:UNUSED_PAD src0_sel:WORD_1
	v_cvt_f32_f16_e32 v12, v8
	v_mad_u64_u32 v[0:1], s[46:47], s46, v0, v[52:53]
	v_pk_fma_f32 v[10:11], v[2:3], v[10:11], 0 op_sel_hi:[0,1,0]
	v_pk_fma_f32 v[10:11], v[4:5], v[12:13], v[10:11] op_sel_hi:[0,1,1]
	v_div_scale_f32 v5, s[46:47], v3, v3, v11
	v_rcp_f32_e32 v6, v5
	v_ashrrev_i32_e32 v1, 31, v0
	v_lshl_add_u64 v[0:1], v[0:1], 3, v[128:129]
	v_fma_f32 v8, -v5, v6, 1.0
	v_fmac_f32_e32 v6, v8, v6
	v_div_scale_f32 v8, vcc, v11, v3, v11
	v_mul_f32_e32 v12, v8, v6
	v_fma_f32 v13, -v5, v12, v8
	v_fmac_f32_e32 v12, v13, v6
	v_fma_f32 v5, -v5, v12, v8
	v_div_fmas_f32 v5, v5, v6, v12
	v_div_fixup_f32 v11, v5, v3, v11
	v_div_scale_f32 v5, s[46:47], v3, v3, v10
	v_rcp_f32_e32 v6, v5
	s_nop 0
	v_fma_f32 v8, -v5, v6, 1.0
	v_fmac_f32_e32 v6, v8, v6
	v_div_scale_f32 v8, vcc, v10, v3, v10
	v_mul_f32_e32 v12, v8, v6
	v_fma_f32 v13, -v5, v12, v8
	v_fmac_f32_e32 v12, v13, v6
	v_fma_f32 v5, -v5, v12, v8
	v_div_fmas_f32 v5, v5, v6, v12
	v_div_fixup_f32 v10, v5, v3, v10
	global_store_dwordx2 v[0:1], v[10:11], off
	v_cvt_f32_f16_sdwa v11, v7 dst_sel:DWORD dst_unused:UNUSED_PAD src0_sel:WORD_1
	v_cvt_f32_f16_e32 v10, v7
	v_pk_fma_f32 v[6:7], v[2:3], v[10:11], 0 op_sel_hi:[0,1,0]
	v_cvt_f32_f16_sdwa v11, v9 dst_sel:DWORD dst_unused:UNUSED_PAD src0_sel:WORD_1
	v_cvt_f32_f16_e32 v10, v9
	v_pk_fma_f32 v[4:5], v[4:5], v[10:11], v[6:7] op_sel_hi:[0,1,1]
	v_div_scale_f32 v2, s[46:47], v3, v3, v5
	v_rcp_f32_e32 v6, v2
	s_nop 0
	v_fma_f32 v7, -v2, v6, 1.0
	v_fmac_f32_e32 v6, v7, v6
	v_div_scale_f32 v7, vcc, v5, v3, v5
	v_mul_f32_e32 v8, v7, v6
	v_fma_f32 v9, -v2, v8, v7
	v_fmac_f32_e32 v8, v9, v6
	v_fma_f32 v2, -v2, v8, v7
	v_div_fmas_f32 v2, v2, v6, v8
	v_div_fixup_f32 v5, v2, v3, v5
	v_div_scale_f32 v2, s[46:47], v3, v3, v4
	v_rcp_f32_e32 v6, v2
	s_nop 0
	v_fma_f32 v7, -v2, v6, 1.0
	v_fmac_f32_e32 v6, v7, v6
	v_div_scale_f32 v7, vcc, v4, v3, v4
	v_mul_f32_e32 v8, v7, v6
	v_fma_f32 v9, -v2, v8, v7
	v_fmac_f32_e32 v8, v9, v6
	v_fma_f32 v2, -v2, v8, v7
	v_div_fmas_f32 v2, v2, v6, v8
	v_div_fixup_f32 v4, v2, v3, v4
	global_store_dwordx2 v[0:1], v[4:5], off offset:512
	s_branch .LBB30_12
.LBB30_450:                             ;   in Loop: Header=BB30_14 Depth=1
                                        ; implicit-def: $vgpr2_vgpr3_vgpr4_vgpr5
                                        ; implicit-def: $vgpr10_vgpr11_vgpr12_vgpr13
	s_branch .LBB30_146
.LBB30_451:                             ;   in Loop: Header=BB30_14 Depth=1
                                        ; implicit-def: $vgpr2_vgpr3_vgpr4_vgpr5
                                        ; implicit-def: $vgpr10_vgpr11_vgpr12_vgpr13
	s_branch .LBB30_361
.LBB30_452:
	v_readlane_b32 s16, v254, 21
	v_readlane_b32 s52, v254, 43
	;; [unrolled: 1-line block ×17, first 2 shown]
	v_accvgpr_read_b32 v216, a16
	v_accvgpr_read_b32 v217, a17
	;; [unrolled: 1-line block ×4, first 2 shown]
	v_readlane_b32 s24, v254, 29
	v_readlane_b32 s25, v254, 30
	v_readlane_b32 s28, v254, 33
	v_readlane_b32 s29, v254, 34
	v_readlane_b32 s30, v254, 35
	v_readlane_b32 s31, v254, 36
	v_readlane_b32 s13, v254, 57
	s_andn2_b64 vcc, exec, s[44:45]
	s_cbranch_vccnz .LBB30_10
.LBB30_453:
	v_readlane_b32 s9, v254, 6
	s_abs_i32 s0, s9
	v_cvt_f32_u32_e32 v0, s0
	s_sub_i32 s6, 0, s0
	s_abs_i32 s5, s4
	s_xor_b32 s1, s4, s9
	v_rcp_iflag_f32_e32 v0, v0
	s_ashr_i32 s1, s1, 31
	v_readlane_b32 s10, v254, 5
	v_readlane_b32 s11, v254, 2
	v_mul_f32_e32 v0, 0x4f7ffffe, v0
	v_cvt_u32_f32_e32 v0, v0
	s_mov_b64 s[38:39], 0
	v_readfirstlane_b32 s7, v0
	s_mul_i32 s6, s6, s7
	s_mul_hi_u32 s6, s7, s6
	s_add_i32 s7, s7, s6
	s_mul_hi_u32 s6, s5, s7
	s_mul_i32 s7, s6, s0
	s_sub_i32 s5, s5, s7
	s_add_i32 s8, s6, 1
	s_sub_i32 s7, s5, s0
	s_cmp_ge_u32 s5, s0
	s_cselect_b32 s6, s8, s6
	s_cselect_b32 s5, s7, s5
	s_add_i32 s7, s6, 1
	s_cmp_ge_u32 s5, s0
	s_cselect_b32 s0, s7, s6
	s_abs_i32 s5, s10
	v_cvt_f32_u32_e32 v0, s5
	s_xor_b32 s0, s0, s1
	s_sub_i32 s7, 0, s5
	s_sub_i32 s6, s0, s1
	v_rcp_iflag_f32_e32 v0, v0
	s_mul_i32 s0, s6, s9
	s_sub_i32 s0, s4, s0
	s_abs_i32 s4, s0
	v_mul_f32_e32 v0, 0x4f7ffffe, v0
	v_cvt_u32_f32_e32 v0, v0
	s_xor_b32 s1, s0, s10
	s_ashr_i32 s1, s1, 31
	v_readfirstlane_b32 s8, v0
	s_mul_i32 s7, s7, s8
	s_mul_hi_u32 s7, s8, s7
	s_add_i32 s8, s8, s7
	s_mul_hi_u32 s7, s4, s8
	s_mul_i32 s8, s7, s5
	s_sub_i32 s4, s4, s8
	s_add_i32 s9, s7, 1
	s_sub_i32 s8, s4, s5
	s_cmp_ge_u32 s4, s5
	s_cselect_b32 s7, s9, s7
	s_cselect_b32 s4, s8, s4
	s_add_i32 s8, s7, 1
	s_cmp_ge_u32 s4, s5
	s_cselect_b32 s4, s8, s7
	s_abs_i32 s5, s11
	v_cvt_f32_u32_e32 v0, s5
	s_xor_b32 s4, s4, s1
	s_sub_i32 s8, 0, s5
	s_sub_i32 s7, s4, s1
	v_rcp_iflag_f32_e32 v0, v0
	s_mul_i32 s1, s7, s10
	s_sub_i32 s1, s0, s1
	s_abs_i32 s4, s1
	v_mul_f32_e32 v0, 0x4f7ffffe, v0
	v_cvt_u32_f32_e32 v0, v0
	s_xor_b32 s0, s1, s11
	s_ashr_i32 s0, s0, 31
	v_readfirstlane_b32 s9, v0
	s_mul_i32 s8, s8, s9
	s_mul_hi_u32 s8, s9, s8
	s_add_i32 s9, s9, s8
	s_mul_hi_u32 s8, s4, s9
	s_mul_i32 s9, s8, s5
	s_sub_i32 s4, s4, s9
	s_add_i32 s10, s8, 1
	s_sub_i32 s9, s4, s5
	s_cmp_ge_u32 s4, s5
	s_cselect_b32 s8, s10, s8
	s_cselect_b32 s4, s9, s4
	s_add_i32 s9, s8, 1
	s_cmp_ge_u32 s4, s5
	s_cselect_b32 s4, s9, s8
	s_xor_b32 s4, s4, s0
	s_sub_i32 s0, s4, s0
	s_mul_i32 s4, s0, s11
	s_sub_i32 s1, s1, s4
	s_abs_i32 s10, s1
	v_readlane_b32 s4, v254, 20
	s_ashr_i32 s8, s6, 31
	s_mul_hi_u32 s9, s10, s4
	s_cmp_eq_u64 s[22:23], 0
	s_cbranch_scc1 .LBB30_455
; %bb.454:
	s_abs_i32 s4, s12
	v_cvt_f32_u32_e32 v0, s4
	s_sub_i32 s11, 0, s4
	s_abs_i32 s5, s6
	v_readlane_b32 s14, v254, 11
	v_rcp_iflag_f32_e32 v0, v0
	v_readlane_b32 s15, v254, 12
	v_mul_f32_e32 v0, 0x4f7ffffe, v0
	v_cvt_u32_f32_e32 v0, v0
	s_nop 0
	v_readfirstlane_b32 s12, v0
	s_mul_i32 s11, s11, s12
	s_mul_hi_u32 s11, s12, s11
	s_add_i32 s12, s12, s11
	s_mul_hi_u32 s11, s5, s12
	s_mul_i32 s11, s11, s4
	s_sub_i32 s5, s5, s11
	s_sub_i32 s11, s5, s4
	s_cmp_ge_u32 s5, s4
	s_cselect_b32 s5, s11, s5
	s_sub_i32 s11, s5, s4
	s_cmp_ge_u32 s5, s4
	s_cselect_b32 s4, s11, s5
	s_xor_b32 s4, s4, s8
	s_sub_i32 s4, s4, s8
	s_ashr_i32 s5, s4, 31
	s_mul_hi_u32 s11, s14, s4
	s_mul_i32 s5, s14, s5
	s_mul_i32 s12, s15, s4
	s_add_i32 s5, s11, s5
	s_add_i32 s5, s5, s12
	s_mul_i32 s4, s14, s4
	s_add_u32 s38, s22, s4
	s_addc_u32 s39, s23, s5
.LBB30_455:
	s_ashr_i32 s12, s1, 31
	v_readlane_b32 s1, v254, 1
	s_mul_i32 s11, s7, s1
	s_add_i32 s11, s11, s0
	v_cmp_le_f32_e64 s[0:1], s53, 0
	s_and_b64 vcc, exec, s[0:1]
	v_mov_b32_e32 v52, 1.0
	s_cbranch_vccnz .LBB30_457
; %bb.456:
	v_mov_b32_e32 v0, s2
	v_sub_co_u32_e32 v0, vcc, s11, v0
	v_mov_b32_e32 v1, s55
	v_mov_b32_e32 v2, s54
	s_add_i32 s0, s11, 1
	v_lshlrev_b32_e32 v0, 1, v0
	v_cndmask_b32_e32 v1, v1, v2, vcc
	v_or_b32_e32 v0, 1, v0
	v_mov_b32_e32 v2, s0
	v_cndmask_b32_e32 v0, v0, v2, vcc
	v_cvt_f32_i32_e32 v0, v0
	v_cmp_neq_f32_e32 vcc, 1.0, v1
	s_mov_b32 s0, 0x3f2aaaab
	s_movk_i32 s2, 0x204
	v_cndmask_b32_e32 v16, 1.0, v0, vcc
	v_cmp_neq_f32_e32 vcc, 0, v16
	s_mov_b32 s1, 0x42b17218
	s_mov_b32 s4, 0x3fb8aa3b
	v_cndmask_b32_e32 v17, 1.0, v1, vcc
	v_frexp_mant_f32_e64 v0, |v17|
	v_cmp_gt_f32_e32 vcc, s0, v0
	s_mov_b32 s0, 0x3f317218
	s_brev_b32 s13, -2
	v_cndmask_b32_e64 v1, 1.0, 2.0, vcc
	v_mul_f32_e32 v0, v0, v1
	v_add_f32_e32 v3, 1.0, v0
	v_rcp_f32_e32 v8, v3
	v_add_f32_e32 v1, -1.0, v3
	v_sub_f32_e32 v5, v0, v1
	v_add_f32_e32 v1, -1.0, v0
	v_mul_f32_e32 v9, v1, v8
	v_mul_f32_e32 v2, v3, v9
	v_fma_f32 v4, v9, v3, -v2
	v_fmac_f32_e32 v4, v9, v5
	v_add_f32_e32 v0, v2, v4
	v_sub_f32_e32 v3, v1, v0
	v_pk_add_f32 v[6:7], v[0:1], v[2:3] neg_lo:[0,1] neg_hi:[0,1]
	v_mov_b32_e32 v5, v0
	v_pk_add_f32 v[0:1], v[6:7], v[4:5] neg_lo:[0,1] neg_hi:[0,1]
	v_mov_b32_e32 v4, 0x3e91f4c4
	v_add_f32_e32 v0, v0, v1
	v_add_f32_e32 v0, v3, v0
	v_mul_f32_e32 v1, v8, v0
	v_add_f32_e32 v0, v9, v1
	v_sub_f32_e32 v2, v0, v9
	v_sub_f32_e32 v10, v1, v2
	v_mul_f32_e32 v1, v0, v0
	v_fma_f32 v3, v0, v0, -v1
	v_add_f32_e32 v2, v10, v10
	v_fmac_f32_e32 v3, v0, v2
	v_add_f32_e32 v2, v1, v3
	v_fmac_f32_e32 v4, 0x3e76c4e1, v2
	v_fmaak_f32 v4, v2, v4, 0x3ecccdef
	v_sub_f32_e32 v1, v2, v1
	v_sub_f32_e32 v11, v3, v1
	v_mul_f32_e32 v1, v2, v4
	v_fma_f32 v3, v2, v4, -v1
	v_fmac_f32_e32 v3, v11, v4
	v_add_f32_e32 v4, v1, v3
	v_add_f32_e32 v5, 0x3f2aaaaa, v4
	v_sub_f32_e32 v1, v4, v1
	v_sub_f32_e32 v1, v3, v1
	v_add_f32_e32 v3, 0xbf2aaaaa, v5
	v_add_f32_e32 v1, 0x31739010, v1
	v_sub_f32_e32 v3, v4, v3
	v_pk_mul_f32 v[6:7], v[0:1], v[2:3]
	v_pk_add_f32 v[8:9], v[0:1], v[2:3]
	v_fma_f32 v4, v2, v0, -v6
	v_fmac_f32_e32 v4, v2, v10
	v_mov_b32_e32 v7, v9
	v_fmac_f32_e32 v4, v11, v0
	v_pk_add_f32 v[2:3], v[6:7], v[4:5]
	v_ldexp_f32 v12, v10, 1
	v_sub_f32_e32 v1, v2, v6
	v_sub_f32_e32 v1, v4, v1
	;; [unrolled: 1-line block ×3, first 2 shown]
	v_add_f32_e32 v7, v9, v4
	v_pk_mul_f32 v[4:5], v[2:3], v[2:3] op_sel:[0,1] op_sel_hi:[1,0]
	v_cvt_f64_f32_e64 v[8:9], |v17|
	v_frexp_exp_i32_f64_e32 v5, v[8:9]
	v_subbrev_co_u32_e32 v5, vcc, 0, v5, vcc
	v_cvt_f32_i32_e32 v5, v5
	v_fma_f32 v6, v2, v3, -v4
	v_fmac_f32_e32 v6, v2, v7
	v_fmac_f32_e32 v6, v1, v3
	v_mul_f32_e32 v2, 0x3f317218, v5
	v_fma_f32 v1, v5, s0, -v2
	v_fmamk_f32 v8, v5, 0xb102e308, v1
	v_ldexp_f32 v9, v0, 1
	v_add_f32_e32 v3, v4, v6
	v_pk_add_f32 v[0:1], v[2:3], v[8:9]
	v_mov_b32_e32 v10, v3
	v_mov_b32_e32 v11, v1
	;; [unrolled: 1-line block ×3, first 2 shown]
	v_pk_add_f32 v[4:5], v[10:11], v[4:5] neg_lo:[0,1] neg_hi:[0,1]
	v_mov_b32_e32 v7, v3
	v_pk_add_f32 v[4:5], v[6:7], v[4:5] neg_lo:[0,1] neg_hi:[0,1]
	v_mov_b32_e32 v9, v0
	v_add_f32_e32 v3, v12, v4
	v_add_f32_e32 v3, v3, v5
	v_pk_add_f32 v[4:5], v[0:1], v[2:3] neg_lo:[0,1] neg_hi:[0,1]
	v_pk_add_f32 v[6:7], v[0:1], v[2:3]
	v_mov_b32_e32 v14, v1
	v_mov_b32_e32 v5, v7
	v_pk_add_f32 v[10:11], v[8:9], v[4:5] neg_lo:[0,1] neg_hi:[0,1]
	v_pk_add_f32 v[4:5], v[8:9], v[4:5]
	v_mov_b32_e32 v2, v3
	v_pk_add_f32 v[8:9], v[4:5], v[0:1] op_sel:[1,0] op_sel_hi:[0,1] neg_lo:[0,1] neg_hi:[0,1]
	v_pk_add_f32 v[12:13], v[6:7], v[8:9] op_sel_hi:[1,0] neg_lo:[0,1] neg_hi:[0,1]
	v_mov_b32_e32 v6, v7
	v_mov_b32_e32 v7, v5
	;; [unrolled: 1-line block ×3, first 2 shown]
	v_pk_add_f32 v[6:7], v[6:7], v[14:15] neg_lo:[0,1] neg_hi:[0,1]
	v_mov_b32_e32 v3, v0
	v_pk_add_f32 v[0:1], v[2:3], v[6:7] neg_lo:[0,1] neg_hi:[0,1]
	v_mov_b32_e32 v12, v10
	v_pk_add_f32 v[2:3], v[12:13], v[0:1]
	v_mov_b32_e32 v11, v5
	v_pk_add_f32 v[6:7], v[2:3], v[2:3] op_sel:[0,1] op_sel_hi:[1,0]
	s_mov_b32 s0, 0x7f800000
	v_pk_add_f32 v[4:5], v[4:5], v[6:7] op_sel:[1,0] op_sel_hi:[0,1]
	v_mov_b32_e32 v3, v4
	v_pk_add_f32 v[8:9], v[2:3], v[10:11] neg_lo:[0,1] neg_hi:[0,1]
	v_mov_b32_e32 v1, v6
	v_sub_f32_e32 v2, v2, v8
	v_pk_add_f32 v[0:1], v[0:1], v[8:9] neg_lo:[0,1] neg_hi:[0,1]
	v_sub_f32_e32 v2, v10, v2
	v_add_f32_e32 v0, v0, v2
	v_add_f32_e32 v0, v0, v1
	;; [unrolled: 1-line block ×3, first 2 shown]
	v_sub_f32_e32 v2, v1, v4
	v_sub_f32_e32 v0, v0, v2
	v_mul_f32_e32 v2, v16, v1
	v_fma_f32 v1, v16, v1, -v2
	v_fmac_f32_e32 v1, v16, v0
	v_add_f32_e32 v0, v2, v1
	v_cmp_class_f32_e64 vcc, v2, s2
	v_sub_f32_e32 v3, v0, v2
	v_sub_f32_e32 v1, v1, v3
	v_cndmask_b32_e32 v0, v0, v2, vcc
	v_mov_b32_e32 v2, 0x37000000
	v_cmp_eq_f32_e32 vcc, s1, v0
	v_cmp_class_f32_e64 s[14:15], v17, s2
	s_nop 0
	v_cndmask_b32_e32 v2, 0, v2, vcc
	v_sub_f32_e32 v3, v0, v2
	v_mul_f32_e32 v4, 0x3fb8aa3b, v3
	v_fma_f32 v5, v3, s4, -v4
	v_rndne_f32_e32 v6, v4
	v_fmamk_f32 v5, v3, 0x32a5705f, v5
	v_sub_f32_e32 v4, v4, v6
	v_add_f32_e32 v4, v4, v5
	v_exp_f32_e32 v4, v4
	v_cvt_i32_f32_e32 v5, v6
	v_cmp_neq_f32_e64 vcc, |v0|, s0
	s_mov_b32 s0, 0xc2ce8ed0
	v_cmp_gt_f32_e64 s[4:5], 0, v16
	v_cndmask_b32_e32 v0, 0, v1, vcc
	v_ldexp_f32 v1, v4, v5
	v_cmp_ngt_f32_e32 vcc, s0, v3
	v_add_f32_e32 v0, v2, v0
	v_mov_b32_e32 v2, 0x7f800000
	v_cndmask_b32_e32 v1, 0, v1, vcc
	v_cmp_nlt_f32_e32 vcc, s1, v3
	v_mov_b32_e32 v3, 0x7fc00000
	s_nop 0
	v_cndmask_b32_e32 v1, v2, v1, vcc
	v_fma_f32 v0, v1, v0, v1
	v_cmp_class_f32_e64 vcc, v1, s2
	s_nop 1
	v_cndmask_b32_e32 v0, v0, v1, vcc
	v_trunc_f32_e32 v1, v16
	v_cmp_eq_f32_e32 vcc, v1, v16
	v_mul_f32_e32 v1, 0.5, v16
	v_trunc_f32_e32 v4, v1
	v_cmp_neq_f32_e64 s[0:1], v4, v1
	s_and_b64 s[0:1], vcc, s[0:1]
	s_nop 0
	v_cndmask_b32_e64 v1, 1.0, v17, s[0:1]
	v_bfi_b32 v0, s13, v0, v1
	v_cndmask_b32_e32 v1, v3, v0, vcc
	v_cmp_gt_f32_e32 vcc, 0, v17
	s_nop 1
	v_cndmask_b32_e32 v0, v0, v1, vcc
	v_cmp_eq_f32_e32 vcc, 0, v17
	s_xor_b64 s[4:5], s[4:5], vcc
	v_cndmask_b32_e64 v1, v2, 0, s[4:5]
	v_cndmask_b32_e64 v2, 0, v17, s[0:1]
	v_bfi_b32 v1, s13, v1, v2
	s_or_b64 vcc, vcc, s[14:15]
	v_cndmask_b32_e32 v0, v0, v1, vcc
	v_cmp_o_f32_e32 vcc, v17, v17
	s_nop 1
	v_cndmask_b32_e32 v52, v3, v0, vcc
.LBB30_457:
	s_mul_i32 s1, s9, s95
	v_readlane_b32 s0, v254, 19
	s_sub_i32 s1, s10, s1
	s_xor_b32 s0, s12, s0
	s_add_i32 s2, s9, 1
	s_sub_i32 s4, s1, s95
	s_cmp_ge_u32 s1, s95
	s_cselect_b32 s2, s2, s9
	s_cselect_b32 s1, s4, s1
	s_add_i32 s4, s2, 1
	s_cmp_ge_u32 s1, s95
	s_cselect_b32 s1, s4, s2
	s_xor_b32 s1, s1, s0
	s_sub_i32 s2, s1, s0
	s_cmp_eq_u64 s[26:27], 0
	s_cbranch_scc1 .LBB30_459
; %bb.458:
	v_readlane_b32 s0, v254, 0
	s_mul_i32 s0, s6, s0
	s_add_i32 s0, s2, s0
	s_ashr_i32 s1, s0, 31
	s_lshl_b64 s[0:1], s[0:1], 2
	s_add_u32 s0, s26, s0
	s_addc_u32 s1, s27, s1
	v_mov_b32_e32 v0, 0
	global_load_dword v0, v0, s[0:1]
	s_waitcnt vmcnt(0)
	v_ashrrev_i32_e32 v1, 31, v0
	v_lshrrev_b32_e32 v1, 26, v1
	v_add_u32_e32 v0, v0, v1
	v_ashrrev_i32_e32 v0, 6, v0
	v_min_i32_e32 v172, v172, v0
.LBB30_459:
	v_readlane_b32 s4, v254, 7
	v_readlane_b32 s5, v254, 8
	s_mul_i32 s0, s6, s5
	s_ashr_i32 s1, s0, 31
	s_add_u32 s0, s16, s0
	s_mul_i32 s11, s11, s4
	s_addc_u32 s1, s17, s1
	s_ashr_i32 s4, s11, 31
	s_add_u32 s0, s0, s11
	s_addc_u32 s1, s1, s4
	s_lshl_b32 s2, s2, 5
	v_and_b32_e32 v64, 0x3ff, v24
	v_add_u32_e32 v119, s2, v192
	s_mov_b32 s9, 0x10001
	v_lshl_add_u32 v1, v64, 2, 0
	v_cmp_le_i32_e32 vcc, s96, v119
	s_and_saveexec_b64 s[4:5], vcc
	s_xor_b64 s[4:5], exec, s[4:5]
; %bb.460:
	s_movk_i32 s10, 0x210
	v_mad_u32_u24 v0, v192, s10, v1
	v_mov_b32_e32 v2, 0
	ds_write2st64_b32 v0, v2, v2 offset1:1
; %bb.461:
	s_or_saveexec_b64 s[4:5], s[4:5]
	v_mul_lo_u32 v0, v25, s9
	v_lshlrev_b32_e32 v65, 2, v64
	s_xor_b64 exec, exec, s[4:5]
	s_cbranch_execz .LBB30_463
; %bb.462:
	v_mad_u64_u32 v[2:3], s[10:11], v119, s90, v[64:65]
	v_ashrrev_i32_e32 v3, 31, v2
	v_lshl_add_u64 v[2:3], v[2:3], 3, s[0:1]
	global_load_dwordx2 v[4:5], v[2:3], off
	global_load_dwordx2 v[6:7], v[2:3], off offset:512
	v_mul_u32_u24_e32 v2, 0x210, v192
	v_add3_u32 v2, 0, v2, v65
	s_waitcnt vmcnt(1)
	v_cvt_pk_f16_f32 v3, v4, v5
	s_waitcnt vmcnt(0)
	v_cvt_pk_f16_f32 v4, v6, v7
	v_pk_mul_f16 v3, v3, v0
	v_pk_mul_f16 v4, v4, v0
	ds_write2st64_b32 v2, v3, v4 offset1:1
.LBB30_463:
	s_or_b64 exec, exec, s[4:5]
	v_add_u32_e32 v121, s2, v235
	v_cmp_le_i32_e32 vcc, s96, v121
	s_and_saveexec_b64 s[4:5], vcc
	s_xor_b64 s[4:5], exec, s[4:5]
; %bb.464:
	s_movk_i32 s9, 0x210
	v_mad_u32_u24 v2, v235, s9, v1
	v_mov_b32_e32 v3, 0
	ds_write2st64_b32 v2, v3, v3 offset1:1
                                        ; implicit-def: $vgpr235
; %bb.465:
	s_andn2_saveexec_b64 s[4:5], s[4:5]
	s_cbranch_execz .LBB30_467
; %bb.466:
	v_mad_u64_u32 v[2:3], s[10:11], v121, s90, v[64:65]
	v_ashrrev_i32_e32 v3, 31, v2
	v_lshl_add_u64 v[2:3], v[2:3], 3, s[0:1]
	global_load_dwordx2 v[4:5], v[2:3], off
	global_load_dwordx2 v[6:7], v[2:3], off offset:512
	v_mul_u32_u24_e32 v2, 0x210, v235
	v_add3_u32 v2, 0, v2, v65
	s_waitcnt vmcnt(1)
	v_cvt_pk_f16_f32 v3, v4, v5
	s_waitcnt vmcnt(0)
	v_cvt_pk_f16_f32 v4, v6, v7
	v_pk_mul_f16 v3, v3, v0
	v_pk_mul_f16 v4, v4, v0
	ds_write2st64_b32 v2, v3, v4 offset1:1
.LBB30_467:
	s_or_b64 exec, exec, s[4:5]
	v_add_u32_e32 v122, s2, v234
	v_cmp_le_i32_e32 vcc, s96, v122
	s_and_saveexec_b64 s[4:5], vcc
	s_xor_b64 s[4:5], exec, s[4:5]
; %bb.468:
	s_movk_i32 s9, 0x210
	v_mad_u32_u24 v2, v234, s9, v1
	v_mov_b32_e32 v3, 0
	ds_write2st64_b32 v2, v3, v3 offset1:1
                                        ; implicit-def: $vgpr234
; %bb.469:
	s_andn2_saveexec_b64 s[4:5], s[4:5]
	s_cbranch_execz .LBB30_471
; %bb.470:
	v_mad_u64_u32 v[2:3], s[10:11], v122, s90, v[64:65]
	v_ashrrev_i32_e32 v3, 31, v2
	v_lshl_add_u64 v[2:3], v[2:3], 3, s[0:1]
	global_load_dwordx2 v[4:5], v[2:3], off
	global_load_dwordx2 v[6:7], v[2:3], off offset:512
	v_mul_u32_u24_e32 v2, 0x210, v234
	v_add3_u32 v2, 0, v2, v65
	s_waitcnt vmcnt(1)
	v_cvt_pk_f16_f32 v3, v4, v5
	s_waitcnt vmcnt(0)
	v_cvt_pk_f16_f32 v4, v6, v7
	v_pk_mul_f16 v3, v3, v0
	v_pk_mul_f16 v4, v4, v0
	ds_write2st64_b32 v2, v3, v4 offset1:1
.LBB30_471:
	s_or_b64 exec, exec, s[4:5]
	v_add_u32_e32 v123, s2, v233
	v_cmp_le_i32_e32 vcc, s96, v123
	s_and_saveexec_b64 s[4:5], vcc
	s_xor_b64 s[4:5], exec, s[4:5]
; %bb.472:
	s_movk_i32 s9, 0x210
	v_mad_u32_u24 v2, v233, s9, v1
	v_mov_b32_e32 v3, 0
	ds_write2st64_b32 v2, v3, v3 offset1:1
                                        ; implicit-def: $vgpr233
; %bb.473:
	s_andn2_saveexec_b64 s[4:5], s[4:5]
	s_cbranch_execz .LBB30_475
; %bb.474:
	v_mad_u64_u32 v[2:3], s[10:11], v123, s90, v[64:65]
	v_ashrrev_i32_e32 v3, 31, v2
	v_lshl_add_u64 v[2:3], v[2:3], 3, s[0:1]
	global_load_dwordx2 v[4:5], v[2:3], off
	global_load_dwordx2 v[6:7], v[2:3], off offset:512
	v_mul_u32_u24_e32 v2, 0x210, v233
	v_add3_u32 v2, 0, v2, v65
	s_waitcnt vmcnt(1)
	v_cvt_pk_f16_f32 v3, v4, v5
	s_waitcnt vmcnt(0)
	v_cvt_pk_f16_f32 v4, v6, v7
	v_pk_mul_f16 v3, v3, v0
	v_pk_mul_f16 v4, v4, v0
	ds_write2st64_b32 v2, v3, v4 offset1:1
.LBB30_475:
	s_or_b64 exec, exec, s[4:5]
	v_add_u32_e32 v124, s2, v231
	v_cmp_le_i32_e32 vcc, s96, v124
	s_and_saveexec_b64 s[4:5], vcc
	s_xor_b64 s[4:5], exec, s[4:5]
; %bb.476:
	s_movk_i32 s9, 0x210
	v_mad_u32_u24 v2, v231, s9, v1
	v_mov_b32_e32 v3, 0
	ds_write2st64_b32 v2, v3, v3 offset1:1
                                        ; implicit-def: $vgpr231
; %bb.477:
	s_andn2_saveexec_b64 s[4:5], s[4:5]
	s_cbranch_execz .LBB30_479
; %bb.478:
	v_mad_u64_u32 v[2:3], s[10:11], v124, s90, v[64:65]
	v_ashrrev_i32_e32 v3, 31, v2
	v_lshl_add_u64 v[2:3], v[2:3], 3, s[0:1]
	global_load_dwordx2 v[4:5], v[2:3], off
	global_load_dwordx2 v[6:7], v[2:3], off offset:512
	v_mul_u32_u24_e32 v2, 0x210, v231
	v_add3_u32 v2, 0, v2, v65
	s_waitcnt vmcnt(1)
	v_cvt_pk_f16_f32 v3, v4, v5
	s_waitcnt vmcnt(0)
	v_cvt_pk_f16_f32 v4, v6, v7
	v_pk_mul_f16 v3, v3, v0
	v_pk_mul_f16 v4, v4, v0
	ds_write2st64_b32 v2, v3, v4 offset1:1
.LBB30_479:
	s_or_b64 exec, exec, s[4:5]
	v_add_u32_e32 v125, s2, v229
	v_cmp_le_i32_e32 vcc, s96, v125
	s_and_saveexec_b64 s[4:5], vcc
	s_xor_b64 s[4:5], exec, s[4:5]
; %bb.480:
	s_movk_i32 s9, 0x210
	v_mad_u32_u24 v2, v229, s9, v1
	v_mov_b32_e32 v3, 0
	ds_write2st64_b32 v2, v3, v3 offset1:1
                                        ; implicit-def: $vgpr229
; %bb.481:
	s_andn2_saveexec_b64 s[4:5], s[4:5]
	s_cbranch_execz .LBB30_483
; %bb.482:
	v_mad_u64_u32 v[2:3], s[10:11], v125, s90, v[64:65]
	v_ashrrev_i32_e32 v3, 31, v2
	v_lshl_add_u64 v[2:3], v[2:3], 3, s[0:1]
	global_load_dwordx2 v[4:5], v[2:3], off
	global_load_dwordx2 v[6:7], v[2:3], off offset:512
	v_mul_u32_u24_e32 v2, 0x210, v229
	v_add3_u32 v2, 0, v2, v65
	s_waitcnt vmcnt(1)
	v_cvt_pk_f16_f32 v3, v4, v5
	s_waitcnt vmcnt(0)
	v_cvt_pk_f16_f32 v4, v6, v7
	v_pk_mul_f16 v3, v3, v0
	v_pk_mul_f16 v4, v4, v0
	ds_write2st64_b32 v2, v3, v4 offset1:1
.LBB30_483:
	s_or_b64 exec, exec, s[4:5]
	v_add_u32_e32 v126, s2, v226
	v_cmp_le_i32_e32 vcc, s96, v126
	s_and_saveexec_b64 s[4:5], vcc
	s_xor_b64 s[4:5], exec, s[4:5]
; %bb.484:
	s_movk_i32 s9, 0x210
	v_mad_u32_u24 v2, v226, s9, v1
	v_mov_b32_e32 v3, 0
	ds_write2st64_b32 v2, v3, v3 offset1:1
                                        ; implicit-def: $vgpr226
; %bb.485:
	s_andn2_saveexec_b64 s[4:5], s[4:5]
	s_cbranch_execz .LBB30_487
; %bb.486:
	v_mad_u64_u32 v[2:3], s[10:11], v126, s90, v[64:65]
	v_ashrrev_i32_e32 v3, 31, v2
	v_lshl_add_u64 v[2:3], v[2:3], 3, s[0:1]
	global_load_dwordx2 v[4:5], v[2:3], off
	global_load_dwordx2 v[6:7], v[2:3], off offset:512
	v_mul_u32_u24_e32 v2, 0x210, v226
	v_add3_u32 v2, 0, v2, v65
	s_waitcnt vmcnt(1)
	v_cvt_pk_f16_f32 v3, v4, v5
	s_waitcnt vmcnt(0)
	v_cvt_pk_f16_f32 v4, v6, v7
	v_pk_mul_f16 v3, v3, v0
	v_pk_mul_f16 v4, v4, v0
	ds_write2st64_b32 v2, v3, v4 offset1:1
.LBB30_487:
	s_or_b64 exec, exec, s[4:5]
	v_add_u32_e32 v127, s2, v225
	v_cmp_le_i32_e32 vcc, s96, v127
	s_and_saveexec_b64 s[4:5], vcc
	s_xor_b64 s[4:5], exec, s[4:5]
; %bb.488:
	s_movk_i32 s2, 0x210
	v_mad_u32_u24 v0, v225, s2, v1
	v_mov_b32_e32 v1, 0
	ds_write2st64_b32 v0, v1, v1 offset1:1
                                        ; implicit-def: $vgpr225
                                        ; implicit-def: $vgpr0
; %bb.489:
	s_andn2_saveexec_b64 s[4:5], s[4:5]
	s_cbranch_execz .LBB30_491
; %bb.490:
	v_mad_u64_u32 v[2:3], s[10:11], v127, s90, v[64:65]
	v_ashrrev_i32_e32 v3, 31, v2
	v_lshl_add_u64 v[2:3], v[2:3], 3, s[0:1]
	global_load_dwordx2 v[4:5], v[2:3], off
	global_load_dwordx2 v[6:7], v[2:3], off offset:512
	v_mul_u32_u24_e32 v1, 0x210, v225
	v_add3_u32 v1, 0, v1, v65
	s_waitcnt vmcnt(1)
	v_cvt_pk_f16_f32 v2, v4, v5
	s_waitcnt vmcnt(0)
	v_cvt_pk_f16_f32 v3, v6, v7
	v_pk_mul_f16 v2, v2, v0
	v_pk_mul_f16 v0, v3, v0
	ds_write2st64_b32 v1, v2, v0 offset1:1
.LBB30_491:
	s_or_b64 exec, exec, s[4:5]
	v_lshrrev_b32_e32 v1, 3, v64
	v_readlane_b32 s4, v254, 9
	v_and_b32_e32 v32, 0x1ff0, v217
	s_movk_i32 s44, 0x210
	v_and_b32_e32 v112, 15, v64
	v_and_b32_e32 v1, 0x7e, v1
	v_readlane_b32 s5, v254, 10
	s_mul_i32 s0, s4, s8
	s_mul_hi_u32 s1, s4, s6
	v_mad_u32_u24 v0, v32, s44, 0
	v_mul_u32_u24_e32 v120, 0x210, v112
	v_lshlrev_b32_e32 v113, 2, v1
	s_add_i32 s0, s1, s0
	s_mul_i32 s1, s5, s6
	v_readlane_b32 s12, v254, 15
	v_add3_u32 v0, v0, v120, v113
	s_add_i32 s0, s0, s1
	s_mul_i32 s1, s4, s6
	v_readlane_b32 s15, v254, 18
	s_waitcnt lgkmcnt(0)
	s_barrier
	ds_read2_b64 v[28:31], v0 offset1:4
	ds_read2_b64 v[24:27], v0 offset0:8 offset1:12
	ds_read2_b64 v[20:23], v0 offset0:16 offset1:20
	;; [unrolled: 1-line block ×7, first 2 shown]
	s_add_u32 s1, s20, s1
	s_mul_i32 s2, s7, s15
	s_addc_u32 s0, s21, s0
	s_ashr_i32 s4, s2, 31
	s_add_u32 s33, s1, s2
	v_readlane_b32 s13, v254, 16
	s_addc_u32 s48, s0, s4
	s_mul_i32 s0, s12, s8
	s_mul_hi_u32 s1, s12, s6
	s_add_i32 s0, s1, s0
	s_mul_i32 s1, s13, s6
	v_readlane_b32 s4, v254, 13
	s_add_i32 s0, s0, s1
	s_mul_i32 s1, s12, s6
	v_readlane_b32 s5, v254, 14
	s_add_u32 s1, s18, s1
	s_mul_i32 s7, s7, s5
	s_addc_u32 s0, s19, s0
	s_ashr_i32 s4, s7, 31
	v_add_u32_e32 v129, -1, v172
	s_add_u32 s2, s1, s7
	v_cmp_ge_i32_e32 vcc, s50, v129
	s_addc_u32 s49, s0, s4
	s_mov_b32 s51, 0
	s_and_b64 vcc, exec, vcc
	v_or_b32_e32 v118, v32, v112
	v_lshlrev_b32_e32 v54, 1, v64
	v_mbcnt_lo_u32_b32 v116, -1, 0
	v_and_b32_e32 v115, 8, v217
	v_lshrrev_b32_e32 v128, 5, v64
	v_lshrrev_b32_e32 v117, 2, v64
	v_lshlrev_b32_e32 v114, 1, v112
	v_readlane_b32 s14, v254, 17
	s_waitcnt lgkmcnt(0)
	s_barrier
	s_cbranch_vccnz .LBB30_537
; %bb.492:
	v_mov_b32_e32 v57, 0
	v_mov_b32_e32 v55, v57
	v_mul_u32_u24_e32 v32, 0x90, v192
	v_lshl_add_u64 v[58:59], s[38:39], 0, v[54:55]
	v_add3_u32 v55, 0, v32, v54
	v_mul_hi_u32 v32, s68, v119
	v_add_u32_e32 v32, v119, v32
	v_lshrrev_b32_e32 v32, s69, v32
	v_mul_lo_u32 v32, v32, s96
	v_sub_u32_e32 v32, v119, v32
	v_mad_i64_i32 v[60:61], s[4:5], v32, s86, 0
	v_mul_hi_u32 v32, s68, v121
	v_add_u32_e32 v32, v121, v32
	v_lshrrev_b32_e32 v32, s69, v32
	v_mul_lo_u32 v32, v32, s96
	v_sub_u32_e32 v32, v121, v32
	v_mad_i64_i32 v[62:63], s[4:5], v32, s86, 0
	v_mul_hi_u32 v32, s68, v122
	v_add_u32_e32 v32, v122, v32
	v_lshrrev_b32_e32 v32, s69, v32
	v_mul_lo_u32 v32, v32, s96
	v_sub_u32_e32 v32, v122, v32
	v_mad_i64_i32 v[66:67], s[4:5], v32, s86, 0
	v_mul_hi_u32 v32, s68, v123
	v_add_u32_e32 v32, v123, v32
	v_lshrrev_b32_e32 v32, s69, v32
	v_mul_lo_u32 v32, v32, s96
	v_sub_u32_e32 v32, v123, v32
	v_mad_i64_i32 v[68:69], s[4:5], v32, s86, 0
	v_mul_hi_u32 v32, s68, v124
	v_add_u32_e32 v32, v124, v32
	v_lshrrev_b32_e32 v32, s69, v32
	v_mul_lo_u32 v32, v32, s96
	v_sub_u32_e32 v32, v124, v32
	v_mad_i64_i32 v[70:71], s[4:5], v32, s86, 0
	v_mul_hi_u32 v32, s68, v125
	v_add_u32_e32 v32, v125, v32
	v_lshrrev_b32_e32 v32, s69, v32
	v_mul_lo_u32 v32, v32, s96
	v_sub_u32_e32 v32, v125, v32
	v_mad_i64_i32 v[72:73], s[4:5], v32, s86, 0
	v_mul_hi_u32 v32, s68, v126
	v_add_u32_e32 v32, v126, v32
	v_lshrrev_b32_e32 v32, s69, v32
	v_mul_lo_u32 v32, v32, s96
	v_sub_u32_e32 v32, v126, v32
	v_mad_i64_i32 v[74:75], s[4:5], v32, s86, 0
	v_mul_hi_u32 v32, s68, v127
	v_add_u32_e32 v32, v127, v32
	v_lshrrev_b32_e32 v32, s69, v32
	v_mul_lo_u32 v32, v32, s96
	v_sub_u32_e32 v32, v127, v32
	v_mad_i64_i32 v[76:77], s[4:5], v32, s86, 0
	v_mbcnt_hi_u32_b32 v32, -1, v116
	v_and_b32_e32 v35, 64, v32
	v_add_u32_e32 v35, 64, v35
	v_xor_b32_e32 v36, 32, v32
	v_cmp_lt_i32_e32 vcc, v36, v35
	s_cmp_lg_u64 s[38:39], 0
	s_movk_i32 s18, 0x90
	v_cndmask_b32_e32 v36, v32, v36, vcc
	v_lshlrev_b32_e32 v137, 2, v36
	v_xor_b32_e32 v36, 16, v32
	v_cmp_lt_i32_e32 vcc, v36, v35
	s_cselect_b64 s[42:43], -1, 0
	s_lshl_b32 s19, s78, 3
	v_cndmask_b32_e32 v32, v32, v36, vcc
	v_lshl_add_u32 v36, v192, 1, v128
	v_mul_lo_u32 v78, s78, v36
	v_mad_u32_u24 v41, v118, s18, 0
	v_mul_lo_u32 v94, s98, v36
	s_lshl_b32 s18, s98, 3
	v_lshlrev_b32_e32 v138, 2, v32
	v_and_b32_e32 v32, 0x7c, v65
	v_add_u32_e32 v80, s19, v78
	v_add_u32_e32 v96, s18, v94
	v_mul_u32_u24_e32 v37, 0x210, v36
	v_lshlrev_b32_e32 v38, 2, v32
	v_add_u32_e32 v82, s19, v80
	v_add_u32_e32 v98, s18, v96
	v_add3_u32 v139, 0, v37, v38
	v_add_u32_e32 v84, s19, v82
	v_lshrrev_b32_e32 v38, 2, v64
	v_add_u32_e32 v100, s18, v98
	v_and_b32_e32 v33, 16, v216
	v_add_u32_e32 v86, s19, v84
	v_and_b32_e32 v39, 0xfc, v38
	v_add_u32_e32 v102, s18, v100
	v_mul_u32_u24_e32 v34, 0x210, v33
	v_add_u32_e32 v88, s19, v86
	v_add_u32_e32 v40, v39, v33
	v_add_u16_e32 v33, v39, v33
	v_add_u32_e32 v104, s18, v102
	v_mul_u32_u24_e32 v35, 0x420, v115
	v_cmp_gt_u32_e64 s[36:37], 64, v36
	v_cmp_gt_u32_e64 s[4:5], 56, v36
	;; [unrolled: 1-line block ×7, first 2 shown]
	v_add_u32_e32 v90, s19, v88
	v_cmp_gt_u32_e64 s[16:17], 8, v36
	v_lshrrev_b16_e32 v33, 1, v33
	v_add_u32_e32 v106, s18, v104
	v_or_b32_e32 v36, 3, v38
	s_mov_b64 s[40:41], src_private_base
	v_add_u32_e32 v92, s19, v90
	v_add3_u32 v37, 0, v120, v113
	v_lshl_add_u32 v33, v33, 2, v41
	v_lshl_add_u32 v41, v40, 1, v41
	v_add_u32_e32 v108, s18, v106
	v_add3_u32 v35, 0, v35, v114
	v_mul_u32_u24_e32 v36, 0x210, v36
	v_cmp_lt_u32_e64 s[0:1], 63, v64
	v_add_u32_e32 v130, 0x240, v55
	v_add_u32_e32 v131, 0x480, v55
	;; [unrolled: 1-line block ×7, first 2 shown]
	v_ashrrev_i32_e32 v79, 31, v78
	v_add_u32_e32 v140, 0x1080, v139
	v_ashrrev_i32_e32 v81, 31, v80
	v_add_u32_e32 v141, 0x2100, v139
	;; [unrolled: 2-line block ×8, first 2 shown]
	v_add_u32_e32 v148, 0x44, v41
	v_ashrrev_i32_e32 v95, 31, v94
	v_ashrrev_i32_e32 v97, 31, v96
	;; [unrolled: 1-line block ×8, first 2 shown]
	v_cmp_gt_u32_e64 s[18:19], 64, v40
	v_cmp_gt_u32_e64 s[20:21], 63, v40
	;; [unrolled: 1-line block ×8, first 2 shown]
	v_mad_u32_u24 v149, v39, s44, v35
	v_mov_b32_e32 v110, v52
	v_mov_b32_e32 v111, v52
	s_lshl_b32 s44, s50, 6
	v_mov_b32_e32 v183, 0xfeffffff
	v_lshlrev_b32_e32 v56, 2, v32
	v_add_u32_e32 v150, v37, v34
	s_mov_b32 s40, 0x3f200000
	s_mov_b32 s52, 0x3fb8aa3b
	;; [unrolled: 1-line block ×4, first 2 shown]
	v_mov_b32_e32 v151, 0x3ca908c9
	s_brev_b32 s55, -2
	v_add_u32_e32 v152, 0x8400, v33
	s_mov_b32 s56, 0xc1a00000
	v_add_u32_e32 v153, v35, v36
	s_mov_b32 s57, 0x5040100
	v_mov_b32_e32 v154, 0
	v_mov_b32_e32 v208, v57
	;; [unrolled: 1-line block ×39, first 2 shown]
                                        ; implicit-def: $vgpr32
                                        ; implicit-def: $vgpr32
	;; [unrolled: 1-line block ×3, first 2 shown]
	s_andn2_b64 vcc, exec, s[42:43]
	s_ashr_i32 s45, s44, 31
	s_cbranch_vccnz .LBB30_498
.LBB30_493:
	s_and_saveexec_b64 s[46:47], s[0:1]
	s_xor_b64 s[46:47], exec, s[46:47]
	s_cbranch_execz .LBB30_495
; %bb.494:
	ds_write_b16 v55, v57 offset:33792
	ds_write_b16 v130, v57 offset:33792
	;; [unrolled: 1-line block ×4, first 2 shown]
.LBB30_495:
	s_or_saveexec_b64 s[46:47], s[46:47]
	v_mov_b32_e32 v32, 0
	v_mov_b32_e32 v33, 0
	;; [unrolled: 1-line block ×4, first 2 shown]
	s_xor_b64 exec, exec, s[46:47]
	s_cbranch_execz .LBB30_497
; %bb.496:
	v_lshl_add_u64 v[32:33], s[44:45], 1, v[58:59]
	v_lshl_add_u64 v[34:35], v[60:61], 1, v[32:33]
	v_lshl_add_u64 v[36:37], v[62:63], 1, v[32:33]
	v_lshl_add_u64 v[38:39], v[66:67], 1, v[32:33]
	v_lshl_add_u64 v[40:41], v[68:69], 1, v[32:33]
	v_lshl_add_u64 v[42:43], v[70:71], 1, v[32:33]
	v_lshl_add_u64 v[44:45], v[72:73], 1, v[32:33]
	v_lshl_add_u64 v[46:47], v[74:75], 1, v[32:33]
	v_lshl_add_u64 v[48:49], v[76:77], 1, v[32:33]
	global_load_ushort v50, v[34:35], off
	s_nop 0
	global_load_ushort v36, v[36:37], off
	s_nop 0
	;; [unrolled: 2-line block ×3, first 2 shown]
	global_load_ushort v38, v[40:41], off
	global_load_ushort v32, v[42:43], off
	;; [unrolled: 1-line block ×5, first 2 shown]
	s_waitcnt vmcnt(7)
	ds_write_b16 v55, v50 offset:33792
	s_waitcnt vmcnt(6)
	ds_write_b16 v130, v36 offset:33792
	;; [unrolled: 2-line block ×4, first 2 shown]
.LBB30_497:
	s_or_b64 exec, exec, s[46:47]
	s_waitcnt vmcnt(3)
	ds_write_b16 v133, v32 offset:33792
	s_waitcnt vmcnt(2)
	ds_write_b16 v134, v33 offset:33792
	;; [unrolled: 2-line block ×4, first 2 shown]
.LBB30_498:                             ; =>This Inner Loop Header: Depth=1
	s_mul_hi_i32 s47, s44, s78
	s_mul_i32 s46, s44, s78
	s_lshl_b64 s[46:47], s[46:47], 2
	s_add_u32 s46, s2, s46
	s_addc_u32 s47, s49, s47
	v_lshl_add_u64 v[32:33], v[78:79], 2, s[46:47]
	v_lshl_add_u64 v[32:33], v[32:33], 0, v[56:57]
	v_mov_b32_e32 v38, s41
	v_cndmask_b32_e64 v33, v38, v33, s[36:37]
	v_cndmask_b32_e64 v32, v154, v32, s[36:37]
	scratch_store_dwordx4 off, v[208:211], off
	flat_load_dwordx4 v[32:35], v[32:33]
	v_lshl_add_u64 v[36:37], v[80:81], 2, s[46:47]
	v_lshl_add_u64 v[36:37], v[36:37], 0, v[56:57]
	v_cndmask_b32_e64 v37, v38, v37, s[4:5]
	v_cndmask_b32_e64 v36, v154, v36, s[4:5]
	v_add_u32_e32 v40, 0x4000, v150
                                        ; implicit-def: $vgpr41
	s_waitcnt vmcnt(0) lgkmcnt(0)
	ds_write_b128 v139, v[32:35]
	flat_load_dwordx4 v[32:35], v[36:37]
	v_lshl_add_u64 v[36:37], v[82:83], 2, s[46:47]
	v_lshl_add_u64 v[36:37], v[36:37], 0, v[56:57]
	v_cndmask_b32_e64 v37, v38, v37, s[6:7]
	v_cndmask_b32_e64 v36, v154, v36, s[6:7]
	s_waitcnt vmcnt(0) lgkmcnt(0)
	ds_write_b128 v140, v[32:35]
	flat_load_dwordx4 v[32:35], v[36:37]
	v_lshl_add_u64 v[36:37], v[84:85], 2, s[46:47]
	v_lshl_add_u64 v[36:37], v[36:37], 0, v[56:57]
	v_cndmask_b32_e64 v37, v38, v37, s[8:9]
	v_cndmask_b32_e64 v36, v154, v36, s[8:9]
	;; [unrolled: 7-line block ×6, first 2 shown]
	s_waitcnt vmcnt(0) lgkmcnt(0)
	ds_write_b128 v145, v[32:35]
	flat_load_dwordx4 v[32:35], v[36:37]
	s_waitcnt vmcnt(0) lgkmcnt(0)
	ds_write_b128 v146, v[32:35]
	s_waitcnt lgkmcnt(0)
	s_barrier
	ds_read2_b64 v[32:35], v150 offset1:4
	ds_read2_b64 v[36:39], v40 offset0:64 offset1:68
	s_waitcnt lgkmcnt(1)
	v_mfma_f32_16x16x16_f16 a[0:3], v[32:33], v[28:29], 0
	s_waitcnt lgkmcnt(0)
	v_mfma_f32_16x16x16_f16 a[4:7], v[36:37], v[28:29], 0
	v_mfma_f32_16x16x16_f16 a[0:3], v[34:35], v[30:31], a[0:3]
	ds_read2_b64 v[32:35], v150 offset0:8 offset1:12
	v_mfma_f32_16x16x16_f16 a[4:7], v[38:39], v[30:31], a[4:7]
	ds_read2_b64 v[36:39], v40 offset0:72 offset1:76
	s_waitcnt lgkmcnt(1)
	v_mfma_f32_16x16x16_f16 a[0:3], v[32:33], v[24:25], a[0:3]
	s_waitcnt lgkmcnt(0)
	v_mfma_f32_16x16x16_f16 a[4:7], v[36:37], v[24:25], a[4:7]
	v_mfma_f32_16x16x16_f16 a[0:3], v[34:35], v[26:27], a[0:3]
	ds_read2_b64 v[32:35], v150 offset0:16 offset1:20
	v_mfma_f32_16x16x16_f16 a[4:7], v[38:39], v[26:27], a[4:7]
	;; [unrolled: 8-line block ×7, first 2 shown]
	ds_read2_b64 v[36:39], v40 offset0:120 offset1:124
	s_waitcnt lgkmcnt(0)
	s_barrier
	v_mfma_f32_16x16x16_f16 a[0:3], v[32:33], v[0:1], a[0:3]
	v_mfma_f32_16x16x16_f16 a[8:11], v[36:37], v[0:1], a[4:7]
	;; [unrolled: 1-line block ×4, first 2 shown]
	s_nop 6
	v_accvgpr_read_b32 v40, a4
	v_cmp_nlt_f32_e64 s[46:47], |v40|, s40
	s_and_saveexec_b64 s[58:59], s[46:47]
	s_xor_b64 s[46:47], exec, s[58:59]
	s_cbranch_execz .LBB30_500
; %bb.499:                              ;   in Loop: Header=BB30_498 Depth=1
	v_add_f32_e64 v32, |v40|, |v40|
	v_mul_f32_e32 v33, 0x3fb8aa3b, v32
	v_rndne_f32_e32 v34, v33
	v_sub_f32_e32 v35, v33, v34
	v_fma_f32 v33, v32, s52, -v33
	v_fmac_f32_e32 v33, 0x32a5705f, v32
	v_add_f32_e32 v33, v35, v33
	v_cvt_i32_f32_e32 v34, v34
	v_exp_f32_e32 v33, v33
	v_cmp_ngt_f32_e32 vcc, s53, v32
	v_ldexp_f32 v33, v33, v34
	s_nop 0
	v_cndmask_b32_e32 v33, 0, v33, vcc
	v_cmp_nlt_f32_e32 vcc, s54, v32
	s_nop 1
	v_cndmask_b32_e32 v32, v155, v33, vcc
	v_add_f32_e32 v32, 1.0, v32
	v_rcp_f32_e32 v32, v32
	s_nop 0
	v_fma_f32 v41, v32, -2.0, 1.0
.LBB30_500:                             ;   in Loop: Header=BB30_498 Depth=1
	s_andn2_saveexec_b64 s[46:47], s[46:47]
; %bb.501:                              ;   in Loop: Header=BB30_498 Depth=1
	v_mul_f32_e32 v32, v40, v40
	v_fmamk_f32 v33, v32, 0xbbbac73d, v151
	v_fmaak_f32 v33, v32, v33, 0xbd5c1c4e
	v_fmaak_f32 v33, v32, v33, 0x3e088382
	;; [unrolled: 1-line block ×3, first 2 shown]
	v_mul_f32_e64 v33, |v40|, v33
	v_fma_f32 v41, v32, v33, |v40|
; %bb.502:                              ;   in Loop: Header=BB30_498 Depth=1
	s_or_b64 exec, exec, s[46:47]
	v_accvgpr_read_b32 v35, a7
	v_accvgpr_read_b32 v33, a5
	;; [unrolled: 1-line block ×4, first 2 shown]
	v_cmp_nlt_f32_e64 s[46:47], |v33|, s40
                                        ; implicit-def: $vgpr32
	s_and_saveexec_b64 s[58:59], s[46:47]
	s_xor_b64 s[46:47], exec, s[58:59]
	s_cbranch_execz .LBB30_504
; %bb.503:                              ;   in Loop: Header=BB30_498 Depth=1
	v_add_f32_e64 v32, |v33|, |v33|
	v_mul_f32_e32 v36, 0x3fb8aa3b, v32
	v_rndne_f32_e32 v37, v36
	v_sub_f32_e32 v38, v36, v37
	v_fma_f32 v36, v32, s52, -v36
	v_fmac_f32_e32 v36, 0x32a5705f, v32
	v_add_f32_e32 v36, v38, v36
	v_cvt_i32_f32_e32 v37, v37
	v_exp_f32_e32 v36, v36
	v_cmp_ngt_f32_e32 vcc, s53, v32
	v_ldexp_f32 v36, v36, v37
	s_nop 0
	v_cndmask_b32_e32 v36, 0, v36, vcc
	v_cmp_nlt_f32_e32 vcc, s54, v32
	s_nop 1
	v_cndmask_b32_e32 v32, v155, v36, vcc
	v_add_f32_e32 v32, 1.0, v32
	v_rcp_f32_e32 v32, v32
	s_nop 0
	v_fma_f32 v32, v32, -2.0, 1.0
.LBB30_504:                             ;   in Loop: Header=BB30_498 Depth=1
	s_andn2_saveexec_b64 s[46:47], s[46:47]
; %bb.505:                              ;   in Loop: Header=BB30_498 Depth=1
	v_mul_f32_e32 v32, v33, v33
	v_fmamk_f32 v36, v32, 0xbbbac73d, v151
	v_fmaak_f32 v36, v32, v36, 0xbd5c1c4e
	v_fmaak_f32 v36, v32, v36, 0x3e088382
	;; [unrolled: 1-line block ×3, first 2 shown]
	v_mul_f32_e64 v36, |v33|, v36
	v_fma_f32 v32, v32, v36, |v33|
; %bb.506:                              ;   in Loop: Header=BB30_498 Depth=1
	s_or_b64 exec, exec, s[46:47]
	v_cmp_nlt_f32_e64 s[46:47], |v34|, s40
                                        ; implicit-def: $vgpr42
	s_and_saveexec_b64 s[58:59], s[46:47]
	s_xor_b64 s[46:47], exec, s[58:59]
	s_cbranch_execz .LBB30_508
; %bb.507:                              ;   in Loop: Header=BB30_498 Depth=1
	v_add_f32_e64 v36, |v34|, |v34|
	v_mul_f32_e32 v37, 0x3fb8aa3b, v36
	v_rndne_f32_e32 v38, v37
	v_sub_f32_e32 v39, v37, v38
	v_fma_f32 v37, v36, s52, -v37
	v_fmac_f32_e32 v37, 0x32a5705f, v36
	v_add_f32_e32 v37, v39, v37
	v_cvt_i32_f32_e32 v38, v38
	v_exp_f32_e32 v37, v37
	v_cmp_ngt_f32_e32 vcc, s53, v36
	v_ldexp_f32 v37, v37, v38
	s_nop 0
	v_cndmask_b32_e32 v37, 0, v37, vcc
	v_cmp_nlt_f32_e32 vcc, s54, v36
	s_nop 1
	v_cndmask_b32_e32 v36, v155, v37, vcc
	v_add_f32_e32 v36, 1.0, v36
	v_rcp_f32_e32 v36, v36
	s_nop 0
	v_fma_f32 v42, v36, -2.0, 1.0
.LBB30_508:                             ;   in Loop: Header=BB30_498 Depth=1
	s_andn2_saveexec_b64 s[46:47], s[46:47]
; %bb.509:                              ;   in Loop: Header=BB30_498 Depth=1
	v_mul_f32_e32 v36, v34, v34
	v_fmamk_f32 v37, v36, 0xbbbac73d, v151
	v_fmaak_f32 v37, v36, v37, 0xbd5c1c4e
	v_fmaak_f32 v37, v36, v37, 0x3e088382
	;; [unrolled: 1-line block ×3, first 2 shown]
	v_mul_f32_e64 v37, |v34|, v37
	v_fma_f32 v42, v36, v37, |v34|
; %bb.510:                              ;   in Loop: Header=BB30_498 Depth=1
	s_or_b64 exec, exec, s[46:47]
	v_cmp_nlt_f32_e64 s[46:47], |v35|, s40
                                        ; implicit-def: $vgpr43
	s_and_saveexec_b64 s[58:59], s[46:47]
	s_xor_b64 s[46:47], exec, s[58:59]
	s_cbranch_execz .LBB30_512
; %bb.511:                              ;   in Loop: Header=BB30_498 Depth=1
	v_add_f32_e64 v36, |v35|, |v35|
	v_mul_f32_e32 v37, 0x3fb8aa3b, v36
	v_rndne_f32_e32 v38, v37
	v_sub_f32_e32 v39, v37, v38
	v_fma_f32 v37, v36, s52, -v37
	v_fmac_f32_e32 v37, 0x32a5705f, v36
	v_add_f32_e32 v37, v39, v37
	v_cvt_i32_f32_e32 v38, v38
	v_exp_f32_e32 v37, v37
	v_cmp_ngt_f32_e32 vcc, s53, v36
	v_ldexp_f32 v37, v37, v38
	s_nop 0
	v_cndmask_b32_e32 v37, 0, v37, vcc
	v_cmp_nlt_f32_e32 vcc, s54, v36
	s_nop 1
	v_cndmask_b32_e32 v36, v155, v37, vcc
	v_add_f32_e32 v36, 1.0, v36
	v_rcp_f32_e32 v36, v36
	s_nop 0
	v_fma_f32 v43, v36, -2.0, 1.0
.LBB30_512:                             ;   in Loop: Header=BB30_498 Depth=1
	s_andn2_saveexec_b64 s[46:47], s[46:47]
; %bb.513:                              ;   in Loop: Header=BB30_498 Depth=1
	v_mul_f32_e32 v36, v35, v35
	v_fmamk_f32 v37, v36, 0xbbbac73d, v151
	v_fmaak_f32 v37, v36, v37, 0xbd5c1c4e
	v_fmaak_f32 v37, v36, v37, 0x3e088382
	;; [unrolled: 1-line block ×3, first 2 shown]
	v_mul_f32_e64 v37, |v35|, v37
	v_fma_f32 v43, v36, v37, |v35|
; %bb.514:                              ;   in Loop: Header=BB30_498 Depth=1
	s_or_b64 exec, exec, s[46:47]
	v_accvgpr_read_b32 v39, a3
	v_accvgpr_read_b32 v36, a0
	;; [unrolled: 1-line block ×4, first 2 shown]
	v_cmp_nlt_f32_e64 s[46:47], |v36|, s40
                                        ; implicit-def: $vgpr44
	s_and_saveexec_b64 s[58:59], s[46:47]
	s_xor_b64 s[46:47], exec, s[58:59]
	s_cbranch_execz .LBB30_516
; %bb.515:                              ;   in Loop: Header=BB30_498 Depth=1
	v_add_f32_e64 v44, |v36|, |v36|
	v_mul_f32_e32 v45, 0x3fb8aa3b, v44
	v_rndne_f32_e32 v46, v45
	v_sub_f32_e32 v47, v45, v46
	v_fma_f32 v45, v44, s52, -v45
	v_fmac_f32_e32 v45, 0x32a5705f, v44
	v_add_f32_e32 v45, v47, v45
	v_cvt_i32_f32_e32 v46, v46
	v_exp_f32_e32 v45, v45
	v_cmp_ngt_f32_e32 vcc, s53, v44
	v_ldexp_f32 v45, v45, v46
	s_nop 0
	v_cndmask_b32_e32 v45, 0, v45, vcc
	v_cmp_nlt_f32_e32 vcc, s54, v44
	s_nop 1
	v_cndmask_b32_e32 v44, v155, v45, vcc
	v_add_f32_e32 v44, 1.0, v44
	v_rcp_f32_e32 v44, v44
	s_nop 0
	v_fma_f32 v44, v44, -2.0, 1.0
.LBB30_516:                             ;   in Loop: Header=BB30_498 Depth=1
	s_andn2_saveexec_b64 s[46:47], s[46:47]
; %bb.517:                              ;   in Loop: Header=BB30_498 Depth=1
	v_mul_f32_e32 v44, v36, v36
	v_fmamk_f32 v45, v44, 0xbbbac73d, v151
	v_fmaak_f32 v45, v44, v45, 0xbd5c1c4e
	v_fmaak_f32 v45, v44, v45, 0x3e088382
	;; [unrolled: 1-line block ×3, first 2 shown]
	v_mul_f32_e64 v45, |v36|, v45
	v_fma_f32 v44, v44, v45, |v36|
; %bb.518:                              ;   in Loop: Header=BB30_498 Depth=1
	s_or_b64 exec, exec, s[46:47]
	v_cmp_nlt_f32_e64 s[46:47], |v37|, s40
                                        ; implicit-def: $vgpr45
	s_and_saveexec_b64 s[58:59], s[46:47]
	s_xor_b64 s[46:47], exec, s[58:59]
	s_cbranch_execz .LBB30_520
; %bb.519:                              ;   in Loop: Header=BB30_498 Depth=1
	v_add_f32_e64 v45, |v37|, |v37|
	v_mul_f32_e32 v46, 0x3fb8aa3b, v45
	v_rndne_f32_e32 v47, v46
	v_sub_f32_e32 v48, v46, v47
	v_fma_f32 v46, v45, s52, -v46
	v_fmac_f32_e32 v46, 0x32a5705f, v45
	v_add_f32_e32 v46, v48, v46
	v_cvt_i32_f32_e32 v47, v47
	v_exp_f32_e32 v46, v46
	v_cmp_ngt_f32_e32 vcc, s53, v45
	v_ldexp_f32 v46, v46, v47
	s_nop 0
	v_cndmask_b32_e32 v46, 0, v46, vcc
	v_cmp_nlt_f32_e32 vcc, s54, v45
	s_nop 1
	v_cndmask_b32_e32 v45, v155, v46, vcc
	v_add_f32_e32 v45, 1.0, v45
	v_rcp_f32_e32 v45, v45
	s_nop 0
	v_fma_f32 v45, v45, -2.0, 1.0
.LBB30_520:                             ;   in Loop: Header=BB30_498 Depth=1
	s_andn2_saveexec_b64 s[46:47], s[46:47]
; %bb.521:                              ;   in Loop: Header=BB30_498 Depth=1
	v_mul_f32_e32 v45, v37, v37
	v_fmamk_f32 v46, v45, 0xbbbac73d, v151
	v_fmaak_f32 v46, v45, v46, 0xbd5c1c4e
	v_fmaak_f32 v46, v45, v46, 0x3e088382
	;; [unrolled: 1-line block ×3, first 2 shown]
	v_mul_f32_e64 v46, |v37|, v46
	v_fma_f32 v45, v45, v46, |v37|
; %bb.522:                              ;   in Loop: Header=BB30_498 Depth=1
	s_or_b64 exec, exec, s[46:47]
	v_cmp_nlt_f32_e64 s[46:47], |v38|, s40
                                        ; implicit-def: $vgpr46
	s_and_saveexec_b64 s[58:59], s[46:47]
	s_xor_b64 s[46:47], exec, s[58:59]
	s_cbranch_execz .LBB30_524
; %bb.523:                              ;   in Loop: Header=BB30_498 Depth=1
	v_add_f32_e64 v46, |v38|, |v38|
	v_mul_f32_e32 v47, 0x3fb8aa3b, v46
	v_rndne_f32_e32 v48, v47
	v_sub_f32_e32 v49, v47, v48
	v_fma_f32 v47, v46, s52, -v47
	v_fmac_f32_e32 v47, 0x32a5705f, v46
	v_add_f32_e32 v47, v49, v47
	v_cvt_i32_f32_e32 v48, v48
	v_exp_f32_e32 v47, v47
	v_cmp_ngt_f32_e32 vcc, s53, v46
	v_ldexp_f32 v47, v47, v48
	s_nop 0
	v_cndmask_b32_e32 v47, 0, v47, vcc
	v_cmp_nlt_f32_e32 vcc, s54, v46
	s_nop 1
	v_cndmask_b32_e32 v46, v155, v47, vcc
	v_add_f32_e32 v46, 1.0, v46
	v_rcp_f32_e32 v46, v46
	s_nop 0
	v_fma_f32 v46, v46, -2.0, 1.0
.LBB30_524:                             ;   in Loop: Header=BB30_498 Depth=1
	s_andn2_saveexec_b64 s[46:47], s[46:47]
; %bb.525:                              ;   in Loop: Header=BB30_498 Depth=1
	v_mul_f32_e32 v46, v38, v38
	v_fmamk_f32 v47, v46, 0xbbbac73d, v151
	v_fmaak_f32 v47, v46, v47, 0xbd5c1c4e
	v_fmaak_f32 v47, v46, v47, 0x3e088382
	v_fmaak_f32 v47, v46, v47, 0xbeaaaa99
	v_mul_f32_e64 v47, |v38|, v47
	v_fma_f32 v46, v46, v47, |v38|
; %bb.526:                              ;   in Loop: Header=BB30_498 Depth=1
	s_or_b64 exec, exec, s[46:47]
	v_cmp_nlt_f32_e64 s[46:47], |v39|, s40
                                        ; implicit-def: $vgpr47
	s_and_saveexec_b64 s[58:59], s[46:47]
	s_xor_b64 s[46:47], exec, s[58:59]
	s_cbranch_execz .LBB30_528
; %bb.527:                              ;   in Loop: Header=BB30_498 Depth=1
	v_add_f32_e64 v47, |v39|, |v39|
	v_mul_f32_e32 v48, 0x3fb8aa3b, v47
	v_rndne_f32_e32 v49, v48
	v_sub_f32_e32 v50, v48, v49
	v_fma_f32 v48, v47, s52, -v48
	v_fmac_f32_e32 v48, 0x32a5705f, v47
	v_add_f32_e32 v48, v50, v48
	v_cvt_i32_f32_e32 v49, v49
	v_exp_f32_e32 v48, v48
	v_cmp_ngt_f32_e32 vcc, s53, v47
	v_ldexp_f32 v48, v48, v49
	s_nop 0
	v_cndmask_b32_e32 v48, 0, v48, vcc
	v_cmp_nlt_f32_e32 vcc, s54, v47
	s_nop 1
	v_cndmask_b32_e32 v47, v155, v48, vcc
	v_add_f32_e32 v47, 1.0, v47
	v_rcp_f32_e32 v47, v47
	s_nop 0
	v_fma_f32 v47, v47, -2.0, 1.0
.LBB30_528:                             ;   in Loop: Header=BB30_498 Depth=1
	s_andn2_saveexec_b64 s[46:47], s[46:47]
; %bb.529:                              ;   in Loop: Header=BB30_498 Depth=1
	v_mul_f32_e32 v47, v39, v39
	v_fmamk_f32 v48, v47, 0xbbbac73d, v151
	v_fmaak_f32 v48, v47, v48, 0xbd5c1c4e
	v_fmaak_f32 v48, v47, v48, 0x3e088382
	;; [unrolled: 1-line block ×3, first 2 shown]
	v_mul_f32_e64 v48, |v39|, v48
	v_fma_f32 v47, v47, v48, |v39|
; %bb.530:                              ;   in Loop: Header=BB30_498 Depth=1
	s_or_b64 exec, exec, s[46:47]
	v_bfi_b32 v36, s55, v44, v36
	v_bfi_b32 v32, s55, v32, v33
	v_mul_f32_e32 v44, s3, v36
	v_bfi_b32 v36, s55, v45, v37
	v_mul_f32_e32 v49, s3, v32
	;; [unrolled: 2-line block ×7, first 2 shown]
	v_mul_f32_e32 v47, s3, v32
	s_and_b64 vcc, exec, s[42:43]
	s_cbranch_vccz .LBB30_535
; %bb.531:                              ;   in Loop: Header=BB30_498 Depth=1
	ds_read2_b32 v[32:33], v152 offset1:1
	ds_read_b32 v36, v147 offset:33792
	ds_read_b32 v37, v148 offset:33792
	v_mov_b32_e32 v53, v52
	s_waitcnt lgkmcnt(2)
	v_cvt_f32_f16_e32 v34, v32
	v_cvt_f32_f16_sdwa v35, v32 dst_sel:DWORD dst_unused:UNUSED_PAD src0_sel:WORD_1
	v_cvt_f32_f16_e32 v32, v33
	v_cvt_f32_f16_sdwa v33, v33 dst_sel:DWORD dst_unused:UNUSED_PAD src0_sel:WORD_1
	s_waitcnt lgkmcnt(1)
	v_cvt_f32_f16_sdwa v39, v36 dst_sel:DWORD dst_unused:UNUSED_PAD src0_sel:WORD_1
	s_waitcnt lgkmcnt(0)
	v_cvt_f32_f16_sdwa v41, v37 dst_sel:DWORD dst_unused:UNUSED_PAD src0_sel:WORD_1
	v_cvt_f32_f16_e32 v40, v37
	v_cvt_f32_f16_e32 v38, v36
	v_pk_fma_f32 v[36:37], v[52:53], v[32:33], v[50:51]
	v_pk_fma_f32 v[34:35], v[110:111], v[34:35], v[48:49]
	;; [unrolled: 1-line block ×4, first 2 shown]
	s_cbranch_execnz .LBB30_533
.LBB30_532:                             ;   in Loop: Header=BB30_498 Depth=1
	v_mov_b64_e32 v[40:41], v[44:45]
	v_mov_b64_e32 v[34:35], v[48:49]
	;; [unrolled: 1-line block ×4, first 2 shown]
.LBB30_533:                             ;   in Loop: Header=BB30_498 Depth=1
	v_add_f32_e32 v32, 0x40051340, v34
	v_max_f32_e32 v33, v183, v183
	v_max_f32_e32 v32, v33, v32
	v_cndmask_b32_e64 v32, v183, v32, s[18:19]
	v_add_f32_e32 v33, 0x40051340, v35
	v_max_f32_e32 v38, v32, v32
	v_max_f32_e32 v33, v38, v33
	v_cndmask_b32_e64 v32, v32, v33, s[20:21]
	;; [unrolled: 4-line block ×8, first 2 shown]
	ds_bpermute_b32 v33, v137, v32
	v_max_f32_e32 v32, v32, v32
	s_mul_hi_i32 s47, s44, s98
	s_mul_i32 s46, s44, s98
	s_lshl_b64 s[46:47], s[46:47], 2
	s_waitcnt lgkmcnt(0)
	v_max_f32_e32 v33, v33, v33
	v_max_f32_e32 v32, v32, v33
	ds_bpermute_b32 v33, v138, v32
	s_add_u32 s46, s33, s46
	s_addc_u32 s47, s48, s47
	scratch_store_dwordx4 off, v[208:211], off
	s_add_i32 s50, s50, 1
	s_waitcnt lgkmcnt(0)
	v_max_f32_e32 v33, v33, v33
	v_max_f32_e32 v46, v32, v33
	v_sub_f32_e32 v32, v34, v46
	v_mul_f32_e32 v33, 0x3fb8aa3b, v32
	v_fma_f32 v34, v32, s52, -v33
	v_rndne_f32_e32 v38, v33
	v_fmac_f32_e32 v34, 0x32a5705f, v32
	v_sub_f32_e32 v33, v33, v38
	v_add_f32_e32 v33, v33, v34
	v_exp_f32_e32 v33, v33
	v_cvt_i32_f32_e32 v34, v38
	v_cmp_ngt_f32_e32 vcc, s53, v32
	s_add_i32 s44, s44, 64
	v_ldexp_f32 v33, v33, v34
	v_cndmask_b32_e32 v33, 0, v33, vcc
	v_cmp_nlt_f32_e32 vcc, s54, v32
	s_nop 1
	v_cndmask_b32_e32 v32, v155, v33, vcc
	v_cndmask_b32_e64 v34, 0, v32, s[18:19]
	v_sub_f32_e32 v32, v35, v46
	v_mul_f32_e32 v33, 0x3fb8aa3b, v32
	v_fma_f32 v35, v32, s52, -v33
	v_rndne_f32_e32 v38, v33
	v_fmac_f32_e32 v35, 0x32a5705f, v32
	v_sub_f32_e32 v33, v33, v38
	v_add_f32_e32 v33, v33, v35
	v_exp_f32_e32 v33, v33
	v_cvt_i32_f32_e32 v35, v38
	v_cmp_ngt_f32_e32 vcc, s53, v32
	v_ldexp_f32 v33, v33, v35
	s_nop 0
	v_cndmask_b32_e32 v33, 0, v33, vcc
	v_cmp_nlt_f32_e32 vcc, s54, v32
	s_nop 1
	v_cndmask_b32_e32 v32, v155, v33, vcc
	v_mov_b32_e32 v33, s51
	v_add_f32_e32 v38, v32, v34
	v_cndmask_b32_e64 v35, v33, v32, s[20:21]
	v_sub_f32_e32 v32, v36, v46
	v_mul_f32_e32 v36, 0x3fb8aa3b, v32
	v_cndmask_b32_e64 v33, v34, v38, s[20:21]
	v_fma_f32 v38, v32, s52, -v36
	v_rndne_f32_e32 v39, v36
	v_fmac_f32_e32 v38, 0x32a5705f, v32
	v_sub_f32_e32 v36, v36, v39
	v_add_f32_e32 v36, v36, v38
	v_exp_f32_e32 v36, v36
	v_cvt_i32_f32_e32 v38, v39
	v_cmp_ngt_f32_e32 vcc, s53, v32
	v_ldexp_f32 v36, v36, v38
	s_nop 0
	v_cndmask_b32_e32 v36, 0, v36, vcc
	v_cmp_nlt_f32_e32 vcc, s54, v32
	v_mov_b32_e32 v32, s51
	s_nop 0
	v_cndmask_b32_e32 v36, v155, v36, vcc
	v_add_f32_e32 v39, v33, v36
	v_cndmask_b32_e64 v38, v32, v36, s[22:23]
	v_cndmask_b32_e64 v32, v33, v39, s[22:23]
	v_sub_f32_e32 v33, v37, v46
	v_mul_f32_e32 v36, 0x3fb8aa3b, v33
	v_fma_f32 v37, v33, s52, -v36
	v_rndne_f32_e32 v39, v36
	v_fmac_f32_e32 v37, 0x32a5705f, v33
	v_sub_f32_e32 v36, v36, v39
	v_add_f32_e32 v36, v36, v37
	v_exp_f32_e32 v36, v36
	v_cvt_i32_f32_e32 v37, v39
	v_cmp_ngt_f32_e32 vcc, s53, v33
	v_ldexp_f32 v36, v36, v37
	s_nop 0
	v_cndmask_b32_e32 v36, 0, v36, vcc
	v_cmp_nlt_f32_e32 vcc, s54, v33
	v_mov_b32_e32 v33, s51
	s_nop 0
	v_cndmask_b32_e32 v36, v155, v36, vcc
	v_add_f32_e32 v37, v32, v36
	v_cndmask_b32_e64 v39, v33, v36, s[24:25]
	v_cndmask_b32_e64 v33, v32, v37, s[24:25]
	v_sub_f32_e32 v32, v40, v46
	v_mul_f32_e32 v36, 0x3fb8aa3b, v32
	v_fma_f32 v37, v32, s52, -v36
	v_rndne_f32_e32 v40, v36
	v_fmac_f32_e32 v37, 0x32a5705f, v32
	v_sub_f32_e32 v36, v36, v40
	v_add_f32_e32 v36, v36, v37
	v_exp_f32_e32 v36, v36
	v_cvt_i32_f32_e32 v37, v40
	v_cmp_ngt_f32_e32 vcc, s53, v32
	v_cvt_pk_f16_f32 v39, v38, v39
	v_cvt_pk_f16_f32 v38, v34, v35
	v_ldexp_f32 v36, v36, v37
	v_cndmask_b32_e32 v36, 0, v36, vcc
	v_cmp_nlt_f32_e32 vcc, s54, v32
	v_mov_b32_e32 v32, s51
	s_nop 0
	v_cndmask_b32_e32 v36, v155, v36, vcc
	v_add_f32_e32 v37, v36, v33
	v_cndmask_b32_e64 v32, v32, v36, s[26:27]
	v_cndmask_b32_e64 v36, v33, v37, s[26:27]
	v_sub_f32_e32 v33, v41, v46
	v_mul_f32_e32 v37, 0x3fb8aa3b, v33
	v_fma_f32 v40, v33, s52, -v37
	v_rndne_f32_e32 v41, v37
	v_fmac_f32_e32 v40, 0x32a5705f, v33
	v_sub_f32_e32 v37, v37, v41
	v_add_f32_e32 v37, v37, v40
	v_exp_f32_e32 v37, v37
	v_cvt_i32_f32_e32 v40, v41
	v_cmp_ngt_f32_e32 vcc, s53, v33
	v_ldexp_f32 v37, v37, v40
	s_nop 0
	v_cndmask_b32_e32 v37, 0, v37, vcc
	v_cmp_nlt_f32_e32 vcc, s54, v33
	v_mov_b32_e32 v33, s51
	s_nop 0
	v_cndmask_b32_e32 v37, v155, v37, vcc
	v_add_f32_e32 v40, v37, v36
	v_cndmask_b32_e64 v33, v33, v37, s[28:29]
	v_cndmask_b32_e64 v37, v36, v40, s[28:29]
	v_sub_f32_e32 v36, v42, v46
	v_mul_f32_e32 v40, 0x3fb8aa3b, v36
	v_fma_f32 v41, v36, s52, -v40
	v_rndne_f32_e32 v42, v40
	v_fmac_f32_e32 v41, 0x32a5705f, v36
	v_sub_f32_e32 v40, v40, v42
	v_add_f32_e32 v40, v40, v41
	v_exp_f32_e32 v40, v40
	v_cvt_i32_f32_e32 v41, v42
	v_cmp_ngt_f32_e32 vcc, s53, v36
	v_ldexp_f32 v40, v40, v41
	s_nop 0
	;; [unrolled: 20-line block ×4, first 2 shown]
	v_cndmask_b32_e32 v41, 0, v41, vcc
	v_cmp_nlt_f32_e32 vcc, s54, v40
	v_lshl_add_u64 v[42:43], v[108:109], 2, s[46:47]
	v_lshl_add_u64 v[42:43], v[42:43], 0, v[56:57]
	v_cndmask_b32_e32 v41, v155, v41, vcc
	v_cmp_le_f32_e32 vcc, s56, v40
	v_cndmask_b32_e64 v42, v154, v42, s[16:17]
	s_nop 0
	v_cndmask_b32_e32 v40, 0, v41, vcc
	v_fmac_f32_e32 v37, v184, v40
	v_cvt_f16_f32_e32 v40, v40
	v_cmp_lt_i32_e32 vcc, s50, v129
	s_and_b64 vcc, exec, vcc
	v_mul_u32_u24_e32 v40, 0x10001, v40
	v_pk_mul_f16 v183, v171, v40
	v_pk_mul_f16 v171, v168, v40
	;; [unrolled: 1-line block ×32, first 2 shown]
	v_lshl_add_u64 v[40:41], v[94:95], 2, s[46:47]
	v_lshl_add_u64 v[40:41], v[40:41], 0, v[56:57]
	v_mov_b32_e32 v167, s41
	v_cndmask_b32_e64 v177, v167, v41, s[36:37]
	v_cndmask_b32_e64 v176, v154, v40, s[36:37]
	flat_load_dwordx4 v[176:179], v[176:177]
	v_lshl_add_u64 v[40:41], v[96:97], 2, s[46:47]
	v_lshl_add_u64 v[40:41], v[40:41], 0, v[56:57]
	v_cndmask_b32_e64 v195, v167, v41, s[4:5]
	v_cndmask_b32_e64 v194, v154, v40, s[4:5]
	v_lshl_add_u64 v[40:41], v[98:99], 2, s[46:47]
	v_lshl_add_u64 v[40:41], v[40:41], 0, v[56:57]
	v_cndmask_b32_e64 v197, v167, v41, s[6:7]
	v_cndmask_b32_e64 v196, v154, v40, s[6:7]
	;; [unrolled: 4-line block ×6, first 2 shown]
	v_cndmask_b32_e64 v43, v167, v43, s[16:17]
	v_cvt_f32_f16_e32 v202, v158
	v_cvt_f32_f16_sdwa v203, v158 dst_sel:DWORD dst_unused:UNUSED_PAD src0_sel:WORD_1
	v_cvt_f32_f16_e32 v204, v156
	v_cvt_f32_f16_sdwa v205, v156 dst_sel:DWORD dst_unused:UNUSED_PAD src0_sel:WORD_1
	;; [unrolled: 2-line block ×5, first 2 shown]
	s_waitcnt vmcnt(0) lgkmcnt(0)
	ds_write_b128 v139, v[176:179]
	flat_load_dwordx4 v[176:179], v[194:195]
	s_waitcnt vmcnt(0) lgkmcnt(0)
	ds_write_b128 v140, v[176:179]
	flat_load_dwordx4 v[176:179], v[196:197]
	;; [unrolled: 3-line block ×3, first 2 shown]
	v_cvt_f32_f16_e32 v198, v173
	v_cvt_f32_f16_sdwa v173, v173 dst_sel:DWORD dst_unused:UNUSED_PAD src0_sel:WORD_1
	s_waitcnt vmcnt(0) lgkmcnt(0)
	ds_write_b128 v142, v[176:179]
	flat_load_dwordx4 v[176:179], v[200:201]
	v_cvt_f32_f16_e32 v200, v160
	v_cvt_f32_f16_sdwa v201, v160 dst_sel:DWORD dst_unused:UNUSED_PAD src0_sel:WORD_1
	s_waitcnt vmcnt(0) lgkmcnt(0)
	ds_write_b128 v143, v[176:179]
	flat_load_dwordx4 v[176:179], v[44:45]
	v_cvt_f32_f16_e32 v44, v171
	v_cvt_f32_f16_sdwa v45, v171 dst_sel:DWORD dst_unused:UNUSED_PAD src0_sel:WORD_1
	v_accvgpr_write_b32 a2, v44
	v_accvgpr_write_b32 a3, v45
	s_waitcnt vmcnt(0) lgkmcnt(0)
	ds_write_b128 v144, v[176:179]
	flat_load_dwordx4 v[176:179], v[40:41]
	s_waitcnt vmcnt(0) lgkmcnt(0)
	ds_write_b128 v145, v[176:179]
	flat_load_dwordx4 v[40:43], v[42:43]
	v_cvt_f32_f16_e32 v179, v169
	v_cvt_f32_f16_sdwa v169, v169 dst_sel:DWORD dst_unused:UNUSED_PAD src0_sel:WORD_1
	s_waitcnt vmcnt(0) lgkmcnt(0)
	ds_write_b128 v146, v[40:43]
	s_waitcnt lgkmcnt(0)
	s_barrier
	ds_read_u16 v40, v149 offset:528
	ds_read_u16 v41, v149 offset:1056
	ds_read_u16 v167, v149
	ds_read_u16 v171, v149 offset:32
	v_cvt_f32_f16_e32 v42, v183
	v_cvt_f32_f16_sdwa v43, v183 dst_sel:DWORD dst_unused:UNUSED_PAD src0_sel:WORD_1
	s_waitcnt lgkmcnt(1)
	v_perm_b32 v40, v40, v167, s57
	ds_read_u16 v167, v153
	ds_read_u16 v175, v153 offset:32
	v_accvgpr_write_b32 a0, v42
	v_accvgpr_write_b32 a1, v43
	ds_read_u16 v42, v149 offset:16896
	ds_read_u16 v43, v149 offset:17424
	;; [unrolled: 1-line block ×4, first 2 shown]
	s_waitcnt lgkmcnt(5)
	v_perm_b32 v41, v167, v41, s57
	s_nop 1
	v_mfma_f32_16x16x16_f16 a[0:3], v[40:41], v[38:39], a[0:3]
	s_nop 7
	v_accvgpr_read_b32 v34, a0
	v_accvgpr_read_b32 v35, a1
	;; [unrolled: 1-line block ×4, first 2 shown]
	v_cvt_f16_f32_e32 v34, v34
	v_cvt_f16_f32_e32 v35, v35
	;; [unrolled: 1-line block ×4, first 2 shown]
	v_cvt_f32_f16_e32 v167, v34
	v_cvt_f32_f16_e32 v176, v35
	;; [unrolled: 1-line block ×4, first 2 shown]
	s_waitcnt lgkmcnt(2)
	v_perm_b32 v40, v43, v42, s57
	s_waitcnt lgkmcnt(0)
	v_perm_b32 v41, v45, v44, s57
	v_cvt_pk_f16_f32 v35, v36, v172
	v_cvt_pk_f16_f32 v34, v32, v33
	v_accvgpr_write_b32 a0, v167
	v_accvgpr_write_b32 a1, v176
	;; [unrolled: 1-line block ×4, first 2 shown]
	v_cvt_f32_f16_e32 v44, v168
	v_cvt_f32_f16_sdwa v45, v168 dst_sel:DWORD dst_unused:UNUSED_PAD src0_sel:WORD_1
	v_mfma_f32_16x16x16_f16 a[0:3], v[40:41], v[34:35], a[0:3]
	ds_read_u16 v41, v149 offset:560
	ds_read_u16 v43, v149 offset:1088
	v_cvt_f32_f16_e32 v167, v164
	v_cvt_f32_f16_sdwa v164, v164 dst_sel:DWORD dst_unused:UNUSED_PAD src0_sel:WORD_1
	v_cvt_f32_f16_sdwa v176, v162 dst_sel:DWORD dst_unused:UNUSED_PAD src0_sel:WORD_1
	s_waitcnt lgkmcnt(1)
	v_perm_b32 v42, v41, v171, s57
	s_waitcnt lgkmcnt(0)
	v_perm_b32 v43, v175, v43, s57
	v_cvt_f32_f16_e32 v175, v162
	v_accvgpr_read_b32 v32, a0
	v_accvgpr_read_b32 v33, a1
	;; [unrolled: 1-line block ×4, first 2 shown]
	v_accvgpr_write_b32 a0, v44
	v_accvgpr_write_b32 a1, v45
	;; [unrolled: 1-line block ×4, first 2 shown]
	ds_read_u16 v45, v149 offset:16928
	ds_read_u16 v164, v149 offset:17456
	;; [unrolled: 1-line block ×4, first 2 shown]
	v_mfma_f32_16x16x16_f16 a[0:3], v[42:43], v[38:39], a[0:3]
	v_cvt_f32_f16_e32 v177, v165
	v_cvt_f32_f16_sdwa v165, v165 dst_sel:DWORD dst_unused:UNUSED_PAD src0_sel:WORD_1
	s_nop 5
	v_accvgpr_read_b32 v41, a0
	v_accvgpr_read_b32 v42, a1
	v_accvgpr_read_b32 v43, a2
	v_accvgpr_read_b32 v44, a3
	v_cvt_f16_f32_e32 v41, v41
	v_cvt_f16_f32_e32 v42, v42
	v_cvt_f16_f32_e32 v43, v43
	v_cvt_f16_f32_e32 v44, v44
	v_cvt_f32_f16_e32 v41, v41
	v_cvt_f32_f16_e32 v171, v42
	v_cvt_f32_f16_e32 v172, v43
	v_cvt_f32_f16_e32 v44, v44
	s_waitcnt lgkmcnt(2)
	v_perm_b32 v42, v164, v45, s57
	s_waitcnt lgkmcnt(0)
	v_perm_b32 v43, v168, v167, s57
	ds_read_u16 v45, v149 offset:64
	ds_read_u16 v164, v149 offset:592
	ds_read_u16 v167, v149 offset:1120
	ds_read_u16 v168, v153 offset:64
	v_accvgpr_write_b32 a0, v41
	v_accvgpr_write_b32 a1, v171
	v_accvgpr_write_b32 a2, v172
	v_accvgpr_write_b32 a3, v44
	v_cvt_f32_f16_e32 v171, v163
	v_cvt_f32_f16_sdwa v172, v163 dst_sel:DWORD dst_unused:UNUSED_PAD src0_sel:WORD_1
	v_mfma_f32_16x16x16_f16 a[0:3], v[42:43], v[34:35], a[0:3]
	s_waitcnt lgkmcnt(2)
	v_perm_b32 v162, v164, v45, s57
	s_waitcnt lgkmcnt(0)
	v_perm_b32 v163, v168, v167, s57
	s_nop 3
	v_accvgpr_read_b32 v41, a0
	v_accvgpr_read_b32 v42, a1
	v_accvgpr_read_b32 v43, a2
	v_accvgpr_read_b32 v44, a3
	v_accvgpr_write_b32 a0, v171
	v_accvgpr_write_b32 a1, v172
	v_accvgpr_write_b32 a2, v175
	v_accvgpr_write_b32 a3, v176
	ds_read_u16 v167, v149 offset:16960
	ds_read_u16 v168, v149 offset:17488
	ds_read_u16 v171, v149 offset:18016
	ds_read_u16 v172, v153 offset:16960
	v_mfma_f32_16x16x16_f16 a[0:3], v[162:163], v[38:39], a[0:3]
	s_nop 7
	v_accvgpr_read_b32 v45, a0
	v_accvgpr_read_b32 v162, a1
	v_accvgpr_read_b32 v163, a2
	v_accvgpr_read_b32 v164, a3
	v_cvt_f16_f32_e32 v45, v45
	v_cvt_f16_f32_e32 v162, v162
	v_cvt_f16_f32_e32 v163, v163
	v_cvt_f16_f32_e32 v164, v164
	v_cvt_f32_f16_e32 v45, v45
	v_cvt_f32_f16_e32 v175, v162
	v_cvt_f32_f16_e32 v176, v163
	v_cvt_f32_f16_e32 v164, v164
	s_waitcnt lgkmcnt(2)
	v_perm_b32 v162, v168, v167, s57
	s_waitcnt lgkmcnt(0)
	v_perm_b32 v163, v172, v171, s57
	ds_read_u16 v167, v149 offset:96
	ds_read_u16 v168, v149 offset:624
	ds_read_u16 v171, v149 offset:1152
	ds_read_u16 v172, v153 offset:96
	v_accvgpr_write_b32 a0, v45
	v_accvgpr_write_b32 a1, v175
	v_accvgpr_write_b32 a2, v176
	v_accvgpr_write_b32 a3, v164
	v_cvt_f32_f16_e32 v175, v166
	v_cvt_f32_f16_sdwa v176, v166 dst_sel:DWORD dst_unused:UNUSED_PAD src0_sel:WORD_1
	v_mfma_f32_16x16x16_f16 a[0:3], v[162:163], v[34:35], a[0:3]
	s_waitcnt lgkmcnt(2)
	v_perm_b32 v166, v168, v167, s57
	s_waitcnt lgkmcnt(0)
	v_perm_b32 v167, v172, v171, s57
	s_nop 3
	v_accvgpr_read_b32 v45, a0
	v_accvgpr_read_b32 v162, a1
	v_accvgpr_read_b32 v163, a2
	v_accvgpr_read_b32 v164, a3
	v_accvgpr_write_b32 a0, v175
	v_accvgpr_write_b32 a1, v176
	v_accvgpr_write_b32 a2, v177
	v_accvgpr_write_b32 a3, v165
	ds_read_u16 v171, v149 offset:16992
	ds_read_u16 v172, v149 offset:17520
	ds_read_u16 v175, v149 offset:18048
	ds_read_u16 v176, v153 offset:16992
	v_mfma_f32_16x16x16_f16 a[0:3], v[166:167], v[38:39], a[0:3]
	;; [unrolled: 46-line block ×3, first 2 shown]
	v_cvt_pk_f16_f32 v166, v165, v166
	v_cvt_pk_f16_f32 v165, v167, v168
	;; [unrolled: 1-line block ×7, first 2 shown]
	s_nop 0
	v_accvgpr_read_b32 v169, a0
	v_accvgpr_read_b32 v170, a1
	;; [unrolled: 1-line block ×4, first 2 shown]
	v_cvt_f16_f32_e32 v169, v169
	v_cvt_f16_f32_e32 v170, v170
	;; [unrolled: 1-line block ×4, first 2 shown]
	v_cvt_f32_f16_e32 v169, v169
	v_cvt_f32_f16_e32 v179, v170
	;; [unrolled: 1-line block ×4, first 2 shown]
	s_waitcnt lgkmcnt(2)
	v_perm_b32 v170, v176, v175, s57
	s_waitcnt lgkmcnt(0)
	v_perm_b32 v171, v178, v177, s57
	ds_read_u16 v175, v149 offset:160
	ds_read_u16 v176, v149 offset:688
	;; [unrolled: 1-line block ×4, first 2 shown]
	v_accvgpr_write_b32 a0, v169
	v_accvgpr_write_b32 a1, v179
	;; [unrolled: 1-line block ×4, first 2 shown]
	v_cvt_f32_f16_e32 v179, v182
	v_cvt_f32_f16_sdwa v180, v182 dst_sel:DWORD dst_unused:UNUSED_PAD src0_sel:WORD_1
	v_mfma_f32_16x16x16_f16 a[0:3], v[170:171], v[34:35], a[0:3]
	v_cvt_f32_f16_e32 v182, v181
	v_cvt_f32_f16_sdwa v181, v181 dst_sel:DWORD dst_unused:UNUSED_PAD src0_sel:WORD_1
	s_waitcnt lgkmcnt(2)
	v_perm_b32 v176, v176, v175, s57
	s_waitcnt lgkmcnt(0)
	v_perm_b32 v177, v178, v177, s57
	s_nop 1
	v_accvgpr_read_b32 v169, a0
	v_accvgpr_read_b32 v170, a1
	;; [unrolled: 1-line block ×4, first 2 shown]
	v_accvgpr_write_b32 a0, v179
	v_accvgpr_write_b32 a1, v180
	;; [unrolled: 1-line block ×4, first 2 shown]
	ds_read_u16 v179, v149 offset:17056
	ds_read_u16 v180, v149 offset:17584
	;; [unrolled: 1-line block ×4, first 2 shown]
	v_mfma_f32_16x16x16_f16 a[0:3], v[176:177], v[38:39], a[0:3]
	v_cvt_pk_f16_f32 v170, v169, v170
	v_cvt_pk_f16_f32 v169, v171, v172
	;; [unrolled: 1-line block ×3, first 2 shown]
	s_nop 4
	v_accvgpr_read_b32 v175, a0
	v_accvgpr_read_b32 v176, a1
	v_accvgpr_read_b32 v177, a2
	v_accvgpr_read_b32 v178, a3
	v_cvt_f16_f32_e32 v175, v175
	v_cvt_f16_f32_e32 v176, v176
	v_cvt_f16_f32_e32 v177, v177
	v_cvt_f16_f32_e32 v178, v178
	v_cvt_f32_f16_e32 v175, v175
	v_cvt_f32_f16_e32 v183, v176
	v_cvt_f32_f16_e32 v184, v177
	v_cvt_f32_f16_e32 v178, v178
	s_waitcnt lgkmcnt(2)
	v_perm_b32 v176, v180, v179, s57
	s_waitcnt lgkmcnt(0)
	v_perm_b32 v177, v182, v181, s57
	v_accvgpr_write_b32 a0, v175
	v_accvgpr_write_b32 a1, v183
	v_accvgpr_write_b32 a2, v184
	v_accvgpr_write_b32 a3, v178
	v_cvt_f32_f16_e32 v179, v190
	v_cvt_f32_f16_sdwa v180, v190 dst_sel:DWORD dst_unused:UNUSED_PAD src0_sel:WORD_1
	v_mfma_f32_16x16x16_f16 a[0:3], v[176:177], v[34:35], a[0:3]
	ds_read_u16 v175, v149 offset:192
	ds_read_u16 v176, v149 offset:720
	ds_read_u16 v177, v149 offset:1248
	ds_read_u16 v178, v153 offset:192
	v_cvt_f32_f16_e32 v190, v189
	v_cvt_f32_f16_sdwa v189, v189 dst_sel:DWORD dst_unused:UNUSED_PAD src0_sel:WORD_1
	s_waitcnt lgkmcnt(2)
	v_perm_b32 v176, v176, v175, s57
	s_waitcnt lgkmcnt(0)
	v_perm_b32 v177, v178, v177, s57
	v_accvgpr_read_b32 v181, a0
	v_accvgpr_read_b32 v182, a1
	v_accvgpr_read_b32 v183, a2
	v_accvgpr_read_b32 v184, a3
	v_accvgpr_write_b32 a0, v179
	v_accvgpr_write_b32 a1, v180
	v_accvgpr_write_b32 a2, v190
	v_accvgpr_write_b32 a3, v189
	ds_read_u16 v179, v149 offset:17088
	ds_read_u16 v180, v149 offset:17616
	ds_read_u16 v189, v149 offset:18144
	ds_read_u16 v190, v153 offset:17088
	v_mfma_f32_16x16x16_f16 a[0:3], v[176:177], v[38:39], a[0:3]
	v_cvt_pk_f16_f32 v182, v181, v182
	v_cvt_pk_f16_f32 v181, v183, v184
	s_nop 5
	v_accvgpr_read_b32 v175, a0
	v_accvgpr_read_b32 v176, a1
	v_accvgpr_read_b32 v177, a2
	v_accvgpr_read_b32 v178, a3
	v_cvt_f16_f32_e32 v175, v175
	v_cvt_f16_f32_e32 v176, v176
	v_cvt_f16_f32_e32 v177, v177
	v_cvt_f16_f32_e32 v178, v178
	v_cvt_f32_f16_e32 v175, v175
	v_cvt_f32_f16_e32 v191, v176
	v_cvt_f32_f16_e32 v193, v177
	v_cvt_f32_f16_e32 v178, v178
	s_waitcnt lgkmcnt(2)
	v_perm_b32 v176, v180, v179, s57
	s_waitcnt lgkmcnt(0)
	v_perm_b32 v177, v190, v189, s57
	v_accvgpr_write_b32 a0, v175
	v_accvgpr_write_b32 a1, v191
	v_accvgpr_write_b32 a2, v193
	v_accvgpr_write_b32 a3, v178
	v_cvt_f32_f16_e32 v179, v188
	v_cvt_f32_f16_sdwa v180, v188 dst_sel:DWORD dst_unused:UNUSED_PAD src0_sel:WORD_1
	v_mfma_f32_16x16x16_f16 a[0:3], v[176:177], v[34:35], a[0:3]
	ds_read_u16 v175, v149 offset:224
	ds_read_u16 v176, v149 offset:752
	ds_read_u16 v177, v149 offset:1280
	ds_read_u16 v178, v153 offset:224
	v_cvt_f32_f16_e32 v188, v187
	v_cvt_f32_f16_sdwa v187, v187 dst_sel:DWORD dst_unused:UNUSED_PAD src0_sel:WORD_1
	s_waitcnt lgkmcnt(2)
	v_perm_b32 v176, v176, v175, s57
	s_waitcnt lgkmcnt(0)
	v_perm_b32 v177, v178, v177, s57
	v_accvgpr_read_b32 v189, a0
	v_accvgpr_read_b32 v190, a1
	v_accvgpr_read_b32 v191, a2
	v_accvgpr_read_b32 v193, a3
	v_accvgpr_write_b32 a0, v179
	v_accvgpr_write_b32 a1, v180
	v_accvgpr_write_b32 a2, v188
	v_accvgpr_write_b32 a3, v187
	ds_read_u16 v179, v149 offset:17120
	ds_read_u16 v180, v149 offset:17648
	ds_read_u16 v187, v149 offset:18176
	ds_read_u16 v188, v153 offset:17120
	v_mfma_f32_16x16x16_f16 a[0:3], v[176:177], v[38:39], a[0:3]
	v_cvt_pk_f16_f32 v190, v189, v190
	v_cvt_pk_f16_f32 v189, v191, v193
	;; [unrolled: 49-line block ×3, first 2 shown]
	s_nop 5
	v_accvgpr_read_b32 v175, a0
	v_accvgpr_read_b32 v176, a1
	;; [unrolled: 1-line block ×4, first 2 shown]
	v_cvt_f16_f32_e32 v175, v175
	v_cvt_f16_f32_e32 v176, v176
	;; [unrolled: 1-line block ×4, first 2 shown]
	v_cvt_f32_f16_e32 v175, v175
	v_cvt_f32_f16_e32 v196, v176
	;; [unrolled: 1-line block ×4, first 2 shown]
	s_waitcnt lgkmcnt(2)
	v_perm_b32 v176, v180, v179, s57
	s_waitcnt lgkmcnt(0)
	v_perm_b32 v177, v186, v185, s57
	v_accvgpr_write_b32 a0, v175
	v_accvgpr_write_b32 a1, v196
	;; [unrolled: 1-line block ×4, first 2 shown]
	v_cvt_f32_f16_e32 v179, v174
	v_cvt_f32_f16_sdwa v180, v174 dst_sel:DWORD dst_unused:UNUSED_PAD src0_sel:WORD_1
	v_mfma_f32_16x16x16_f16 a[0:3], v[176:177], v[34:35], a[0:3]
	ds_read_u16 v175, v149 offset:288
	ds_read_u16 v176, v149 offset:816
	;; [unrolled: 1-line block ×4, first 2 shown]
	s_waitcnt lgkmcnt(2)
	v_perm_b32 v174, v176, v175, s57
	s_waitcnt lgkmcnt(0)
	v_perm_b32 v175, v178, v177, s57
	v_accvgpr_read_b32 v185, a0
	v_accvgpr_read_b32 v186, a1
	;; [unrolled: 1-line block ×4, first 2 shown]
	v_accvgpr_write_b32 a0, v179
	v_accvgpr_write_b32 a1, v180
	;; [unrolled: 1-line block ×4, first 2 shown]
	ds_read_u16 v177, v149 offset:17184
	ds_read_u16 v178, v149 offset:17712
	;; [unrolled: 1-line block ×4, first 2 shown]
	v_mfma_f32_16x16x16_f16 a[0:3], v[174:175], v[38:39], a[0:3]
	v_cvt_pk_f16_f32 v186, v185, v186
	v_cvt_pk_f16_f32 v185, v196, v197
	s_nop 5
	v_accvgpr_read_b32 v173, a0
	v_accvgpr_read_b32 v174, a1
	;; [unrolled: 1-line block ×4, first 2 shown]
	v_cvt_f16_f32_e32 v173, v173
	v_cvt_f16_f32_e32 v174, v174
	;; [unrolled: 1-line block ×4, first 2 shown]
	v_cvt_f32_f16_e32 v173, v173
	v_cvt_f32_f16_e32 v198, v174
	;; [unrolled: 1-line block ×4, first 2 shown]
	s_waitcnt lgkmcnt(2)
	v_perm_b32 v174, v178, v177, s57
	s_waitcnt lgkmcnt(0)
	v_perm_b32 v175, v180, v179, s57
	v_accvgpr_write_b32 a0, v173
	v_accvgpr_write_b32 a1, v198
	;; [unrolled: 1-line block ×4, first 2 shown]
	v_cvt_f32_f16_e32 v179, v161
	v_cvt_f32_f16_sdwa v180, v161 dst_sel:DWORD dst_unused:UNUSED_PAD src0_sel:WORD_1
	v_mfma_f32_16x16x16_f16 a[0:3], v[174:175], v[34:35], a[0:3]
	ds_read_u16 v175, v149 offset:320
	ds_read_u16 v176, v149 offset:848
	ds_read_u16 v177, v149 offset:1376
	ds_read_u16 v178, v153 offset:320
	s_waitcnt lgkmcnt(2)
	v_perm_b32 v160, v176, v175, s57
	s_waitcnt lgkmcnt(0)
	v_perm_b32 v161, v178, v177, s57
	v_accvgpr_read_b32 v173, a0
	v_accvgpr_read_b32 v174, a1
	;; [unrolled: 1-line block ×4, first 2 shown]
	v_accvgpr_write_b32 a0, v179
	v_accvgpr_write_b32 a1, v180
	;; [unrolled: 1-line block ×4, first 2 shown]
	ds_read_u16 v177, v149 offset:17216
	ds_read_u16 v178, v149 offset:17744
	ds_read_u16 v179, v149 offset:18272
	ds_read_u16 v180, v153 offset:17216
	v_mfma_f32_16x16x16_f16 a[0:3], v[160:161], v[38:39], a[0:3]
	v_cvt_pk_f16_f32 v174, v173, v174
	v_cvt_pk_f16_f32 v173, v198, v199
	s_nop 5
	v_accvgpr_read_b32 v175, a2
	v_accvgpr_read_b32 v176, a3
	v_cvt_f16_f32_e32 v175, v175
	v_cvt_f16_f32_e32 v176, v176
	v_accvgpr_read_b32 v160, a0
	v_accvgpr_read_b32 v161, a1
	v_cvt_f16_f32_e32 v160, v160
	v_cvt_f16_f32_e32 v161, v161
	v_cvt_f32_f16_e32 v175, v175
	v_cvt_f32_f16_e32 v176, v176
	;; [unrolled: 1-line block ×4, first 2 shown]
	s_waitcnt lgkmcnt(2)
	v_perm_b32 v160, v178, v177, s57
	s_waitcnt lgkmcnt(0)
	v_perm_b32 v161, v180, v179, s57
	v_accvgpr_write_b32 a2, v175
	v_accvgpr_write_b32 a3, v176
	ds_read_u16 v175, v149 offset:352
	ds_read_u16 v176, v149 offset:880
	ds_read_u16 v177, v149 offset:1408
	ds_read_u16 v178, v153 offset:352
	v_accvgpr_write_b32 a0, v200
	v_accvgpr_write_b32 a1, v201
	v_cvt_f32_f16_e32 v179, v159
	v_cvt_f32_f16_sdwa v180, v159 dst_sel:DWORD dst_unused:UNUSED_PAD src0_sel:WORD_1
	v_mfma_f32_16x16x16_f16 a[0:3], v[160:161], v[34:35], a[0:3]
	s_waitcnt lgkmcnt(2)
	v_perm_b32 v158, v176, v175, s57
	s_waitcnt lgkmcnt(0)
	v_perm_b32 v159, v178, v177, s57
	s_nop 3
	v_accvgpr_read_b32 v160, a0
	v_accvgpr_read_b32 v161, a1
	;; [unrolled: 1-line block ×4, first 2 shown]
	v_accvgpr_write_b32 a0, v179
	v_accvgpr_write_b32 a1, v180
	;; [unrolled: 1-line block ×4, first 2 shown]
	ds_read_u16 v177, v149 offset:17248
	ds_read_u16 v178, v149 offset:17776
	;; [unrolled: 1-line block ×4, first 2 shown]
	v_mfma_f32_16x16x16_f16 a[0:3], v[158:159], v[38:39], a[0:3]
	v_cvt_pk_f16_f32 v161, v160, v161
	v_cvt_pk_f16_f32 v160, v200, v201
	s_nop 5
	v_accvgpr_read_b32 v175, a2
	v_accvgpr_read_b32 v176, a3
	v_cvt_f16_f32_e32 v175, v175
	v_cvt_f16_f32_e32 v176, v176
	v_accvgpr_read_b32 v158, a0
	v_accvgpr_read_b32 v159, a1
	v_cvt_f16_f32_e32 v158, v158
	v_cvt_f16_f32_e32 v159, v159
	v_cvt_f32_f16_e32 v175, v175
	v_cvt_f32_f16_e32 v176, v176
	;; [unrolled: 1-line block ×4, first 2 shown]
	s_waitcnt lgkmcnt(2)
	v_perm_b32 v158, v178, v177, s57
	s_waitcnt lgkmcnt(0)
	v_perm_b32 v159, v180, v179, s57
	v_accvgpr_write_b32 a2, v175
	v_accvgpr_write_b32 a3, v176
	ds_read_u16 v175, v149 offset:384
	ds_read_u16 v176, v149 offset:912
	ds_read_u16 v177, v149 offset:1440
	ds_read_u16 v178, v153 offset:384
	v_accvgpr_write_b32 a0, v202
	v_accvgpr_write_b32 a1, v203
	v_cvt_f32_f16_e32 v179, v157
	v_cvt_f32_f16_sdwa v180, v157 dst_sel:DWORD dst_unused:UNUSED_PAD src0_sel:WORD_1
	v_mfma_f32_16x16x16_f16 a[0:3], v[158:159], v[34:35], a[0:3]
	s_waitcnt lgkmcnt(2)
	v_perm_b32 v156, v176, v175, s57
	s_waitcnt lgkmcnt(0)
	v_perm_b32 v157, v178, v177, s57
	s_nop 3
	v_accvgpr_read_b32 v158, a0
	v_accvgpr_read_b32 v159, a1
	;; [unrolled: 1-line block ×4, first 2 shown]
	v_accvgpr_write_b32 a0, v179
	v_accvgpr_write_b32 a1, v180
	;; [unrolled: 1-line block ×4, first 2 shown]
	ds_read_u16 v177, v149 offset:17280
	ds_read_u16 v178, v149 offset:17808
	;; [unrolled: 1-line block ×4, first 2 shown]
	v_mfma_f32_16x16x16_f16 a[0:3], v[156:157], v[38:39], a[0:3]
	v_cvt_pk_f16_f32 v159, v158, v159
	v_cvt_pk_f16_f32 v158, v202, v203
	s_nop 5
	v_accvgpr_read_b32 v175, a2
	v_accvgpr_read_b32 v176, a3
	v_cvt_f16_f32_e32 v175, v175
	v_cvt_f16_f32_e32 v176, v176
	v_accvgpr_read_b32 v156, a0
	v_accvgpr_read_b32 v157, a1
	v_cvt_f16_f32_e32 v156, v156
	v_cvt_f16_f32_e32 v157, v157
	v_cvt_f32_f16_e32 v175, v175
	v_cvt_f32_f16_e32 v176, v176
	;; [unrolled: 1-line block ×4, first 2 shown]
	s_waitcnt lgkmcnt(2)
	v_perm_b32 v156, v178, v177, s57
	s_waitcnt lgkmcnt(0)
	v_perm_b32 v157, v180, v179, s57
	v_accvgpr_write_b32 a2, v175
	v_accvgpr_write_b32 a3, v176
	ds_read_u16 v175, v149 offset:416
	ds_read_u16 v176, v149 offset:944
	;; [unrolled: 1-line block ×4, first 2 shown]
	v_accvgpr_write_b32 a0, v204
	v_accvgpr_write_b32 a1, v205
	v_cvt_f32_f16_e32 v179, v53
	v_cvt_f32_f16_sdwa v53, v53 dst_sel:DWORD dst_unused:UNUSED_PAD src0_sel:WORD_1
	v_mfma_f32_16x16x16_f16 a[0:3], v[156:157], v[34:35], a[0:3]
	v_cvt_f32_f16_e32 v180, v51
	v_cvt_f32_f16_sdwa v51, v51 dst_sel:DWORD dst_unused:UNUSED_PAD src0_sel:WORD_1
	s_waitcnt lgkmcnt(2)
	v_perm_b32 v176, v176, v175, s57
	s_waitcnt lgkmcnt(0)
	v_perm_b32 v177, v178, v177, s57
	s_nop 1
	v_accvgpr_read_b32 v156, a0
	v_accvgpr_read_b32 v157, a1
	;; [unrolled: 1-line block ×4, first 2 shown]
	v_accvgpr_write_b32 a0, v179
	v_accvgpr_write_b32 a1, v53
	;; [unrolled: 1-line block ×4, first 2 shown]
	v_cvt_pk_f16_f32 v157, v156, v157
	v_cvt_pk_f16_f32 v156, v204, v205
	v_mfma_f32_16x16x16_f16 a[0:3], v[176:177], v[38:39], a[0:3]
	ds_read_u16 v177, v149 offset:17312
	ds_read_u16 v178, v149 offset:17840
	;; [unrolled: 1-line block ×4, first 2 shown]
	s_nop 3
	v_accvgpr_read_b32 v51, a0
	v_accvgpr_read_b32 v53, a1
	;; [unrolled: 1-line block ×4, first 2 shown]
	v_cvt_f16_f32_e32 v51, v51
	v_cvt_f16_f32_e32 v53, v53
	;; [unrolled: 1-line block ×4, first 2 shown]
	v_cvt_f32_f16_e32 v51, v51
	v_cvt_f32_f16_e32 v53, v53
	;; [unrolled: 1-line block ×4, first 2 shown]
	s_waitcnt lgkmcnt(2)
	v_perm_b32 v176, v178, v177, s57
	s_waitcnt lgkmcnt(0)
	v_perm_b32 v177, v180, v179, s57
	v_accvgpr_write_b32 a0, v51
	v_accvgpr_write_b32 a1, v53
	;; [unrolled: 1-line block ×4, first 2 shown]
	v_cvt_f32_f16_e32 v180, v50
	v_cvt_f32_f16_sdwa v50, v50 dst_sel:DWORD dst_unused:UNUSED_PAD src0_sel:WORD_1
	v_mfma_f32_16x16x16_f16 a[0:3], v[176:177], v[34:35], a[0:3]
	ds_read_u16 v175, v149 offset:448
	ds_read_u16 v176, v149 offset:976
	;; [unrolled: 1-line block ×4, first 2 shown]
	s_waitcnt lgkmcnt(2)
	v_perm_b32 v176, v176, v175, s57
	s_waitcnt lgkmcnt(0)
	v_perm_b32 v177, v178, v177, s57
	v_accvgpr_read_b32 v51, a0
	v_accvgpr_read_b32 v53, a1
	;; [unrolled: 1-line block ×4, first 2 shown]
	v_accvgpr_write_b32 a0, v180
	v_accvgpr_write_b32 a1, v50
	v_accvgpr_write_b32 a2, v207
	v_accvgpr_write_b32 a3, v49
	v_cvt_pk_f16_f32 v179, v179, v206
	s_nop 0
	v_mfma_f32_16x16x16_f16 a[0:3], v[176:177], v[38:39], a[0:3]
	ds_read_u16 v177, v149 offset:17344
	ds_read_u16 v178, v149 offset:17872
	;; [unrolled: 1-line block ×4, first 2 shown]
	s_nop 3
	v_accvgpr_read_b32 v49, a0
	v_accvgpr_read_b32 v50, a1
	;; [unrolled: 1-line block ×4, first 2 shown]
	v_cvt_f16_f32_e32 v49, v49
	v_cvt_f16_f32_e32 v50, v50
	;; [unrolled: 1-line block ×4, first 2 shown]
	v_cvt_f32_f16_e32 v49, v49
	v_cvt_f32_f16_e32 v50, v50
	;; [unrolled: 1-line block ×4, first 2 shown]
	s_waitcnt lgkmcnt(2)
	v_perm_b32 v176, v178, v177, s57
	s_waitcnt lgkmcnt(0)
	v_perm_b32 v177, v207, v180, s57
	v_accvgpr_write_b32 a0, v49
	v_accvgpr_write_b32 a1, v50
	;; [unrolled: 1-line block ×4, first 2 shown]
	s_nop 1
	v_mfma_f32_16x16x16_f16 a[0:3], v[176:177], v[34:35], a[0:3]
	ds_read_u16 v175, v149 offset:480
	ds_read_u16 v176, v149 offset:1008
	ds_read_u16 v178, v149 offset:1536
	ds_read_u16 v207, v153 offset:480
	s_waitcnt lgkmcnt(2)
	v_perm_b32 v212, v176, v175, s57
	s_waitcnt lgkmcnt(0)
	v_perm_b32 v213, v207, v178, s57
	v_accvgpr_read_b32 v49, a0
	v_accvgpr_read_b32 v50, a1
	;; [unrolled: 1-line block ×4, first 2 shown]
	v_accvgpr_write_b32 a0, v214
	v_accvgpr_write_b32 a1, v48
	v_accvgpr_write_b32 a2, v215
	v_accvgpr_write_b32 a3, v47
	ds_read_u16 v175, v149 offset:17376
	ds_read_u16 v176, v149 offset:17904
	;; [unrolled: 1-line block ×4, first 2 shown]
	v_mfma_f32_16x16x16_f16 a[0:3], v[212:213], v[38:39], a[0:3]
	v_cvt_pk_f16_f32 v177, v177, v180
	v_cvt_pk_f16_f32 v180, v51, v53
	s_waitcnt lgkmcnt(0)
	s_barrier
	s_nop 3
	v_accvgpr_read_b32 v38, a0
	v_accvgpr_read_b32 v39, a1
	;; [unrolled: 1-line block ×4, first 2 shown]
	v_cvt_f16_f32_e32 v38, v38
	v_cvt_f16_f32_e32 v39, v39
	;; [unrolled: 1-line block ×4, first 2 shown]
	v_cvt_f32_f16_e32 v212, v38
	v_cvt_f32_f16_e32 v213, v39
	;; [unrolled: 1-line block ×4, first 2 shown]
	v_perm_b32 v38, v176, v175, s57
	v_perm_b32 v39, v207, v178, s57
	v_accvgpr_write_b32 a0, v212
	v_accvgpr_write_b32 a1, v213
	;; [unrolled: 1-line block ×4, first 2 shown]
	v_cvt_pk_f16_f32 v178, v49, v50
	s_nop 0
	v_mfma_f32_16x16x16_f16 a[0:3], v[38:39], v[34:35], a[0:3]
	s_nop 7
	v_accvgpr_read_b32 v34, a0
	v_accvgpr_read_b32 v35, a1
	;; [unrolled: 1-line block ×4, first 2 shown]
	v_cvt_pk_f16_f32 v176, v34, v35
	v_cvt_pk_f16_f32 v175, v38, v39
	s_cbranch_vccz .LBB30_538
; %bb.534:                              ;   in Loop: Header=BB30_498 Depth=1
	v_mov_b32_e32 v184, v37
	v_mov_b32_e32 v183, v46
	s_andn2_b64 vcc, exec, s[42:43]
	s_ashr_i32 s45, s44, 31
	s_cbranch_vccz .LBB30_493
	s_branch .LBB30_498
.LBB30_535:                             ;   in Loop: Header=BB30_498 Depth=1
                                        ; implicit-def: $vgpr34_vgpr35_vgpr36_vgpr37
                                        ; implicit-def: $vgpr40_vgpr41_vgpr42_vgpr43
	s_branch .LBB30_532
.LBB30_536:
                                        ; implicit-def: $sgpr6_sgpr7
	s_load_dwordx2 s[68:69], s[0:1], 0x5c
	v_mov_b64_e32 v[50:51], s[6:7]
	s_branch .LBB30_7
.LBB30_537:
	v_mov_b32_e32 v46, 0xfeffffff
	v_mov_b32_e32 v37, 0
	;; [unrolled: 1-line block ×34, first 2 shown]
.LBB30_538:
	s_lshl_b32 s16, s50, 6
	v_readlane_b32 s0, v254, 3
	s_sub_i32 s24, s0, s16
	s_cmp_lg_u64 s[38:39], 0
	s_cselect_b64 s[18:19], -1, 0
	s_ashr_i32 s17, s16, 31
	s_cmp_eq_u64 s[38:39], 0
	v_readlane_b32 s1, v254, 4
	s_cbranch_scc1 .LBB30_556
; %bb.539:
	s_lshl_b64 s[0:1], s[16:17], 1
	s_add_u32 s0, s38, s0
	s_addc_u32 s1, s39, s1
	v_mov_b32_e32 v55, 0
	v_cmp_gt_i32_e32 vcc, s24, v64
	v_lshl_add_u64 v[32:33], s[0:1], 0, v[54:55]
	v_mov_b32_e32 v35, 0
	s_and_saveexec_b64 s[0:1], vcc
	s_cbranch_execz .LBB30_541
; %bb.540:
	v_mul_hi_u32 v34, s68, v119
	v_add_u32_e32 v34, v119, v34
	v_lshrrev_b32_e32 v34, s69, v34
	v_mul_lo_u32 v34, v34, s96
	v_sub_u32_e32 v34, v119, v34
	v_mad_i64_i32 v[34:35], s[4:5], v34, s86, 0
	v_lshl_add_u64 v[34:35], v[34:35], 1, v[32:33]
	global_load_ushort v35, v[34:35], off
.LBB30_541:
	s_or_b64 exec, exec, s[0:1]
	s_movk_i32 s0, 0x90
	v_mad_u32_u24 v34, v192, s0, 0
	v_lshl_add_u32 v36, v64, 1, v34
	s_waitcnt vmcnt(0)
	ds_write_b16 v36, v35 offset:33792
	s_and_saveexec_b64 s[0:1], vcc
	s_cbranch_execz .LBB30_543
; %bb.542:
	v_mul_hi_u32 v35, s68, v121
	v_add_u32_e32 v35, v121, v35
	v_lshrrev_b32_e32 v35, s69, v35
	v_mul_lo_u32 v35, v35, s96
	v_sub_u32_e32 v35, v121, v35
	v_mad_i64_i32 v[38:39], s[4:5], v35, s86, 0
	v_lshl_add_u64 v[38:39], v[38:39], 1, v[32:33]
	global_load_ushort v55, v[38:39], off
.LBB30_543:
	s_or_b64 exec, exec, s[0:1]
	v_add_u32_e32 v34, 0x240, v34
	v_lshl_add_u32 v35, v64, 1, v34
	s_waitcnt vmcnt(0)
	ds_write_b16 v35, v55 offset:33792
	v_mov_b32_e32 v35, 0
	v_mov_b32_e32 v36, 0
	s_and_saveexec_b64 s[0:1], vcc
	s_cbranch_execz .LBB30_545
; %bb.544:
	v_mul_hi_u32 v36, s68, v122
	v_add_u32_e32 v36, v122, v36
	v_lshrrev_b32_e32 v36, s69, v36
	v_mul_lo_u32 v36, v36, s96
	v_sub_u32_e32 v36, v122, v36
	v_mad_i64_i32 v[38:39], s[4:5], v36, s86, 0
	v_lshl_add_u64 v[38:39], v[38:39], 1, v[32:33]
	global_load_ushort v36, v[38:39], off
.LBB30_545:
	s_or_b64 exec, exec, s[0:1]
	v_add_u32_e32 v34, 0x240, v34
	v_lshl_add_u32 v38, v64, 1, v34
	s_waitcnt vmcnt(0)
	ds_write_b16 v38, v36 offset:33792
	s_and_saveexec_b64 s[0:1], vcc
	s_cbranch_execz .LBB30_547
; %bb.546:
	v_mul_hi_u32 v35, s68, v123
	v_add_u32_e32 v35, v123, v35
	v_lshrrev_b32_e32 v35, s69, v35
	v_mul_lo_u32 v35, v35, s96
	v_sub_u32_e32 v35, v123, v35
	v_mad_i64_i32 v[38:39], s[4:5], v35, s86, 0
	v_lshl_add_u64 v[38:39], v[38:39], 1, v[32:33]
	global_load_ushort v35, v[38:39], off
.LBB30_547:
	s_or_b64 exec, exec, s[0:1]
	v_add_u32_e32 v34, 0x240, v34
	v_lshl_add_u32 v36, v64, 1, v34
	s_waitcnt vmcnt(0)
	ds_write_b16 v36, v35 offset:33792
	v_mov_b32_e32 v35, 0
	v_mov_b32_e32 v36, 0
	s_and_saveexec_b64 s[0:1], vcc
	s_cbranch_execz .LBB30_549
; %bb.548:
	v_mul_hi_u32 v36, s68, v124
	v_add_u32_e32 v36, v124, v36
	v_lshrrev_b32_e32 v36, s69, v36
	v_mul_lo_u32 v36, v36, s96
	v_sub_u32_e32 v36, v124, v36
	v_mad_i64_i32 v[38:39], s[4:5], v36, s86, 0
	v_lshl_add_u64 v[38:39], v[38:39], 1, v[32:33]
	global_load_ushort v36, v[38:39], off
.LBB30_549:
	s_or_b64 exec, exec, s[0:1]
	v_add_u32_e32 v34, 0x240, v34
	;; [unrolled: 36-line block ×3, first 2 shown]
	v_lshl_add_u32 v34, v64, 1, v34
	s_waitcnt vmcnt(0)
	ds_write_b16 v34, v36 offset:33792
	s_and_saveexec_b64 s[0:1], vcc
	s_cbranch_execz .LBB30_555
; %bb.554:
	v_mul_hi_u32 v35, s68, v127
	v_add_u32_e32 v35, v127, v35
	v_lshrrev_b32_e32 v35, s69, v35
	v_mul_lo_u32 v35, v35, s96
	v_sub_u32_e32 v35, v127, v35
	v_mad_i64_i32 v[38:39], s[4:5], v35, s86, 0
	v_lshl_add_u64 v[32:33], v[38:39], 1, v[32:33]
	global_load_ushort v35, v[32:33], off
.LBB30_555:
	s_or_b64 exec, exec, s[0:1]
	s_waitcnt vmcnt(0)
	ds_write_b16 v34, v35 offset:34368
.LBB30_556:
	s_mul_hi_i32 s5, s16, s78
	s_mul_i32 s4, s16, s78
	s_lshl_b64 s[4:5], s[4:5], 2
	v_lshl_add_u32 v34, v192, 1, v128
	s_add_u32 s4, s2, s4
	v_mul_lo_u32 v42, s78, v34
	s_addc_u32 s5, s49, s5
	v_and_b32_e32 v32, 0x7c, v65
	v_ashrrev_i32_e32 v43, 31, v42
	s_mov_b64 s[0:1], src_private_base
	v_mov_b32_e32 v33, 0
	v_lshlrev_b32_e32 v32, 2, v32
	v_lshl_add_u64 v[38:39], v[42:43], 2, s[4:5]
	v_lshl_add_u64 v[38:39], v[38:39], 0, v[32:33]
	v_mov_b32_e32 v35, s1
	v_cmp_gt_i32_e64 s[8:9], s24, v34
	v_mov_b32_e32 v47, 0
	v_mov_b32_e32 v48, v33
	;; [unrolled: 1-line block ×5, first 2 shown]
	v_cndmask_b32_e64 v39, v35, v39, s[8:9]
	v_cndmask_b32_e64 v38, v47, v38, s[8:9]
	scratch_store_dwordx4 off, v[48:51], off
	flat_load_dwordx4 v[38:41], v[38:39]
	s_lshl_b32 s2, s78, 3
	v_add_u32_e32 v42, s2, v42
	v_ashrrev_i32_e32 v43, 31, v42
	v_mul_u32_u24_e32 v36, 0x210, v34
	v_add_u32_e32 v48, 8, v34
	v_lshl_add_u64 v[44:45], v[42:43], 2, s[4:5]
	v_add3_u32 v36, 0, v36, v32
	v_lshl_add_u64 v[44:45], v[44:45], 0, v[32:33]
	v_cmp_gt_i32_e64 s[10:11], s24, v48
	v_add_u32_e32 v42, s2, v42
	v_ashrrev_i32_e32 v43, 31, v42
	v_cndmask_b32_e64 v45, v35, v45, s[10:11]
	v_cndmask_b32_e64 v44, v47, v44, s[10:11]
	v_add_u32_e32 v48, 16, v34
	v_cmp_gt_i32_e64 s[12:13], s24, v48
	v_add_u32_e32 v48, 24, v34
	v_cmp_gt_i32_e64 s[14:15], s24, v48
	v_add_u32_e32 v48, 32, v34
	v_cmp_gt_i32_e64 s[6:7], s24, v48
	v_add_u32_e32 v48, 40, v34
	v_cmp_gt_i32_e64 s[0:1], s24, v48
	v_add_u32_e32 v48, 48, v34
	v_cmp_gt_i32_e64 s[20:21], s24, v48
	s_waitcnt vmcnt(0) lgkmcnt(0)
	ds_write_b128 v36, v[38:41]
	flat_load_dwordx4 v[38:41], v[44:45]
	v_lshl_add_u64 v[44:45], v[42:43], 2, s[4:5]
	v_lshl_add_u64 v[44:45], v[44:45], 0, v[32:33]
	v_cndmask_b32_e64 v45, v35, v45, s[12:13]
	v_cndmask_b32_e64 v44, v47, v44, s[12:13]
	v_add_u32_e32 v42, s2, v42
	v_ashrrev_i32_e32 v43, 31, v42
	s_waitcnt vmcnt(0) lgkmcnt(0)
	ds_write_b128 v36, v[38:41] offset:4224
	flat_load_dwordx4 v[38:41], v[44:45]
	v_lshl_add_u64 v[44:45], v[42:43], 2, s[4:5]
	v_lshl_add_u64 v[44:45], v[44:45], 0, v[32:33]
	v_cndmask_b32_e64 v45, v35, v45, s[14:15]
	v_cndmask_b32_e64 v44, v47, v44, s[14:15]
	v_add_u32_e32 v42, s2, v42
	v_ashrrev_i32_e32 v43, 31, v42
	s_waitcnt vmcnt(0) lgkmcnt(0)
	ds_write_b128 v36, v[38:41] offset:8448
	;; [unrolled: 9-line block ×4, first 2 shown]
	flat_load_dwordx4 v[38:41], v[44:45]
	v_lshl_add_u64 v[44:45], v[42:43], 2, s[4:5]
	v_lshl_add_u64 v[44:45], v[44:45], 0, v[32:33]
	v_cndmask_b32_e64 v45, v35, v45, s[20:21]
	v_cndmask_b32_e64 v44, v47, v44, s[20:21]
	v_add_u32_e32 v42, s2, v42
	v_ashrrev_i32_e32 v43, 31, v42
	v_lshl_add_u64 v[42:43], v[42:43], 2, s[4:5]
	v_lshl_add_u64 v[42:43], v[42:43], 0, v[32:33]
	v_and_b32_e32 v33, 16, v216
	s_mov_b32 s2, 0x3f200000
	s_waitcnt vmcnt(0) lgkmcnt(0)
	ds_write_b128 v36, v[38:41] offset:21120
	flat_load_dwordx4 v[38:41], v[44:45]
	v_add_u32_e32 v44, 56, v34
	v_cmp_gt_i32_e64 s[4:5], s24, v44
	s_waitcnt vmcnt(0) lgkmcnt(0)
	ds_write_b128 v36, v[38:41] offset:25344
	v_cndmask_b32_e64 v43, v35, v43, s[4:5]
	v_cndmask_b32_e64 v42, v47, v42, s[4:5]
	flat_load_dwordx4 v[38:41], v[42:43]
	v_add_u32_e32 v35, 0, v120
	v_mul_u32_u24_e32 v42, 0x210, v33
	v_add3_u32 v35, v35, v113, v42
	v_add_u32_e32 v47, 0x4000, v35
	s_waitcnt vmcnt(0) lgkmcnt(0)
	ds_write_b128 v36, v[38:41] offset:29568
	s_waitcnt lgkmcnt(0)
	s_barrier
	ds_read2_b64 v[38:41], v35 offset1:4
	ds_read2_b64 v[42:45], v47 offset0:64 offset1:68
	s_waitcnt lgkmcnt(1)
	v_mfma_f32_16x16x16_f16 a[0:3], v[38:39], v[28:29], 0
	s_waitcnt lgkmcnt(0)
	v_mfma_f32_16x16x16_f16 a[4:7], v[42:43], v[28:29], 0
	v_mfma_f32_16x16x16_f16 a[0:3], v[40:41], v[30:31], a[0:3]
	ds_read2_b64 v[38:41], v47 offset0:72 offset1:76
	v_mfma_f32_16x16x16_f16 a[4:7], v[44:45], v[30:31], a[4:7]
	ds_read2_b64 v[28:31], v35 offset0:8 offset1:12
	s_waitcnt lgkmcnt(0)
	v_mfma_f32_16x16x16_f16 a[0:3], v[28:29], v[24:25], a[0:3]
	v_mfma_f32_16x16x16_f16 a[4:7], v[38:39], v[24:25], a[4:7]
	v_mfma_f32_16x16x16_f16 a[0:3], v[30:31], v[26:27], a[0:3]
	ds_read2_b64 v[28:31], v47 offset0:80 offset1:84
	v_mfma_f32_16x16x16_f16 a[4:7], v[40:41], v[26:27], a[4:7]
	ds_read2_b64 v[24:27], v35 offset0:16 offset1:20
	s_waitcnt lgkmcnt(0)
	v_mfma_f32_16x16x16_f16 a[0:3], v[24:25], v[20:21], a[0:3]
	;; [unrolled: 7-line block ×6, first 2 shown]
	v_mfma_f32_16x16x16_f16 a[4:7], v[12:13], v[4:5], a[4:7]
                                        ; implicit-def: $vgpr12
	v_mfma_f32_16x16x16_f16 a[0:3], v[10:11], v[6:7], a[0:3]
	ds_read2_b64 v[8:11], v47 offset0:120 offset1:124
	v_mfma_f32_16x16x16_f16 a[4:7], v[14:15], v[6:7], a[4:7]
	ds_read2_b64 v[4:7], v35 offset0:56 offset1:60
	s_waitcnt lgkmcnt(0)
	s_barrier
	v_mfma_f32_16x16x16_f16 a[0:3], v[4:5], v[0:1], a[0:3]
	v_mfma_f32_16x16x16_f16 a[8:11], v[8:9], v[0:1], a[4:7]
	;; [unrolled: 1-line block ×4, first 2 shown]
	s_nop 6
	v_accvgpr_read_b32 v11, a4
	v_cmp_nlt_f32_e64 s[22:23], |v11|, s2
	s_and_saveexec_b64 s[26:27], s[22:23]
	s_xor_b64 s[22:23], exec, s[26:27]
	s_cbranch_execz .LBB30_558
; %bb.557:
	v_add_f32_e64 v0, |v11|, |v11|
	v_mul_f32_e32 v1, 0x3fb8aa3b, v0
	s_mov_b32 s2, 0x3fb8aa3b
	v_rndne_f32_e32 v2, v1
	v_sub_f32_e32 v3, v1, v2
	v_fma_f32 v1, v0, s2, -v1
	v_fmamk_f32 v1, v0, 0x32a5705f, v1
	v_add_f32_e32 v1, v3, v1
	v_exp_f32_e32 v1, v1
	v_cvt_i32_f32_e32 v2, v2
	s_mov_b32 s2, 0xc2ce8ed0
	v_cmp_ngt_f32_e32 vcc, s2, v0
	s_mov_b32 s2, 0x42b17218
	v_ldexp_f32 v1, v1, v2
	v_cndmask_b32_e32 v1, 0, v1, vcc
	v_mov_b32_e32 v2, 0x7f800000
	v_cmp_nlt_f32_e32 vcc, s2, v0
	s_nop 1
	v_cndmask_b32_e32 v0, v2, v1, vcc
	v_add_f32_e32 v0, 1.0, v0
	v_rcp_f32_e32 v0, v0
	s_nop 0
	v_fma_f32 v12, v0, -2.0, 1.0
.LBB30_558:
	s_or_saveexec_b64 s[22:23], s[22:23]
	v_accvgpr_read_b32 v0, a4
	v_accvgpr_read_b32 v1, a5
	;; [unrolled: 1-line block ×4, first 2 shown]
	s_xor_b64 exec, exec, s[22:23]
; %bb.559:
	v_mul_f32_e32 v0, v11, v11
	v_mov_b32_e32 v4, 0x3ca908c9
	v_fmac_f32_e32 v4, 0xbbbac73d, v0
	v_fmaak_f32 v4, v0, v4, 0xbd5c1c4e
	v_fmaak_f32 v4, v0, v4, 0x3e088382
	;; [unrolled: 1-line block ×3, first 2 shown]
	v_mul_f32_e64 v4, |v11|, v4
	v_fma_f32 v12, v0, v4, |v11|
; %bb.560:
	s_or_b64 exec, exec, s[22:23]
	s_mov_b32 s2, 0x3f200000
	v_cmp_nlt_f32_e64 s[22:23], |v1|, s2
                                        ; implicit-def: $vgpr0
	s_and_saveexec_b64 s[26:27], s[22:23]
	s_xor_b64 s[22:23], exec, s[26:27]
	s_cbranch_execz .LBB30_562
; %bb.561:
	v_add_f32_e64 v0, |v1|, |v1|
	v_mul_f32_e32 v4, 0x3fb8aa3b, v0
	s_mov_b32 s2, 0x3fb8aa3b
	v_rndne_f32_e32 v5, v4
	v_sub_f32_e32 v6, v4, v5
	v_fma_f32 v4, v0, s2, -v4
	v_fmamk_f32 v4, v0, 0x32a5705f, v4
	v_add_f32_e32 v4, v6, v4
	v_exp_f32_e32 v4, v4
	v_cvt_i32_f32_e32 v5, v5
	s_mov_b32 s2, 0xc2ce8ed0
	v_cmp_ngt_f32_e32 vcc, s2, v0
	s_mov_b32 s2, 0x42b17218
	v_ldexp_f32 v4, v4, v5
	v_cndmask_b32_e32 v4, 0, v4, vcc
	v_mov_b32_e32 v5, 0x7f800000
	v_cmp_nlt_f32_e32 vcc, s2, v0
	s_nop 1
	v_cndmask_b32_e32 v0, v5, v4, vcc
	v_add_f32_e32 v0, 1.0, v0
	v_rcp_f32_e32 v0, v0
	s_nop 0
	v_fma_f32 v0, v0, -2.0, 1.0
.LBB30_562:
	s_andn2_saveexec_b64 s[22:23], s[22:23]
; %bb.563:
	v_mul_f32_e32 v0, v1, v1
	v_mov_b32_e32 v4, 0x3ca908c9
	v_fmac_f32_e32 v4, 0xbbbac73d, v0
	v_fmaak_f32 v4, v0, v4, 0xbd5c1c4e
	v_fmaak_f32 v4, v0, v4, 0x3e088382
	v_fmaak_f32 v4, v0, v4, 0xbeaaaa99
	v_mul_f32_e64 v4, |v1|, v4
	v_fma_f32 v0, v0, v4, |v1|
; %bb.564:
	s_or_b64 exec, exec, s[22:23]
	s_mov_b32 s2, 0x3f200000
	v_cmp_nlt_f32_e64 s[22:23], |v2|, s2
                                        ; implicit-def: $vgpr14
	s_and_saveexec_b64 s[26:27], s[22:23]
	s_xor_b64 s[22:23], exec, s[26:27]
	s_cbranch_execz .LBB30_566
; %bb.565:
	v_add_f32_e64 v4, |v2|, |v2|
	v_mul_f32_e32 v5, 0x3fb8aa3b, v4
	s_mov_b32 s2, 0x3fb8aa3b
	v_rndne_f32_e32 v6, v5
	v_sub_f32_e32 v7, v5, v6
	v_fma_f32 v5, v4, s2, -v5
	v_fmamk_f32 v5, v4, 0x32a5705f, v5
	v_add_f32_e32 v5, v7, v5
	v_exp_f32_e32 v5, v5
	v_cvt_i32_f32_e32 v6, v6
	s_mov_b32 s2, 0xc2ce8ed0
	v_cmp_ngt_f32_e32 vcc, s2, v4
	s_mov_b32 s2, 0x42b17218
	v_ldexp_f32 v5, v5, v6
	v_cndmask_b32_e32 v5, 0, v5, vcc
	v_mov_b32_e32 v6, 0x7f800000
	v_cmp_nlt_f32_e32 vcc, s2, v4
	s_nop 1
	v_cndmask_b32_e32 v4, v6, v5, vcc
	v_add_f32_e32 v4, 1.0, v4
	v_rcp_f32_e32 v4, v4
	s_nop 0
	v_fma_f32 v14, v4, -2.0, 1.0
.LBB30_566:
	s_andn2_saveexec_b64 s[22:23], s[22:23]
; %bb.567:
	v_mul_f32_e32 v4, v2, v2
	v_mov_b32_e32 v5, 0x3ca908c9
	v_fmac_f32_e32 v5, 0xbbbac73d, v4
	v_fmaak_f32 v5, v4, v5, 0xbd5c1c4e
	v_fmaak_f32 v5, v4, v5, 0x3e088382
	v_fmaak_f32 v5, v4, v5, 0xbeaaaa99
	v_mul_f32_e64 v5, |v2|, v5
	v_fma_f32 v14, v4, v5, |v2|
; %bb.568:
	s_or_b64 exec, exec, s[22:23]
	s_mov_b32 s2, 0x3f200000
	v_cmp_nlt_f32_e64 s[22:23], |v3|, s2
                                        ; implicit-def: $vgpr15
	s_and_saveexec_b64 s[26:27], s[22:23]
	s_xor_b64 s[22:23], exec, s[26:27]
	s_cbranch_execz .LBB30_570
; %bb.569:
	v_add_f32_e64 v4, |v3|, |v3|
	v_mul_f32_e32 v5, 0x3fb8aa3b, v4
	s_mov_b32 s2, 0x3fb8aa3b
	v_rndne_f32_e32 v6, v5
	v_sub_f32_e32 v7, v5, v6
	v_fma_f32 v5, v4, s2, -v5
	v_fmamk_f32 v5, v4, 0x32a5705f, v5
	v_add_f32_e32 v5, v7, v5
	v_exp_f32_e32 v5, v5
	v_cvt_i32_f32_e32 v6, v6
	s_mov_b32 s2, 0xc2ce8ed0
	v_cmp_ngt_f32_e32 vcc, s2, v4
	s_mov_b32 s2, 0x42b17218
	v_ldexp_f32 v5, v5, v6
	v_cndmask_b32_e32 v5, 0, v5, vcc
	v_mov_b32_e32 v6, 0x7f800000
	v_cmp_nlt_f32_e32 vcc, s2, v4
	s_nop 1
	v_cndmask_b32_e32 v4, v6, v5, vcc
	v_add_f32_e32 v4, 1.0, v4
	v_rcp_f32_e32 v4, v4
	s_nop 0
	v_fma_f32 v15, v4, -2.0, 1.0
.LBB30_570:
	s_or_saveexec_b64 s[22:23], s[22:23]
	v_accvgpr_read_b32 v7, a3
	v_accvgpr_read_b32 v6, a2
	;; [unrolled: 1-line block ×4, first 2 shown]
	s_xor_b64 exec, exec, s[22:23]
; %bb.571:
	v_mul_f32_e32 v8, v3, v3
	v_mov_b32_e32 v9, 0x3ca908c9
	v_fmac_f32_e32 v9, 0xbbbac73d, v8
	v_fmaak_f32 v9, v8, v9, 0xbd5c1c4e
	v_fmaak_f32 v9, v8, v9, 0x3e088382
	;; [unrolled: 1-line block ×3, first 2 shown]
	v_mul_f32_e64 v9, |v3|, v9
	v_fma_f32 v15, v8, v9, |v3|
; %bb.572:
	s_or_b64 exec, exec, s[22:23]
	s_mov_b32 s2, 0x3f200000
	v_cmp_nlt_f32_e64 s[22:23], |v4|, s2
                                        ; implicit-def: $vgpr8
	s_and_saveexec_b64 s[26:27], s[22:23]
	s_xor_b64 s[22:23], exec, s[26:27]
	s_cbranch_execz .LBB30_574
; %bb.573:
	v_add_f32_e64 v8, |v4|, |v4|
	v_mul_f32_e32 v9, 0x3fb8aa3b, v8
	s_mov_b32 s2, 0x3fb8aa3b
	v_rndne_f32_e32 v10, v9
	v_sub_f32_e32 v13, v9, v10
	v_fma_f32 v9, v8, s2, -v9
	v_fmamk_f32 v9, v8, 0x32a5705f, v9
	v_add_f32_e32 v9, v13, v9
	v_exp_f32_e32 v9, v9
	v_cvt_i32_f32_e32 v10, v10
	s_mov_b32 s2, 0xc2ce8ed0
	v_cmp_ngt_f32_e32 vcc, s2, v8
	s_mov_b32 s2, 0x42b17218
	v_ldexp_f32 v9, v9, v10
	v_cndmask_b32_e32 v9, 0, v9, vcc
	v_mov_b32_e32 v10, 0x7f800000
	v_cmp_nlt_f32_e32 vcc, s2, v8
	s_nop 1
	v_cndmask_b32_e32 v8, v10, v9, vcc
	v_add_f32_e32 v8, 1.0, v8
	v_rcp_f32_e32 v8, v8
	s_nop 0
	v_fma_f32 v8, v8, -2.0, 1.0
.LBB30_574:
	s_andn2_saveexec_b64 s[22:23], s[22:23]
; %bb.575:
	v_mul_f32_e32 v8, v4, v4
	v_mov_b32_e32 v9, 0x3ca908c9
	v_fmac_f32_e32 v9, 0xbbbac73d, v8
	v_fmaak_f32 v9, v8, v9, 0xbd5c1c4e
	v_fmaak_f32 v9, v8, v9, 0x3e088382
	;; [unrolled: 1-line block ×3, first 2 shown]
	v_mul_f32_e64 v9, |v4|, v9
	v_fma_f32 v8, v8, v9, |v4|
; %bb.576:
	s_or_b64 exec, exec, s[22:23]
	s_mov_b32 s2, 0x3f200000
	v_cmp_nlt_f32_e64 s[22:23], |v5|, s2
                                        ; implicit-def: $vgpr9
	s_and_saveexec_b64 s[26:27], s[22:23]
	s_xor_b64 s[22:23], exec, s[26:27]
	s_cbranch_execz .LBB30_578
; %bb.577:
	v_add_f32_e64 v9, |v5|, |v5|
	v_mul_f32_e32 v10, 0x3fb8aa3b, v9
	s_mov_b32 s2, 0x3fb8aa3b
	v_rndne_f32_e32 v13, v10
	v_sub_f32_e32 v16, v10, v13
	v_fma_f32 v10, v9, s2, -v10
	v_fmamk_f32 v10, v9, 0x32a5705f, v10
	v_add_f32_e32 v10, v16, v10
	v_exp_f32_e32 v10, v10
	v_cvt_i32_f32_e32 v13, v13
	s_mov_b32 s2, 0xc2ce8ed0
	v_cmp_ngt_f32_e32 vcc, s2, v9
	s_mov_b32 s2, 0x42b17218
	v_ldexp_f32 v10, v10, v13
	v_cndmask_b32_e32 v10, 0, v10, vcc
	v_mov_b32_e32 v13, 0x7f800000
	v_cmp_nlt_f32_e32 vcc, s2, v9
	s_nop 1
	v_cndmask_b32_e32 v9, v13, v10, vcc
	v_add_f32_e32 v9, 1.0, v9
	v_rcp_f32_e32 v9, v9
	s_nop 0
	v_fma_f32 v9, v9, -2.0, 1.0
.LBB30_578:
	s_andn2_saveexec_b64 s[22:23], s[22:23]
; %bb.579:
	v_mul_f32_e32 v9, v5, v5
	v_mov_b32_e32 v10, 0x3ca908c9
	v_fmac_f32_e32 v10, 0xbbbac73d, v9
	v_fmaak_f32 v10, v9, v10, 0xbd5c1c4e
	v_fmaak_f32 v10, v9, v10, 0x3e088382
	;; [unrolled: 1-line block ×3, first 2 shown]
	v_mul_f32_e64 v10, |v5|, v10
	v_fma_f32 v9, v9, v10, |v5|
; %bb.580:
	s_or_b64 exec, exec, s[22:23]
	s_mov_b32 s2, 0x3f200000
	v_cmp_nlt_f32_e64 s[22:23], |v6|, s2
                                        ; implicit-def: $vgpr10
	s_and_saveexec_b64 s[26:27], s[22:23]
	s_xor_b64 s[22:23], exec, s[26:27]
	s_cbranch_execz .LBB30_582
; %bb.581:
	v_add_f32_e64 v10, |v6|, |v6|
	v_mul_f32_e32 v13, 0x3fb8aa3b, v10
	s_mov_b32 s2, 0x3fb8aa3b
	v_rndne_f32_e32 v16, v13
	v_sub_f32_e32 v17, v13, v16
	v_fma_f32 v13, v10, s2, -v13
	v_fmamk_f32 v13, v10, 0x32a5705f, v13
	v_add_f32_e32 v13, v17, v13
	v_exp_f32_e32 v13, v13
	v_cvt_i32_f32_e32 v16, v16
	s_mov_b32 s2, 0xc2ce8ed0
	v_cmp_ngt_f32_e32 vcc, s2, v10
	s_mov_b32 s2, 0x42b17218
	v_ldexp_f32 v13, v13, v16
	v_cndmask_b32_e32 v13, 0, v13, vcc
	v_mov_b32_e32 v16, 0x7f800000
	v_cmp_nlt_f32_e32 vcc, s2, v10
	s_nop 1
	v_cndmask_b32_e32 v10, v16, v13, vcc
	v_add_f32_e32 v10, 1.0, v10
	v_rcp_f32_e32 v10, v10
	s_nop 0
	v_fma_f32 v10, v10, -2.0, 1.0
.LBB30_582:
	s_andn2_saveexec_b64 s[22:23], s[22:23]
; %bb.583:
	v_mul_f32_e32 v10, v6, v6
	v_mov_b32_e32 v13, 0x3ca908c9
	v_fmac_f32_e32 v13, 0xbbbac73d, v10
	v_fmaak_f32 v13, v10, v13, 0xbd5c1c4e
	v_fmaak_f32 v13, v10, v13, 0x3e088382
	;; [unrolled: 1-line block ×3, first 2 shown]
	v_mul_f32_e64 v13, |v6|, v13
	v_fma_f32 v10, v10, v13, |v6|
; %bb.584:
	s_or_b64 exec, exec, s[22:23]
	s_mov_b32 s2, 0x3f200000
	v_cmp_nlt_f32_e64 s[22:23], |v7|, s2
                                        ; implicit-def: $vgpr16
	s_and_saveexec_b64 s[26:27], s[22:23]
	s_xor_b64 s[22:23], exec, s[26:27]
	s_cbranch_execz .LBB30_586
; %bb.585:
	v_add_f32_e64 v13, |v7|, |v7|
	v_mul_f32_e32 v16, 0x3fb8aa3b, v13
	s_mov_b32 s2, 0x3fb8aa3b
	v_rndne_f32_e32 v17, v16
	v_sub_f32_e32 v18, v16, v17
	v_fma_f32 v16, v13, s2, -v16
	v_fmamk_f32 v16, v13, 0x32a5705f, v16
	v_add_f32_e32 v16, v18, v16
	v_exp_f32_e32 v16, v16
	v_cvt_i32_f32_e32 v17, v17
	s_mov_b32 s2, 0xc2ce8ed0
	v_cmp_ngt_f32_e32 vcc, s2, v13
	s_mov_b32 s2, 0x42b17218
	v_ldexp_f32 v16, v16, v17
	v_cndmask_b32_e32 v16, 0, v16, vcc
	v_mov_b32_e32 v17, 0x7f800000
	v_cmp_nlt_f32_e32 vcc, s2, v13
	s_nop 1
	v_cndmask_b32_e32 v13, v17, v16, vcc
	v_add_f32_e32 v13, 1.0, v13
	v_rcp_f32_e32 v13, v13
	s_nop 0
	v_fma_f32 v16, v13, -2.0, 1.0
.LBB30_586:
	s_andn2_saveexec_b64 s[22:23], s[22:23]
; %bb.587:
	v_mul_f32_e32 v13, v7, v7
	v_mov_b32_e32 v16, 0x3ca908c9
	v_fmac_f32_e32 v16, 0xbbbac73d, v13
	v_fmaak_f32 v16, v13, v16, 0xbd5c1c4e
	v_fmaak_f32 v16, v13, v16, 0x3e088382
	;; [unrolled: 1-line block ×3, first 2 shown]
	v_mul_f32_e64 v16, |v7|, v16
	v_fma_f32 v16, v13, v16, |v7|
; %bb.588:
	s_or_b64 exec, exec, s[22:23]
	s_brev_b32 s2, -2
	v_bfi_b32 v4, s2, v8, v4
	v_bfi_b32 v0, s2, v0, v1
	v_mul_f32_e32 v8, s3, v4
	v_bfi_b32 v4, s2, v9, v5
	v_mul_f32_e32 v13, s3, v0
	;; [unrolled: 2-line block ×7, first 2 shown]
	v_mul_f32_e32 v11, s3, v0
	s_and_b64 vcc, exec, s[18:19]
	s_cbranch_vccz .LBB30_590
; %bb.589:
	v_lshrrev_b32_e32 v21, 2, v64
	v_and_b32_e32 v20, 0xfc, v21
	v_add_u16_e32 v0, v20, v33
	s_movk_i32 s2, 0x90
	v_lshrrev_b16_e32 v0, 1, v0
	v_mad_u32_u24 v2, v118, s2, 0
	v_lshlrev_b32_e32 v0, 2, v0
	s_mov_b32 s2, 0x8400
	v_add_u32_e32 v19, v20, v33
	v_add3_u32 v0, v2, v0, s2
	v_lshl_add_u32 v2, v19, 1, v2
	v_add_u32_e32 v2, 0x8400, v2
	ds_read2_b32 v[0:1], v0 offset1:1
	ds_read2_b32 v[2:3], v2 offset0:16 offset1:17
	s_mov_b64 s[2:3], 0
	s_waitcnt lgkmcnt(1)
	v_cvt_f32_f16_e32 v4, v0
	v_cvt_f32_f16_sdwa v5, v0 dst_sel:DWORD dst_unused:UNUSED_PAD src0_sel:WORD_1
	v_cvt_f32_f16_e32 v0, v1
	v_cvt_f32_f16_sdwa v1, v1 dst_sel:DWORD dst_unused:UNUSED_PAD src0_sel:WORD_1
	s_waitcnt lgkmcnt(0)
	v_cvt_f32_f16_e32 v16, v2
	v_cvt_f32_f16_e32 v6, v3
	v_cvt_f32_f16_sdwa v7, v3 dst_sel:DWORD dst_unused:UNUSED_PAD src0_sel:WORD_1
	v_cvt_f32_f16_sdwa v17, v2 dst_sel:DWORD dst_unused:UNUSED_PAD src0_sel:WORD_1
	v_pk_fma_f32 v[2:3], v[52:53], v[0:1], v[14:15] op_sel_hi:[0,1,1]
	v_pk_fma_f32 v[0:1], v[52:53], v[4:5], v[12:13] op_sel_hi:[0,1,1]
	;; [unrolled: 1-line block ×4, first 2 shown]
	s_branch .LBB30_591
.LBB30_590:
	s_mov_b64 s[2:3], -1
                                        ; implicit-def: $vgpr0_vgpr1_vgpr2_vgpr3
                                        ; implicit-def: $vgpr4_vgpr5_vgpr6_vgpr7
                                        ; implicit-def: $vgpr21
                                        ; implicit-def: $vgpr20
                                        ; implicit-def: $vgpr19
.LBB30_591:
	v_add_u32_e32 v24, 0x1080, v36
	v_add_u32_e32 v23, 0x2100, v36
	;; [unrolled: 1-line block ×6, first 2 shown]
	s_andn2_b64 vcc, exec, s[2:3]
	v_add_u32_e32 v17, 0x7380, v36
	s_cbranch_vccnz .LBB30_593
; %bb.592:
	v_and_b32_e32 v20, 0xfc, v117
	v_mov_b64_e32 v[4:5], v[8:9]
	v_mov_b64_e32 v[0:1], v[12:13]
	v_add_u32_e32 v19, v20, v33
	v_mov_b32_e32 v21, v117
	v_mov_b64_e32 v[6:7], v[10:11]
	v_mov_b64_e32 v[2:3], v[14:15]
.LBB30_593:
	s_mul_hi_i32 s17, s16, s98
	s_mul_i32 s16, s16, s98
	s_lshl_b64 s[16:17], s[16:17], 2
	s_mov_b64 s[2:3], src_private_base
	s_add_u32 s16, s33, s16
	v_mul_lo_u32 v8, s98, v34
	s_addc_u32 s17, s48, s17
	v_ashrrev_i32_e32 v9, 31, v8
	s_lshl_b32 s2, s98, 3
	v_lshl_add_u64 v[10:11], v[8:9], 2, s[16:17]
	v_add_u32_e32 v8, s2, v8
	v_ashrrev_i32_e32 v9, 31, v8
	v_lshl_add_u64 v[12:13], v[8:9], 2, s[16:17]
	v_add_u32_e32 v8, s2, v8
	v_ashrrev_i32_e32 v9, 31, v8
	;; [unrolled: 3-line block ×5, first 2 shown]
	v_lshl_add_u64 v[34:35], v[8:9], 2, s[16:17]
	v_add_u32_e32 v8, s2, v8
	v_mov_b32_e32 v33, 0
	v_ashrrev_i32_e32 v9, 31, v8
	v_lshl_add_u64 v[38:39], v[34:35], 0, v[32:33]
	v_lshl_add_u64 v[34:35], v[8:9], 2, s[16:17]
	v_add_u32_e32 v8, s2, v8
	v_ashrrev_i32_e32 v9, 31, v8
	v_lshl_add_u64 v[8:9], v[8:9], 2, s[16:17]
	v_lshl_add_u64 v[10:11], v[10:11], 0, v[32:33]
	v_mov_b32_e32 v29, s3
	v_mov_b32_e32 v44, 0
	v_lshl_add_u64 v[12:13], v[12:13], 0, v[32:33]
	v_lshl_add_u64 v[14:15], v[14:15], 0, v[32:33]
	;; [unrolled: 1-line block ×6, first 2 shown]
	v_mov_b32_e32 v32, v33
	v_mov_b32_e32 v34, v33
	;; [unrolled: 1-line block ×3, first 2 shown]
	v_cndmask_b32_e64 v11, v29, v11, s[8:9]
	v_cndmask_b32_e64 v10, v44, v10, s[8:9]
	scratch_store_dwordx4 off, v[32:35], off
	flat_load_dwordx4 v[8:11], v[10:11]
	v_cndmask_b32_e64 v13, v29, v13, s[10:11]
	v_cndmask_b32_e64 v12, v44, v12, s[10:11]
	v_mul_u32_u24_e32 v57, 0x210, v20
	v_or_b32_e32 v58, 3, v21
	s_movk_i32 s9, 0x420
	v_cmp_gt_u32_e64 s[18:19], s24, v19
	v_add_u32_e32 v32, 1, v19
	v_add_f32_e32 v33, 0x40051340, v1
	v_add_u32_e32 v34, 2, v19
	v_add_f32_e32 v35, 0x40051340, v2
	v_add_f32_e32 v45, 0x40051340, v3
	v_add_u32_e32 v47, 32, v19
	v_add_f32_e32 v48, 0x40051340, v4
	s_mov_b32 s8, 0
	v_mov_b32_e32 v25, s8
	v_mbcnt_hi_u32_b32 v55, -1, v116
	v_add_u32_e32 v49, 33, v19
	v_add_f32_e32 v50, 0x40051340, v5
	v_and_b32_e32 v59, 64, v55
	v_add_u32_e32 v51, 34, v19
	v_add_u32_e32 v53, 35, v19
	v_xor_b32_e32 v60, 32, v55
	v_cmp_gt_u32_e64 s[10:11], s24, v49
	v_xor_b32_e32 v61, 16, v55
	v_add_f32_e32 v52, 0x40051340, v6
	v_add_f32_e32 v54, 0x40051340, v7
	s_mov_b32 s26, 0x3fb8aa3b
	s_mov_b32 s25, 0xc2ce8ed0
	;; [unrolled: 1-line block ×3, first 2 shown]
	v_mov_b32_e32 v56, 0x7f800000
	s_mov_b32 s3, 0xc1a00000
	s_mov_b32 s2, 0x5040100
	s_movk_i32 s22, 0x210
	s_waitcnt vmcnt(0) lgkmcnt(0)
	ds_write_b128 v36, v[8:11]
	flat_load_dwordx4 v[8:11], v[12:13]
	v_cndmask_b32_e64 v13, v29, v15, s[12:13]
	v_cndmask_b32_e64 v12, v44, v14, s[12:13]
	;; [unrolled: 1-line block ×4, first 2 shown]
	v_cmp_gt_u32_e64 s[12:13], s24, v32
	v_add_u32_e32 v36, 3, v19
	v_cmp_gt_u32_e64 s[16:17], s24, v36
	v_add_u32_e32 v19, 64, v59
	v_cmp_lt_i32_e32 vcc, v60, v19
	v_cmp_gt_u32_e64 s[6:7], s24, v53
	v_cndmask_b32_e64 v31, v29, v39, s[0:1]
	v_cndmask_b32_e64 v30, v44, v38, s[0:1]
	s_waitcnt vmcnt(0) lgkmcnt(0)
	ds_write_b128 v24, v[8:11]
	flat_load_dwordx4 v[8:11], v[12:13]
	v_cndmask_b32_e64 v13, v29, v27, s[14:15]
	v_cndmask_b32_e64 v12, v44, v26, s[14:15]
	v_cmp_gt_u32_e64 s[14:15], s24, v34
	v_mov_b32_e32 v24, s8
	v_mov_b32_e32 v26, s8
	;; [unrolled: 1-line block ×3, first 2 shown]
	v_cndmask_b32_e64 v34, v44, v42, s[4:5]
	s_waitcnt vmcnt(0) lgkmcnt(0)
	ds_write_b128 v23, v[8:11]
	flat_load_dwordx4 v[8:11], v[12:13]
	v_add_f32_e32 v12, 0x40051340, v0
	v_max_f32_e32 v13, v46, v46
	v_max_f32_e32 v12, v13, v12
	v_mov_b32_e32 v13, s8
	s_waitcnt vmcnt(0) lgkmcnt(0)
	ds_write_b128 v22, v[8:11]
	flat_load_dwordx4 v[20:23], v[14:15]
	v_mul_i32_i24_e32 v8, 0x210, v58
	v_mad_u32_u24 v9, v115, s9, 0
	v_cndmask_b32_e64 v10, v46, v12, s[18:19]
	v_add3_u32 v12, v9, v8, v114
	v_max_f32_e32 v8, v10, v10
	v_max_f32_e32 v8, v8, v33
	v_cndmask_b32_e64 v8, v10, v8, s[12:13]
	v_max_f32_e32 v10, v8, v8
	v_max_f32_e32 v10, v10, v35
	v_cndmask_b32_e64 v8, v8, v10, s[14:15]
	;; [unrolled: 3-line block ×3, first 2 shown]
	v_max_f32_e32 v10, v8, v8
	v_mov_b32_e32 v14, s8
	v_mov_b32_e32 v15, s8
	v_max_f32_e32 v10, v10, v48
	v_cmp_gt_u32_e64 s[8:9], s24, v47
	v_add3_u32 v11, v9, v57, v114
	v_cndmask_b32_e32 v9, v55, v60, vcc
	v_cndmask_b32_e64 v8, v8, v10, s[8:9]
	v_max_f32_e32 v10, v8, v8
	v_max_f32_e32 v10, v10, v50
	v_cndmask_b32_e64 v8, v8, v10, s[10:11]
	v_cmp_lt_i32_e32 vcc, v61, v19
	v_max_f32_e32 v10, v8, v8
	v_max_f32_e32 v10, v10, v52
	v_cndmask_b32_e32 v19, v55, v61, vcc
	v_cmp_gt_u32_e32 vcc, s24, v51
	v_lshlrev_b32_e32 v9, 2, v9
	v_cndmask_b32_e64 v33, v29, v41, s[20:21]
	v_cndmask_b32_e32 v8, v8, v10, vcc
	v_max_f32_e32 v10, v8, v8
	v_max_f32_e32 v10, v10, v54
	v_cndmask_b32_e64 v10, v8, v10, s[6:7]
	ds_bpermute_b32 v32, v9, v10
	v_lshlrev_b32_e32 v8, 2, v19
	v_max_f32_e32 v10, v10, v10
	v_cndmask_b32_e64 v35, v29, v43, s[4:5]
	s_waitcnt lgkmcnt(0)
	v_max_f32_e32 v19, v32, v32
	v_max_f32_e32 v10, v10, v19
	ds_bpermute_b32 v19, v8, v10
	v_cndmask_b32_e64 v32, v44, v40, s[20:21]
	s_waitcnt lgkmcnt(0)
	v_max_f32_e32 v19, v19, v19
	v_max_f32_e32 v10, v10, v19
	v_sub_f32_e32 v19, v0, v10
	v_sub_f32_e32 v29, v1, v10
	;; [unrolled: 1-line block ×4, first 2 shown]
	v_mul_f32_e32 v40, 0x3fb8aa3b, v19
	v_mul_f32_e32 v41, 0x3fb8aa3b, v29
	v_fma_f32 v49, v19, s26, -v40
	v_mul_f32_e32 v42, 0x3fb8aa3b, v36
	v_fmac_f32_e32 v49, 0x32a5705f, v19
	v_sub_f32_e32 v4, v4, v10
	v_mul_f32_e32 v43, 0x3fb8aa3b, v38
	v_sub_f32_e32 v5, v5, v10
	v_mul_f32_e32 v44, 0x3fb8aa3b, v4
	;; [unrolled: 2-line block ×3, first 2 shown]
	v_fma_f32 v50, v4, s26, -v44
	v_rndne_f32_e32 v51, v44
	v_sub_f32_e32 v7, v7, v10
	v_sub_f32_e32 v39, v46, v10
	v_mul_f32_e32 v46, 0x3fb8aa3b, v6
	v_fma_f32 v52, v5, s26, -v45
	v_rndne_f32_e32 v53, v45
	v_fmac_f32_e32 v50, 0x32a5705f, v4
	v_sub_f32_e32 v44, v44, v51
	v_mul_f32_e32 v47, 0x3fb8aa3b, v7
	v_fma_f32 v54, v6, s26, -v46
	v_rndne_f32_e32 v55, v46
	v_fmac_f32_e32 v52, 0x32a5705f, v5
	v_sub_f32_e32 v45, v45, v53
	v_mul_f32_e32 v48, 0x3fb8aa3b, v39
	s_waitcnt vmcnt(0)
	ds_write_b128 v18, v[20:23]
	flat_load_dwordx4 v[0:3], v[30:31]
	v_rndne_f32_e32 v18, v40
	v_fma_f32 v20, v29, s26, -v41
	v_rndne_f32_e32 v21, v41
	v_sub_f32_e32 v40, v40, v18
	v_fma_f32 v22, v36, s26, -v42
	v_rndne_f32_e32 v23, v42
	v_fmac_f32_e32 v20, 0x32a5705f, v29
	v_sub_f32_e32 v41, v41, v21
	v_add_f32_e32 v40, v40, v49
	v_fma_f32 v30, v38, s26, -v43
	v_rndne_f32_e32 v31, v43
	v_cvt_i32_f32_e32 v18, v18
	v_fmac_f32_e32 v22, 0x32a5705f, v36
	v_sub_f32_e32 v42, v42, v23
	v_add_f32_e32 v20, v41, v20
	v_exp_f32_e32 v40, v40
	v_cvt_i32_f32_e32 v21, v21
	v_fmac_f32_e32 v30, 0x32a5705f, v38
	v_sub_f32_e32 v43, v43, v31
	v_add_f32_e32 v22, v42, v22
	v_exp_f32_e32 v20, v20
	v_cvt_i32_f32_e32 v23, v23
	v_add_f32_e32 v30, v43, v30
	v_exp_f32_e32 v22, v22
	v_cvt_i32_f32_e32 v31, v31
	v_add_f32_e32 v41, v44, v50
	v_exp_f32_e32 v30, v30
	v_fma_f32 v57, v7, s26, -v47
	v_rndne_f32_e32 v58, v47
	v_cvt_i32_f32_e32 v51, v51
	v_fmac_f32_e32 v54, 0x32a5705f, v6
	v_sub_f32_e32 v46, v46, v55
	v_add_f32_e32 v42, v45, v52
	v_exp_f32_e32 v41, v41
	v_ldexp_f32 v18, v40, v18
	v_cmp_ngt_f32_e64 s[0:1], s25, v19
	v_fma_f32 v59, v39, s26, -v48
	v_rndne_f32_e32 v60, v48
	v_cvt_i32_f32_e32 v53, v53
	v_fmac_f32_e32 v57, 0x32a5705f, v7
	v_sub_f32_e32 v47, v47, v58
	v_add_f32_e32 v43, v46, v54
	v_exp_f32_e32 v42, v42
	v_ldexp_f32 v20, v20, v21
	v_cndmask_b32_e64 v18, 0, v18, s[0:1]
	v_cmp_ngt_f32_e64 s[0:1], s25, v29
	v_cvt_i32_f32_e32 v55, v55
	v_fmac_f32_e32 v59, 0x32a5705f, v39
	v_sub_f32_e32 v48, v48, v60
	v_add_f32_e32 v44, v47, v57
	v_exp_f32_e32 v43, v43
	v_ldexp_f32 v21, v22, v23
	v_cndmask_b32_e64 v20, 0, v20, s[0:1]
	v_cmp_ngt_f32_e64 s[0:1], s25, v36
	v_cvt_i32_f32_e32 v58, v58
	v_add_f32_e32 v45, v48, v59
	v_exp_f32_e32 v44, v44
	v_ldexp_f32 v22, v30, v31
	v_cndmask_b32_e64 v21, 0, v21, s[0:1]
	v_cmp_ngt_f32_e64 s[0:1], s25, v38
	v_cvt_i32_f32_e32 v60, v60
	v_exp_f32_e32 v45, v45
	v_ldexp_f32 v23, v41, v51
	v_cndmask_b32_e64 v22, 0, v22, s[0:1]
	v_cmp_ngt_f32_e64 s[0:1], s25, v4
	v_ldexp_f32 v30, v42, v53
	v_ldexp_f32 v31, v43, v55
	;; [unrolled: 1-line block ×4, first 2 shown]
	s_waitcnt vmcnt(0) lgkmcnt(0)
	ds_write_b128 v16, v[0:3]
	flat_load_dwordx4 v[0:3], v[32:33]
	v_cndmask_b32_e64 v16, 0, v23, s[0:1]
	v_cmp_ngt_f32_e64 s[0:1], s25, v5
	s_waitcnt vmcnt(0) lgkmcnt(0)
	ds_write_b128 v28, v[0:3]
	flat_load_dwordx4 v[0:3], v[34:35]
	v_cndmask_b32_e64 v23, 0, v30, s[0:1]
	v_cmp_ngt_f32_e64 s[0:1], s25, v6
	s_waitcnt vmcnt(0) lgkmcnt(0)
	ds_write_b128 v17, v[0:3]
	v_cndmask_b32_e64 v30, 0, v31, s[0:1]
	v_cmp_ngt_f32_e64 s[0:1], s25, v7
	s_waitcnt lgkmcnt(0)
	s_barrier
	v_cndmask_b32_e64 v31, 0, v40, s[0:1]
	v_cmp_ngt_f32_e64 s[0:1], s25, v39
	s_nop 1
	v_cndmask_b32_e64 v32, 0, v41, s[0:1]
	v_cmp_nlt_f32_e64 s[0:1], s23, v19
	s_nop 1
	v_cndmask_b32_e64 v18, v56, v18, s[0:1]
	v_cmp_nlt_f32_e64 s[0:1], s23, v29
	;; [unrolled: 3-line block ×5, first 2 shown]
	v_cndmask_b32_e64 v4, v14, v20, s[14:15]
	s_nop 0
	v_cndmask_b32_e64 v29, v56, v16, s[0:1]
	v_cmp_nlt_f32_e64 s[0:1], s23, v5
	v_cndmask_b32_e64 v16, 0, v18, s[18:19]
	v_cndmask_b32_e64 v5, v13, v19, s[12:13]
	;; [unrolled: 1-line block ×3, first 2 shown]
	v_cmp_nlt_f32_e64 s[0:1], s23, v6
	v_cndmask_b32_e64 v14, v24, v29, s[8:9]
	v_cndmask_b32_e64 v13, v25, v33, s[10:11]
	;; [unrolled: 1-line block ×3, first 2 shown]
	v_cmp_nlt_f32_e64 s[0:1], s23, v7
	v_cndmask_b32_e64 v7, v15, v21, s[16:17]
	v_add_f32_e32 v19, v19, v16
	v_cndmask_b32_e64 v38, v56, v31, s[0:1]
	v_cmp_nlt_f32_e64 s[0:1], s23, v39
	v_cvt_pk_f16_f32 v7, v4, v7
	v_cvt_pk_f16_f32 v4, v14, v13
	v_cndmask_b32_e64 v13, v16, v19, s[12:13]
	v_cndmask_b32_e64 v6, v56, v32, s[0:1]
	v_cmp_le_f32_e64 s[0:1], s3, v39
	v_add_f32_e32 v14, v13, v20
	v_cndmask_b32_e64 v13, v13, v14, s[14:15]
	v_cndmask_b32_e64 v39, 0, v6, s[0:1]
	v_cvt_f16_f32_e32 v22, v39
	v_add_f32_e32 v14, v13, v21
	v_cndmask_b32_e64 v40, v13, v14, s[16:17]
	v_add_f32_e32 v28, v29, v40
	v_cndmask_b32_e64 v28, v40, v28, s[8:9]
	v_mul_u32_u24_e32 v30, 0x10001, v22
	v_add_f32_e32 v33, v33, v28
	v_pk_mul_f16 v31, v171, v30
	v_pk_mul_f16 v32, v168, v30
	;; [unrolled: 1-line block ×16, first 2 shown]
	v_cndmask_b32_e64 v28, v28, v33, s[10:11]
	v_cvt_f32_f16_e32 v34, v31
	v_cvt_f32_f16_sdwa v35, v31 dst_sel:DWORD dst_unused:UNUSED_PAD src0_sel:WORD_1
	v_cvt_f32_f16_e32 v57, v32
	v_cvt_f32_f16_sdwa v58, v32 dst_sel:DWORD dst_unused:UNUSED_PAD src0_sel:WORD_1
	;; [unrolled: 2-line block ×16, first 2 shown]
	v_add_f32_e32 v33, v36, v28
	v_cndmask_b32_e32 v28, v28, v33, vcc
	v_add_f32_e32 v33, v38, v28
	v_cndmask_b32_e32 v18, v26, v36, vcc
	v_cndmask_b32_e64 v15, v27, v38, s[6:7]
	v_pk_mul_f16 v55, v186, v30
	v_pk_mul_f16 v56, v185, v30
	v_cndmask_b32_e64 v28, v28, v33, s[6:7]
	v_cvt_pk_f16_f32 v6, v16, v5
	v_cvt_pk_f16_f32 v5, v18, v15
	v_pk_mul_f16 v27, v174, v30
	v_pk_mul_f16 v26, v173, v30
	;; [unrolled: 1-line block ×14, first 2 shown]
	v_cvt_f32_f16_e32 v29, v55
	v_cvt_f32_f16_sdwa v30, v55 dst_sel:DWORD dst_unused:UNUSED_PAD src0_sel:WORD_1
	v_cvt_f32_f16_e32 v31, v56
	v_cvt_f32_f16_sdwa v32, v56 dst_sel:DWORD dst_unused:UNUSED_PAD src0_sel:WORD_1
	v_accvgpr_write_b32 a0, v34
	v_accvgpr_write_b32 a1, v35
	v_accvgpr_write_b32 a2, v57
	v_accvgpr_write_b32 a3, v58
	v_accvgpr_write_b32 a4, v59
	v_accvgpr_write_b32 a5, v41
	v_accvgpr_write_b32 a6, v60
	v_accvgpr_write_b32 a7, v42
	v_accvgpr_write_b32 a8, v61
	v_accvgpr_write_b32 a9, v43
	v_accvgpr_write_b32 a10, v62
	v_accvgpr_write_b32 a11, v44
	v_accvgpr_write_b32 a12, v63
	v_accvgpr_write_b32 a13, v45
	v_accvgpr_write_b32 a14, v66
	v_accvgpr_write_b32 a15, v46
	v_accvgpr_write_b32 a16, v67
	v_accvgpr_write_b32 a17, v47
	v_accvgpr_write_b32 a18, v68
	v_accvgpr_write_b32 a19, v48
	v_accvgpr_write_b32 a20, v69
	v_accvgpr_write_b32 a21, v49
	v_accvgpr_write_b32 a22, v70
	v_accvgpr_write_b32 a23, v50
	v_accvgpr_write_b32 a24, v71
	v_accvgpr_write_b32 a25, v51
	v_accvgpr_write_b32 a26, v72
	v_accvgpr_write_b32 a27, v52
	v_accvgpr_write_b32 a28, v73
	v_accvgpr_write_b32 a29, v53
	v_accvgpr_write_b32 a30, v74
	v_accvgpr_write_b32 a31, v54
	v_fmac_f32_e32 v28, v37, v39
	ds_read_u16 v3, v11
	ds_read_u16 v17, v11 offset:32
	ds_read_u16 v33, v11 offset:64
	;; [unrolled: 1-line block ×23, first 2 shown]
	ds_read_u16 v36, v12
	ds_read_u16 v40, v12 offset:32
	ds_read_u16 v44, v12 offset:64
	;; [unrolled: 1-line block ×55, first 2 shown]
	s_waitcnt lgkmcnt(14)
	v_perm_b32 v39, v40, v39, s2
	v_perm_b32 v38, v38, v17, s2
	;; [unrolled: 1-line block ×4, first 2 shown]
	v_mfma_f32_16x16x16_f16 a[4:7], v[38:39], v[6:7], a[4:7]
	v_perm_b32 v38, v49, v48, s2
	v_perm_b32 v49, v63, v58, s2
	;; [unrolled: 1-line block ×6, first 2 shown]
	v_mfma_f32_16x16x16_f16 a[0:3], v[34:35], v[6:7], a[0:3]
	v_perm_b32 v35, v61, v56, s2
	v_perm_b32 v34, v47, v46, s2
	v_perm_b32 v44, v76, v68, s2
	v_mfma_f32_16x16x16_f16 a[20:23], v[48:49], v[6:7], a[20:23]
	v_perm_b32 v49, v67, v60, s2
	v_perm_b32 v48, v55, v52, s2
	v_perm_b32 v46, v77, v69, s2
	;; [unrolled: 4-line block ×3, first 2 shown]
	v_mfma_f32_16x16x16_f16 a[8:11], v[42:43], v[6:7], a[8:11]
	v_perm_b32 v42, v78, v70, s2
	v_accvgpr_read_b32 v3, a0
	v_accvgpr_read_b32 v17, a1
	v_mfma_f32_16x16x16_f16 a[12:15], v[34:35], v[6:7], a[12:15]
	v_perm_b32 v34, v79, v71, s2
	v_accvgpr_read_b32 v33, a2
	v_accvgpr_read_b32 v52, a5
	v_mfma_f32_16x16x16_f16 a[28:31], v[48:49], v[6:7], a[28:31]
	v_accvgpr_read_b32 v48, a3
	v_accvgpr_read_b32 v49, a4
	;; [unrolled: 1-line block ×3, first 2 shown]
	v_mfma_f32_16x16x16_f16 a[24:27], v[38:39], v[6:7], a[24:27]
	v_perm_b32 v38, v81, v73, s2
	v_accvgpr_read_b32 v55, a7
	v_accvgpr_read_b32 v56, a8
	;; [unrolled: 1-line block ×21, first 2 shown]
	v_cvt_f16_f32_e32 v3, v3
	v_cvt_f16_f32_e32 v17, v17
	;; [unrolled: 1-line block ×28, first 2 shown]
	v_perm_b32 v37, v89, v37, s2
	v_perm_b32 v36, v74, v41, s2
	;; [unrolled: 1-line block ×9, first 2 shown]
	v_cvt_f32_f16_e32 v3, v3
	v_cvt_f32_f16_e32 v17, v17
	;; [unrolled: 1-line block ×28, first 2 shown]
	v_accvgpr_write_b32 a0, v3
	v_accvgpr_write_b32 a1, v17
	;; [unrolled: 1-line block ×28, first 2 shown]
	s_waitcnt lgkmcnt(7)
	v_perm_b32 v53, v102, v97, s2
	v_mfma_f32_16x16x16_f16 a[0:3], v[36:37], v[4:5], a[0:3]
	v_accvgpr_read_b32 v74, a24
	v_accvgpr_read_b32 v75, a25
	v_accvgpr_read_b32 v76, a26
	v_mfma_f32_16x16x16_f16 a[4:7], v[40:41], v[4:5], a[4:7]
	v_accvgpr_read_b32 v77, a27
	v_accvgpr_write_b32 a32, v29
	v_accvgpr_write_b32 a33, v30
	v_mfma_f32_16x16x16_f16 a[8:11], v[44:45], v[4:5], a[8:11]
	v_accvgpr_write_b32 a34, v31
	v_accvgpr_write_b32 a35, v32
	v_cvt_f16_f32_e32 v74, v74
	v_mfma_f32_16x16x16_f16 a[12:15], v[46:47], v[4:5], a[12:15]
	v_cvt_f16_f32_e32 v75, v75
	v_cvt_f16_f32_e32 v76, v76
	;; [unrolled: 1-line block ×3, first 2 shown]
	v_mfma_f32_16x16x16_f16 a[16:19], v[42:43], v[4:5], a[16:19]
	v_perm_b32 v51, v95, v87, s2
	v_cvt_f32_f16_e32 v74, v74
	v_cvt_f32_f16_e32 v75, v75
	v_mfma_f32_16x16x16_f16 a[20:23], v[34:35], v[4:5], a[20:23]
	v_cvt_f32_f16_e32 v76, v76
	v_cvt_f32_f16_e32 v77, v77
	v_accvgpr_write_b32 a24, v74
	v_mfma_f32_16x16x16_f16 a[28:31], v[38:39], v[4:5], a[28:31]
	ds_read_u16 v3, v11 offset:256
	ds_read_u16 v17, v11 offset:288
	;; [unrolled: 1-line block ×16, first 2 shown]
	s_waitcnt lgkmcnt(7)
	v_perm_b32 v52, v39, v3, s2
	v_accvgpr_write_b32 a25, v75
	v_accvgpr_write_b32 a26, v76
	v_mfma_f32_16x16x16_f16 a[32:35], v[52:53], v[6:7], a[32:35]
	v_accvgpr_write_b32 a27, v77
	v_perm_b32 v1, v104, v1, s2
	v_cmp_gt_u32_e64 s[0:1], 16, v64
	v_mfma_f32_16x16x16_f16 a[24:27], v[50:51], v[4:5], a[24:27]
	s_nop 3
	v_accvgpr_read_b32 v30, a34
	v_accvgpr_read_b32 v31, a35
	v_cvt_f16_f32_e32 v30, v30
	v_cvt_f16_f32_e32 v31, v31
	v_accvgpr_read_b32 v3, a32
	v_accvgpr_read_b32 v29, a33
	v_cvt_f16_f32_e32 v3, v3
	v_cvt_f16_f32_e32 v29, v29
	v_cvt_f32_f16_e32 v32, v30
	v_cvt_f32_f16_e32 v39, v31
	ds_read_u16 v30, v11 offset:18208
	ds_read_u16 v47, v11 offset:18240
	;; [unrolled: 1-line block ×16, first 2 shown]
	s_waitcnt lgkmcnt(7)
	v_perm_b32 v31, v31, v30, s2
	ds_read_u16 v30, v11 offset:17152
	ds_read_u16 v60, v11 offset:17184
	ds_read_u16 v61, v11 offset:17216
	ds_read_u16 v62, v11 offset:17248
	ds_read_u16 v63, v11 offset:17280
	ds_read_u16 v66, v11 offset:17312
	ds_read_u16 v67, v11 offset:17344
	ds_read_u16 v68, v11 offset:17376
	ds_read_u16 v69, v11 offset:17680
	ds_read_u16 v70, v11 offset:17712
	ds_read_u16 v71, v11 offset:17744
	ds_read_u16 v72, v11 offset:17776
	ds_read_u16 v73, v11 offset:17808
	ds_read_u16 v74, v11 offset:17840
	ds_read_u16 v75, v11 offset:17872
	ds_read_u16 v11, v11 offset:17904
	v_cvt_f32_f16_e32 v3, v3
	v_cvt_f32_f16_e32 v29, v29
	s_waitcnt lgkmcnt(7)
	v_perm_b32 v30, v69, v30, s2
	v_accvgpr_write_b32 a34, v32
	v_accvgpr_write_b32 a32, v3
	;; [unrolled: 1-line block ×4, first 2 shown]
	v_cvt_f32_f16_e32 v3, v27
	v_cvt_f32_f16_sdwa v29, v27 dst_sel:DWORD dst_unused:UNUSED_PAD src0_sel:WORD_1
	v_mfma_f32_16x16x16_f16 a[32:35], v[30:31], v[4:5], a[32:35]
	v_cvt_f32_f16_e32 v30, v26
	v_cvt_f32_f16_sdwa v31, v26 dst_sel:DWORD dst_unused:UNUSED_PAD src0_sel:WORD_1
	v_perm_b32 v27, v103, v0, s2
	v_perm_b32 v26, v40, v17, s2
	v_accvgpr_write_b32 a36, v3
	v_accvgpr_write_b32 a37, v29
	v_accvgpr_write_b32 a38, v30
	v_accvgpr_write_b32 a39, v31
	s_waitcnt lgkmcnt(0)
	s_barrier
	v_mfma_f32_16x16x16_f16 a[36:39], v[26:27], v[6:7], a[36:39]
	v_perm_b32 v27, v54, v47, s2
	s_nop 6
	v_accvgpr_read_b32 v0, a36
	v_accvgpr_read_b32 v3, a37
	;; [unrolled: 1-line block ×3, first 2 shown]
	v_cvt_f16_f32_e32 v0, v0
	v_cvt_f16_f32_e32 v3, v3
	;; [unrolled: 1-line block ×3, first 2 shown]
	v_accvgpr_read_b32 v26, a39
	v_cvt_f32_f16_e32 v0, v0
	v_cvt_f32_f16_e32 v3, v3
	;; [unrolled: 1-line block ×3, first 2 shown]
	v_cvt_f16_f32_e32 v26, v26
	v_accvgpr_write_b32 a36, v0
	v_accvgpr_write_b32 a37, v3
	;; [unrolled: 1-line block ×3, first 2 shown]
	v_cvt_f32_f16_e32 v3, v25
	v_cvt_f32_f16_sdwa v17, v25 dst_sel:DWORD dst_unused:UNUSED_PAD src0_sel:WORD_1
	v_cvt_f32_f16_e32 v25, v24
	v_cvt_f32_f16_sdwa v24, v24 dst_sel:DWORD dst_unused:UNUSED_PAD src0_sel:WORD_1
	v_perm_b32 v0, v41, v33, s2
	v_accvgpr_write_b32 a40, v3
	v_accvgpr_write_b32 a41, v17
	;; [unrolled: 1-line block ×4, first 2 shown]
	v_cvt_f32_f16_e32 v29, v26
	v_perm_b32 v26, v70, v60, s2
	v_mfma_f32_16x16x16_f16 a[40:43], v[0:1], v[6:7], a[40:43]
	v_accvgpr_write_b32 a39, v29
	s_nop 1
	v_mfma_f32_16x16x16_f16 a[36:39], v[26:27], v[4:5], a[36:39]
	s_nop 3
	v_accvgpr_read_b32 v0, a40
	v_accvgpr_read_b32 v1, a41
	v_accvgpr_read_b32 v3, a42
	v_accvgpr_read_b32 v17, a43
	v_cvt_f16_f32_e32 v0, v0
	v_cvt_f16_f32_e32 v1, v1
	v_cvt_f16_f32_e32 v3, v3
	v_cvt_f16_f32_e32 v17, v17
	v_cvt_f32_f16_e32 v24, v0
	v_cvt_f32_f16_e32 v25, v1
	v_cvt_f32_f16_e32 v3, v3
	v_cvt_f32_f16_e32 v17, v17
	v_perm_b32 v1, v55, v48, s2
	v_perm_b32 v0, v71, v61, s2
	v_accvgpr_write_b32 a40, v24
	v_accvgpr_write_b32 a41, v25
	v_accvgpr_write_b32 a42, v3
	v_accvgpr_write_b32 a43, v17
	v_cvt_f32_f16_e32 v3, v23
	v_cvt_f32_f16_sdwa v17, v23 dst_sel:DWORD dst_unused:UNUSED_PAD src0_sel:WORD_1
	v_mfma_f32_16x16x16_f16 a[40:43], v[0:1], v[4:5], a[40:43]
	v_cvt_f32_f16_e32 v23, v22
	v_cvt_f32_f16_sdwa v22, v22 dst_sel:DWORD dst_unused:UNUSED_PAD src0_sel:WORD_1
	v_perm_b32 v1, v105, v2, s2
	v_perm_b32 v0, v42, v34, s2
	v_accvgpr_write_b32 a44, v3
	v_accvgpr_write_b32 a45, v17
	v_accvgpr_write_b32 a46, v23
	v_accvgpr_write_b32 a47, v22
	s_nop 1
	v_mfma_f32_16x16x16_f16 a[44:47], v[0:1], v[6:7], a[44:47]
	s_nop 7
	v_accvgpr_read_b32 v0, a44
	v_accvgpr_read_b32 v1, a45
	v_accvgpr_read_b32 v2, a46
	v_accvgpr_read_b32 v3, a47
	v_cvt_f16_f32_e32 v0, v0
	v_cvt_f16_f32_e32 v1, v1
	v_cvt_f16_f32_e32 v2, v2
	v_cvt_f16_f32_e32 v3, v3
	v_cvt_f32_f16_e32 v17, v0
	v_cvt_f32_f16_e32 v22, v1
	v_cvt_f32_f16_e32 v2, v2
	v_cvt_f32_f16_e32 v3, v3
	v_perm_b32 v1, v56, v49, s2
	v_perm_b32 v0, v72, v62, s2
	v_accvgpr_write_b32 a44, v17
	v_accvgpr_write_b32 a45, v22
	v_accvgpr_write_b32 a46, v2
	v_accvgpr_write_b32 a47, v3
	v_cvt_f32_f16_e32 v2, v21
	v_cvt_f32_f16_sdwa v3, v21 dst_sel:DWORD dst_unused:UNUSED_PAD src0_sel:WORD_1
	v_mfma_f32_16x16x16_f16 a[44:47], v[0:1], v[4:5], a[44:47]
	v_cvt_f32_f16_e32 v17, v20
	v_cvt_f32_f16_sdwa v20, v20 dst_sel:DWORD dst_unused:UNUSED_PAD src0_sel:WORD_1
	v_perm_b32 v1, v106, v98, s2
	v_perm_b32 v0, v43, v35, s2
	v_accvgpr_write_b32 a48, v2
	v_accvgpr_write_b32 a49, v3
	v_accvgpr_write_b32 a50, v17
	;; [unrolled: 32-line block ×5, first 2 shown]
	v_accvgpr_write_b32 a63, v13
	s_nop 1
	v_mfma_f32_16x16x16_f16 a[60:63], v[0:1], v[6:7], a[60:63]
	s_nop 7
	v_accvgpr_read_b32 v0, a60
	v_cvt_f16_f32_e32 v0, v0
	v_accvgpr_read_b32 v1, a61
	v_accvgpr_read_b32 v2, a62
	;; [unrolled: 1-line block ×3, first 2 shown]
	v_cvt_f16_f32_e32 v1, v1
	v_cvt_f16_f32_e32 v2, v2
	;; [unrolled: 1-line block ×3, first 2 shown]
	v_cvt_f32_f16_e32 v6, v0
	v_cvt_f32_f16_e32 v7, v1
	;; [unrolled: 1-line block ×4, first 2 shown]
	v_perm_b32 v1, v12, v53, s2
	v_perm_b32 v0, v11, v68, s2
	v_accvgpr_write_b32 a60, v6
	ds_bpermute_b32 v6, v9, v28
	v_accvgpr_write_b32 a61, v7
	v_accvgpr_write_b32 a62, v2
	;; [unrolled: 1-line block ×3, first 2 shown]
	s_nop 1
	v_mfma_f32_16x16x16_f16 a[60:63], v[0:1], v[4:5], a[60:63]
	s_waitcnt lgkmcnt(0)
	v_add_f32_e32 v0, v28, v6
	ds_bpermute_b32 v1, v8, v0
	s_and_saveexec_b64 s[2:3], s[0:1]
	s_cbranch_execz .LBB30_595
; %bb.594:
	s_waitcnt lgkmcnt(0)
	v_add_f32_e32 v0, v0, v1
	v_or_b32_e32 v1, v216, v64
	v_mad_u32_u24 v1, v1, s22, 0
	ds_write2_b32 v1, v10, v0 offset0:128 offset1:129
.LBB30_595:
	s_or_b64 exec, exec, s[2:3]
	v_and_b32_e32 v0, 1, v192
	v_cmp_eq_u32_e32 vcc, 0, v0
	v_cmp_eq_u32_e64 s[4:5], 1, v0
	s_waitcnt lgkmcnt(0)
	s_barrier
	s_and_saveexec_b64 s[2:3], s[4:5]
	s_xor_b64 s[2:3], exec, s[2:3]
	s_cbranch_execz .LBB30_597
; %bb.596:
	s_barrier
                                        ; implicit-def: $vgpr217
                                        ; implicit-def: $vgpr8
.LBB30_597:
	s_or_saveexec_b64 s[2:3], s[2:3]
	v_readlane_b32 s4, v254, 21
	v_readlane_b32 s14, v254, 31
	;; [unrolled: 1-line block ×5, first 2 shown]
	s_mov_b64 s[14:15], s[18:19]
	v_readlane_b32 s5, v254, 22
	v_readlane_b32 s6, v254, 23
	;; [unrolled: 1-line block ×11, first 2 shown]
	s_xor_b64 exec, exec, s[2:3]
	s_cbranch_execz .LBB30_603
; %bb.598:
	v_and_or_b32 v1, v64, 31, v216
	s_movk_i32 s4, 0x210
	v_mad_u32_u24 v0, v1, s4, 0
	ds_read_b64 v[4:5], v0 offset:512
	s_mov_b32 s4, 0x3fb8aa3b
	s_mov_b32 s6, 0x42b17218
	s_waitcnt lgkmcnt(0)
	s_barrier
	ds_bpermute_b32 v0, v8, v4
	v_max_f32_e32 v2, v4, v4
	s_waitcnt lgkmcnt(0)
	v_max_f32_e32 v0, v0, v0
	v_max_f32_e32 v0, v2, v0
	v_sub_f32_e32 v2, v4, v0
	v_mul_f32_e32 v3, 0x3fb8aa3b, v2
	v_fma_f32 v4, v2, s4, -v3
	v_rndne_f32_e32 v6, v3
	v_fmamk_f32 v4, v2, 0x32a5705f, v4
	v_sub_f32_e32 v3, v3, v6
	v_add_f32_e32 v3, v3, v4
	v_cvt_i32_f32_e32 v6, v6
	v_exp_f32_e32 v3, v3
	s_mov_b32 s4, 0xc2ce8ed0
	v_cmp_ngt_f32_e64 s[4:5], s4, v2
	v_mov_b32_e32 v4, 0x7f800000
	v_ldexp_f32 v3, v3, v6
	v_cndmask_b32_e64 v3, 0, v3, s[4:5]
	v_cmp_nlt_f32_e64 s[4:5], s6, v2
	s_nop 1
	v_cndmask_b32_e64 v2, v4, v3, s[4:5]
	v_mul_f32_e32 v3, v5, v2
	ds_bpermute_b32 v3, v8, v3
	v_cmp_gt_u32_e64 s[4:5], 32, v64
	s_waitcnt lgkmcnt(0)
	v_fmac_f32_e32 v3, v5, v2
	s_and_saveexec_b64 s[6:7], s[4:5]
; %bb.599:
	v_mul_u32_u24_e32 v1, 0x210, v1
	v_add_u32_e32 v1, 0, v1
	ds_write_b64 v1, v[2:3] offset:512
; %bb.600:
	s_or_b64 exec, exec, s[6:7]
	s_and_saveexec_b64 s[4:5], s[0:1]
	s_cbranch_execz .LBB30_602
; %bb.601:
	s_add_i32 s0, s63, s70
	s_lshl_b32 s0, s0, 5
	s_mov_b32 s1, 0
	s_lshl_b64 s[0:1], s[0:1], 3
	s_add_u32 s0, s14, s0
	v_or_b32_e32 v1, v217, v64
	s_addc_u32 s1, s15, s1
	v_lshlrev_b32_e32 v2, 3, v1
	v_mov_b32_e32 v1, v3
	global_store_dwordx2 v2, v[0:1], s[0:1]
.LBB30_602:
	s_or_b64 exec, exec, s[4:5]
.LBB30_603:
	s_or_b64 exec, exec, s[2:3]
	v_accvgpr_read_b32 v0, a60
	v_accvgpr_read_b32 v1, a61
	;; [unrolled: 1-line block ×3, first 2 shown]
	v_cvt_pk_f16_f32 v0, v0, v1
	v_or_b32_e32 v1, v216, v112
	v_accvgpr_read_b32 v62, a2
	v_accvgpr_read_b32 v61, a1
	v_accvgpr_read_b32 v60, a0
	v_accvgpr_read_b32 v59, a7
	v_accvgpr_read_b32 v55, a11
	v_accvgpr_read_b32 v51, a15
	v_accvgpr_read_b32 v47, a19
	v_accvgpr_read_b32 v43, a23
	v_accvgpr_read_b32 v39, a27
	v_accvgpr_read_b32 v35, a31
	v_accvgpr_read_b32 v28, a32
	v_accvgpr_read_b32 v24, a36
	v_accvgpr_read_b32 v20, a40
	v_accvgpr_read_b32 v16, a44
	v_accvgpr_read_b32 v12, a48
	v_accvgpr_read_b32 v8, a52
	v_accvgpr_read_b32 v4, a56
	v_mul_u32_u24_e32 v1, 0x210, v1
	v_accvgpr_read_b32 v58, a6
	v_accvgpr_read_b32 v57, a5
	;; [unrolled: 1-line block ×44, first 2 shown]
	v_cvt_pk_f16_f32 v62, v62, v63
	v_cvt_pk_f16_f32 v60, v60, v61
	s_movk_i32 s4, 0x210
	s_mov_b32 s3, 0
	v_add3_u32 v1, 0, v1, v113
	v_cvt_pk_f16_f32 v58, v58, v59
	v_cvt_pk_f16_f32 v56, v56, v57
	;; [unrolled: 1-line block ×29, first 2 shown]
	ds_write2_b32 v1, v60, v62 offset1:1
	ds_write2_b32 v1, v56, v58 offset0:8 offset1:9
	ds_write2_b32 v1, v52, v54 offset0:16 offset1:17
	;; [unrolled: 1-line block ×15, first 2 shown]
	s_waitcnt lgkmcnt(0)
	s_barrier
	s_and_saveexec_b64 s[0:1], vcc
	s_cbranch_execz .LBB30_605
; %bb.604:
	s_lshl_b32 s2, s70, 12
	s_lshl_b64 s[6:7], s[2:3], 3
	s_add_u32 s5, s14, s6
	s_addc_u32 s6, s15, s7
	s_lshl_b32 s2, s63, 6
	s_lshl_b64 s[2:3], s[2:3], 3
	s_add_u32 s2, s5, s2
	v_bfe_u32 v1, v192, 1, 4
	s_movk_i32 s5, 0x3e0
	v_and_or_b32 v2, v192, s5, v1
	v_mad_u32_u24 v6, v2, s4, 0
	v_add_u32_e32 v4, v6, v65
	ds_read2st64_b32 v[2:3], v4 offset1:1
	ds_read2st64_b32 v[4:5], v4 offset0:33 offset1:34
	ds_read2st64_b32 v[6:7], v6 offset0:2 offset1:35
	v_lshrrev_b32_e32 v0, 1, v192
	v_lshlrev_b32_e32 v12, 6, v192
	s_waitcnt lgkmcnt(2)
	v_cvt_f32_f16_e32 v8, v2
	v_cvt_f32_f16_sdwa v9, v2 dst_sel:DWORD dst_unused:UNUSED_PAD src0_sel:WORD_1
	s_waitcnt lgkmcnt(1)
	v_cvt_f32_f16_e32 v10, v4
	v_cvt_f32_f16_sdwa v11, v4 dst_sel:DWORD dst_unused:UNUSED_PAD src0_sel:WORD_1
	s_waitcnt lgkmcnt(0)
	v_mov_b32_e32 v2, v7
	v_pk_fma_f32 v[8:9], v[6:7], v[8:9], 0 op_sel_hi:[0,1,0]
	s_addc_u32 s3, s6, s3
	v_add_lshl_u32 v12, v64, v12, 3
	v_pk_fma_f32 v[8:9], v[2:3], v[10:11], v[8:9] op_sel_hi:[0,1,1]
	v_add_u32_e32 v13, 2, v0
	global_store_dwordx2 v12, v[8:9], s[2:3]
	v_cvt_f32_f16_e32 v8, v3
	v_cvt_f32_f16_sdwa v9, v3 dst_sel:DWORD dst_unused:UNUSED_PAD src0_sel:WORD_1
	v_lshlrev_b32_e32 v3, 1, v13
	v_and_b32_e32 v7, 15, v13
	s_movk_i32 s5, 0x7e0
	v_and_or_b32 v3, v3, s5, v7
	v_mad_u32_u24 v14, v3, s4, 0
	v_add_u32_e32 v15, v14, v65
	v_cvt_f32_f16_e32 v4, v5
	v_cvt_f32_f16_sdwa v5, v5 dst_sel:DWORD dst_unused:UNUSED_PAD src0_sel:WORD_1
	ds_read2st64_b32 v[10:11], v15 offset1:1
	v_pk_fma_f32 v[6:7], v[6:7], v[8:9], 0 op_sel_hi:[0,1,0]
	v_pk_fma_f32 v[2:3], v[2:3], v[4:5], v[6:7] op_sel_hi:[0,1,1]
	ds_read2st64_b32 v[4:5], v14 offset0:2 offset1:35
	ds_read2st64_b32 v[6:7], v15 offset0:33 offset1:34
	s_waitcnt lgkmcnt(2)
	v_cvt_f32_f16_e32 v8, v10
	v_cvt_f32_f16_sdwa v9, v10 dst_sel:DWORD dst_unused:UNUSED_PAD src0_sel:WORD_1
	global_store_dwordx2 v12, v[2:3], s[2:3] offset:512
	v_lshlrev_b32_e32 v2, 7, v13
	v_add_lshl_u32 v14, v64, v2, 3
	s_waitcnt lgkmcnt(1)
	v_pk_fma_f32 v[2:3], v[4:5], v[8:9], 0 op_sel_hi:[0,1,0]
	s_waitcnt lgkmcnt(0)
	v_cvt_f32_f16_e32 v8, v6
	v_cvt_f32_f16_sdwa v9, v6 dst_sel:DWORD dst_unused:UNUSED_PAD src0_sel:WORD_1
	v_cvt_f32_f16_e32 v10, v11
	v_cvt_f32_f16_sdwa v11, v11 dst_sel:DWORD dst_unused:UNUSED_PAD src0_sel:WORD_1
	v_cvt_f32_f16_e32 v12, v7
	v_cvt_f32_f16_sdwa v13, v7 dst_sel:DWORD dst_unused:UNUSED_PAD src0_sel:WORD_1
	v_mov_b32_e32 v6, v5
	v_pk_fma_f32 v[2:3], v[6:7], v[8:9], v[2:3] op_sel_hi:[0,1,1]
	global_store_dwordx2 v14, v[2:3], s[2:3]
	v_pk_fma_f32 v[2:3], v[4:5], v[10:11], 0 op_sel_hi:[0,1,0]
	v_pk_fma_f32 v[2:3], v[6:7], v[12:13], v[2:3] op_sel_hi:[0,1,1]
	v_add_u32_e32 v6, 4, v0
	v_lshlrev_b32_e32 v4, 1, v6
	v_and_b32_e32 v5, 15, v6
	v_and_or_b32 v4, v4, s5, v5
	v_mad_u32_u24 v7, v4, s4, 0
	v_add_u32_e32 v8, v7, v65
	ds_read2st64_b32 v[4:5], v8 offset1:1
	global_store_dwordx2 v14, v[2:3], s[2:3] offset:512
	ds_read2st64_b32 v[2:3], v8 offset0:33 offset1:34
	v_lshlrev_b32_e32 v12, 7, v6
	ds_read2st64_b32 v[6:7], v7 offset0:2 offset1:35
	s_waitcnt lgkmcnt(2)
	v_cvt_f32_f16_e32 v8, v4
	v_cvt_f32_f16_sdwa v9, v4 dst_sel:DWORD dst_unused:UNUSED_PAD src0_sel:WORD_1
	s_waitcnt lgkmcnt(1)
	v_cvt_f32_f16_e32 v10, v2
	v_cvt_f32_f16_sdwa v11, v2 dst_sel:DWORD dst_unused:UNUSED_PAD src0_sel:WORD_1
	s_waitcnt lgkmcnt(0)
	v_mov_b32_e32 v2, v7
	v_pk_fma_f32 v[8:9], v[6:7], v[8:9], 0 op_sel_hi:[0,1,0]
	v_add_lshl_u32 v12, v64, v12, 3
	v_pk_fma_f32 v[8:9], v[2:3], v[10:11], v[8:9] op_sel_hi:[0,1,1]
	v_add_u32_e32 v13, 6, v0
	global_store_dwordx2 v12, v[8:9], s[2:3]
	v_cvt_f32_f16_e32 v8, v3
	v_cvt_f32_f16_sdwa v9, v3 dst_sel:DWORD dst_unused:UNUSED_PAD src0_sel:WORD_1
	v_lshlrev_b32_e32 v3, 1, v13
	v_and_b32_e32 v7, 15, v13
	v_and_or_b32 v3, v3, s5, v7
	v_mad_u32_u24 v7, v3, s4, 0
	v_cvt_f32_f16_e32 v4, v5
	v_cvt_f32_f16_sdwa v5, v5 dst_sel:DWORD dst_unused:UNUSED_PAD src0_sel:WORD_1
	v_add_u32_e32 v14, v7, v65
	ds_read2st64_b32 v[10:11], v14 offset1:1
	v_pk_fma_f32 v[4:5], v[6:7], v[4:5], 0 op_sel_hi:[0,1,0]
	v_pk_fma_f32 v[2:3], v[2:3], v[8:9], v[4:5] op_sel_hi:[0,1,1]
	ds_read2st64_b32 v[4:5], v7 offset0:2 offset1:35
	ds_read2st64_b32 v[6:7], v14 offset0:33 offset1:34
	s_waitcnt lgkmcnt(2)
	v_cvt_f32_f16_e32 v8, v10
	v_cvt_f32_f16_sdwa v9, v10 dst_sel:DWORD dst_unused:UNUSED_PAD src0_sel:WORD_1
	global_store_dwordx2 v12, v[2:3], s[2:3] offset:512
	v_lshlrev_b32_e32 v2, 7, v13
	v_add_lshl_u32 v14, v64, v2, 3
	s_waitcnt lgkmcnt(1)
	v_pk_fma_f32 v[2:3], v[4:5], v[8:9], 0 op_sel_hi:[0,1,0]
	s_waitcnt lgkmcnt(0)
	v_cvt_f32_f16_e32 v8, v6
	v_cvt_f32_f16_sdwa v9, v6 dst_sel:DWORD dst_unused:UNUSED_PAD src0_sel:WORD_1
	v_cvt_f32_f16_e32 v10, v11
	v_cvt_f32_f16_sdwa v11, v11 dst_sel:DWORD dst_unused:UNUSED_PAD src0_sel:WORD_1
	v_cvt_f32_f16_e32 v12, v7
	v_cvt_f32_f16_sdwa v13, v7 dst_sel:DWORD dst_unused:UNUSED_PAD src0_sel:WORD_1
	v_mov_b32_e32 v6, v5
	v_pk_fma_f32 v[2:3], v[6:7], v[8:9], v[2:3] op_sel_hi:[0,1,1]
	global_store_dwordx2 v14, v[2:3], s[2:3]
	v_pk_fma_f32 v[2:3], v[4:5], v[10:11], 0 op_sel_hi:[0,1,0]
	v_pk_fma_f32 v[2:3], v[6:7], v[12:13], v[2:3] op_sel_hi:[0,1,1]
	v_add_u32_e32 v6, 8, v0
	v_lshlrev_b32_e32 v4, 1, v6
	v_and_b32_e32 v5, 15, v6
	v_and_or_b32 v4, v4, s5, v5
	v_mad_u32_u24 v7, v4, s4, 0
	v_add_u32_e32 v8, v7, v65
	ds_read2st64_b32 v[4:5], v8 offset1:1
	global_store_dwordx2 v14, v[2:3], s[2:3] offset:512
	ds_read2st64_b32 v[2:3], v8 offset0:33 offset1:34
	v_lshlrev_b32_e32 v12, 7, v6
	ds_read2st64_b32 v[6:7], v7 offset0:2 offset1:35
	s_waitcnt lgkmcnt(2)
	v_cvt_f32_f16_e32 v8, v4
	v_cvt_f32_f16_sdwa v9, v4 dst_sel:DWORD dst_unused:UNUSED_PAD src0_sel:WORD_1
	s_waitcnt lgkmcnt(1)
	v_cvt_f32_f16_e32 v10, v2
	v_cvt_f32_f16_sdwa v11, v2 dst_sel:DWORD dst_unused:UNUSED_PAD src0_sel:WORD_1
	s_waitcnt lgkmcnt(0)
	v_mov_b32_e32 v2, v7
	v_pk_fma_f32 v[8:9], v[6:7], v[8:9], 0 op_sel_hi:[0,1,0]
	v_add_lshl_u32 v12, v64, v12, 3
	v_pk_fma_f32 v[8:9], v[2:3], v[10:11], v[8:9] op_sel_hi:[0,1,1]
	v_add_u32_e32 v13, 10, v0
	global_store_dwordx2 v12, v[8:9], s[2:3]
	v_cvt_f32_f16_e32 v8, v3
	v_cvt_f32_f16_sdwa v9, v3 dst_sel:DWORD dst_unused:UNUSED_PAD src0_sel:WORD_1
	v_lshlrev_b32_e32 v3, 1, v13
	v_and_b32_e32 v7, 15, v13
	v_and_or_b32 v3, v3, s5, v7
	v_mad_u32_u24 v7, v3, s4, 0
	v_cvt_f32_f16_e32 v4, v5
	v_cvt_f32_f16_sdwa v5, v5 dst_sel:DWORD dst_unused:UNUSED_PAD src0_sel:WORD_1
	v_add_u32_e32 v14, v7, v65
	ds_read2st64_b32 v[10:11], v14 offset1:1
	v_pk_fma_f32 v[4:5], v[6:7], v[4:5], 0 op_sel_hi:[0,1,0]
	v_pk_fma_f32 v[2:3], v[2:3], v[8:9], v[4:5] op_sel_hi:[0,1,1]
	ds_read2st64_b32 v[4:5], v7 offset0:2 offset1:35
	ds_read2st64_b32 v[6:7], v14 offset0:33 offset1:34
	s_waitcnt lgkmcnt(2)
	v_cvt_f32_f16_e32 v8, v10
	v_cvt_f32_f16_sdwa v9, v10 dst_sel:DWORD dst_unused:UNUSED_PAD src0_sel:WORD_1
	global_store_dwordx2 v12, v[2:3], s[2:3] offset:512
	v_lshlrev_b32_e32 v2, 7, v13
	v_add_lshl_u32 v14, v64, v2, 3
	s_waitcnt lgkmcnt(1)
	v_pk_fma_f32 v[2:3], v[4:5], v[8:9], 0 op_sel_hi:[0,1,0]
	s_waitcnt lgkmcnt(0)
	v_cvt_f32_f16_e32 v8, v6
	v_cvt_f32_f16_sdwa v9, v6 dst_sel:DWORD dst_unused:UNUSED_PAD src0_sel:WORD_1
	v_cvt_f32_f16_e32 v10, v11
	v_cvt_f32_f16_sdwa v11, v11 dst_sel:DWORD dst_unused:UNUSED_PAD src0_sel:WORD_1
	v_cvt_f32_f16_e32 v12, v7
	v_cvt_f32_f16_sdwa v13, v7 dst_sel:DWORD dst_unused:UNUSED_PAD src0_sel:WORD_1
	v_mov_b32_e32 v6, v5
	v_pk_fma_f32 v[2:3], v[6:7], v[8:9], v[2:3] op_sel_hi:[0,1,1]
	global_store_dwordx2 v14, v[2:3], s[2:3]
	v_pk_fma_f32 v[2:3], v[4:5], v[10:11], 0 op_sel_hi:[0,1,0]
	v_pk_fma_f32 v[2:3], v[6:7], v[12:13], v[2:3] op_sel_hi:[0,1,1]
	v_add_u32_e32 v6, 12, v0
	v_lshlrev_b32_e32 v4, 1, v6
	v_and_b32_e32 v5, 15, v6
	v_and_or_b32 v4, v4, s5, v5
	v_mad_u32_u24 v7, v4, s4, 0
	v_add_u32_e32 v8, v7, v65
	ds_read2st64_b32 v[4:5], v8 offset1:1
	global_store_dwordx2 v14, v[2:3], s[2:3] offset:512
	ds_read2st64_b32 v[2:3], v8 offset0:33 offset1:34
	v_lshlrev_b32_e32 v12, 7, v6
	ds_read2st64_b32 v[6:7], v7 offset0:2 offset1:35
	s_waitcnt lgkmcnt(2)
	v_cvt_f32_f16_e32 v8, v4
	v_cvt_f32_f16_sdwa v9, v4 dst_sel:DWORD dst_unused:UNUSED_PAD src0_sel:WORD_1
	s_waitcnt lgkmcnt(1)
	v_cvt_f32_f16_e32 v10, v2
	v_cvt_f32_f16_sdwa v11, v2 dst_sel:DWORD dst_unused:UNUSED_PAD src0_sel:WORD_1
	s_waitcnt lgkmcnt(0)
	v_mov_b32_e32 v2, v7
	v_pk_fma_f32 v[8:9], v[6:7], v[8:9], 0 op_sel_hi:[0,1,0]
	v_add_lshl_u32 v12, v64, v12, 3
	v_pk_fma_f32 v[8:9], v[2:3], v[10:11], v[8:9] op_sel_hi:[0,1,1]
	v_add_u32_e32 v13, 14, v0
	global_store_dwordx2 v12, v[8:9], s[2:3]
	v_cvt_f32_f16_e32 v8, v3
	v_cvt_f32_f16_sdwa v9, v3 dst_sel:DWORD dst_unused:UNUSED_PAD src0_sel:WORD_1
	v_lshlrev_b32_e32 v3, 1, v13
	v_and_b32_e32 v7, 15, v13
	v_and_or_b32 v3, v3, s5, v7
	v_mad_u32_u24 v7, v3, s4, 0
	v_cvt_f32_f16_e32 v4, v5
	v_cvt_f32_f16_sdwa v5, v5 dst_sel:DWORD dst_unused:UNUSED_PAD src0_sel:WORD_1
	v_add_u32_e32 v14, v7, v65
	ds_read2st64_b32 v[10:11], v14 offset1:1
	v_pk_fma_f32 v[4:5], v[6:7], v[4:5], 0 op_sel_hi:[0,1,0]
	v_pk_fma_f32 v[2:3], v[2:3], v[8:9], v[4:5] op_sel_hi:[0,1,1]
	ds_read2st64_b32 v[4:5], v7 offset0:2 offset1:35
	ds_read2st64_b32 v[6:7], v14 offset0:33 offset1:34
	s_waitcnt lgkmcnt(2)
	v_cvt_f32_f16_e32 v8, v10
	v_cvt_f32_f16_sdwa v9, v10 dst_sel:DWORD dst_unused:UNUSED_PAD src0_sel:WORD_1
	global_store_dwordx2 v12, v[2:3], s[2:3] offset:512
	v_lshlrev_b32_e32 v2, 7, v13
	v_add_lshl_u32 v14, v64, v2, 3
	s_waitcnt lgkmcnt(1)
	v_pk_fma_f32 v[2:3], v[4:5], v[8:9], 0 op_sel_hi:[0,1,0]
	s_waitcnt lgkmcnt(0)
	v_cvt_f32_f16_e32 v8, v6
	v_cvt_f32_f16_sdwa v9, v6 dst_sel:DWORD dst_unused:UNUSED_PAD src0_sel:WORD_1
	v_cvt_f32_f16_e32 v10, v11
	v_cvt_f32_f16_sdwa v11, v11 dst_sel:DWORD dst_unused:UNUSED_PAD src0_sel:WORD_1
	;; [unrolled: 2-line block ×3, first 2 shown]
	v_mov_b32_e32 v6, v5
	v_pk_fma_f32 v[2:3], v[6:7], v[8:9], v[2:3] op_sel_hi:[0,1,1]
	global_store_dwordx2 v14, v[2:3], s[2:3]
	v_pk_fma_f32 v[2:3], v[4:5], v[10:11], 0 op_sel_hi:[0,1,0]
	v_pk_fma_f32 v[2:3], v[6:7], v[12:13], v[2:3] op_sel_hi:[0,1,1]
	v_add_u32_e32 v6, 16, v0
	v_lshlrev_b32_e32 v4, 1, v6
	v_and_or_b32 v1, v4, s5, v1
	v_mad_u32_u24 v1, v1, s4, 0
	v_add_u32_e32 v7, v1, v65
	ds_read2st64_b32 v[4:5], v7 offset1:1
	global_store_dwordx2 v14, v[2:3], s[2:3] offset:512
	ds_read2st64_b32 v[2:3], v7 offset0:33 offset1:34
	v_lshlrev_b32_e32 v12, 7, v6
	ds_read2st64_b32 v[6:7], v1 offset0:2 offset1:35
	s_waitcnt lgkmcnt(2)
	v_cvt_f32_f16_e32 v8, v4
	v_cvt_f32_f16_sdwa v9, v4 dst_sel:DWORD dst_unused:UNUSED_PAD src0_sel:WORD_1
	s_waitcnt lgkmcnt(1)
	v_cvt_f32_f16_e32 v10, v2
	v_cvt_f32_f16_sdwa v11, v2 dst_sel:DWORD dst_unused:UNUSED_PAD src0_sel:WORD_1
	s_waitcnt lgkmcnt(0)
	v_mov_b32_e32 v2, v7
	v_pk_fma_f32 v[8:9], v[6:7], v[8:9], 0 op_sel_hi:[0,1,0]
	v_add_lshl_u32 v1, v64, v12, 3
	v_pk_fma_f32 v[8:9], v[2:3], v[10:11], v[8:9] op_sel_hi:[0,1,1]
	v_add_u32_e32 v12, 18, v0
	global_store_dwordx2 v1, v[8:9], s[2:3]
	v_cvt_f32_f16_e32 v8, v3
	v_cvt_f32_f16_sdwa v9, v3 dst_sel:DWORD dst_unused:UNUSED_PAD src0_sel:WORD_1
	v_lshlrev_b32_e32 v3, 1, v12
	v_and_b32_e32 v7, 15, v12
	v_and_or_b32 v3, v3, s5, v7
	v_mad_u32_u24 v7, v3, s4, 0
	v_cvt_f32_f16_e32 v4, v5
	v_cvt_f32_f16_sdwa v5, v5 dst_sel:DWORD dst_unused:UNUSED_PAD src0_sel:WORD_1
	v_add_u32_e32 v13, v7, v65
	ds_read2st64_b32 v[10:11], v13 offset1:1
	v_pk_fma_f32 v[4:5], v[6:7], v[4:5], 0 op_sel_hi:[0,1,0]
	v_pk_fma_f32 v[2:3], v[2:3], v[8:9], v[4:5] op_sel_hi:[0,1,1]
	ds_read2st64_b32 v[4:5], v7 offset0:2 offset1:35
	ds_read2st64_b32 v[6:7], v13 offset0:33 offset1:34
	s_waitcnt lgkmcnt(2)
	v_cvt_f32_f16_e32 v8, v10
	v_cvt_f32_f16_sdwa v9, v10 dst_sel:DWORD dst_unused:UNUSED_PAD src0_sel:WORD_1
	global_store_dwordx2 v1, v[2:3], s[2:3] offset:512
	v_cvt_f32_f16_e32 v10, v11
	v_cvt_f32_f16_sdwa v11, v11 dst_sel:DWORD dst_unused:UNUSED_PAD src0_sel:WORD_1
	s_waitcnt lgkmcnt(1)
	v_pk_fma_f32 v[2:3], v[4:5], v[8:9], 0 op_sel_hi:[0,1,0]
	s_waitcnt lgkmcnt(0)
	v_cvt_f32_f16_e32 v8, v6
	v_cvt_f32_f16_sdwa v9, v6 dst_sel:DWORD dst_unused:UNUSED_PAD src0_sel:WORD_1
	v_lshlrev_b32_e32 v1, 7, v12
	v_cvt_f32_f16_e32 v12, v7
	v_cvt_f32_f16_sdwa v13, v7 dst_sel:DWORD dst_unused:UNUSED_PAD src0_sel:WORD_1
	v_mov_b32_e32 v6, v5
	v_add_lshl_u32 v1, v64, v1, 3
	v_pk_fma_f32 v[2:3], v[6:7], v[8:9], v[2:3] op_sel_hi:[0,1,1]
	global_store_dwordx2 v1, v[2:3], s[2:3]
	v_pk_fma_f32 v[2:3], v[4:5], v[10:11], 0 op_sel_hi:[0,1,0]
	v_pk_fma_f32 v[2:3], v[6:7], v[12:13], v[2:3] op_sel_hi:[0,1,1]
	v_add_u32_e32 v6, 20, v0
	v_lshlrev_b32_e32 v4, 1, v6
	v_and_b32_e32 v5, 15, v6
	v_and_or_b32 v4, v4, s5, v5
	v_mad_u32_u24 v7, v4, s4, 0
	v_add_u32_e32 v8, v7, v65
	ds_read2st64_b32 v[4:5], v8 offset1:1
	global_store_dwordx2 v1, v[2:3], s[2:3] offset:512
	ds_read2st64_b32 v[2:3], v8 offset0:33 offset1:34
	v_lshlrev_b32_e32 v1, 7, v6
	ds_read2st64_b32 v[6:7], v7 offset0:2 offset1:35
	s_waitcnt lgkmcnt(2)
	v_cvt_f32_f16_e32 v8, v4
	v_cvt_f32_f16_sdwa v9, v4 dst_sel:DWORD dst_unused:UNUSED_PAD src0_sel:WORD_1
	s_waitcnt lgkmcnt(1)
	v_cvt_f32_f16_e32 v10, v2
	v_cvt_f32_f16_sdwa v11, v2 dst_sel:DWORD dst_unused:UNUSED_PAD src0_sel:WORD_1
	s_waitcnt lgkmcnt(0)
	v_mov_b32_e32 v2, v7
	v_pk_fma_f32 v[8:9], v[6:7], v[8:9], 0 op_sel_hi:[0,1,0]
	v_add_lshl_u32 v1, v64, v1, 3
	v_pk_fma_f32 v[8:9], v[2:3], v[10:11], v[8:9] op_sel_hi:[0,1,1]
	v_add_u32_e32 v12, 22, v0
	global_store_dwordx2 v1, v[8:9], s[2:3]
	v_cvt_f32_f16_e32 v8, v3
	v_cvt_f32_f16_sdwa v9, v3 dst_sel:DWORD dst_unused:UNUSED_PAD src0_sel:WORD_1
	v_lshlrev_b32_e32 v3, 1, v12
	v_and_b32_e32 v7, 15, v12
	v_and_or_b32 v3, v3, s5, v7
	v_mad_u32_u24 v7, v3, s4, 0
	v_cvt_f32_f16_e32 v4, v5
	v_cvt_f32_f16_sdwa v5, v5 dst_sel:DWORD dst_unused:UNUSED_PAD src0_sel:WORD_1
	v_add_u32_e32 v13, v7, v65
	ds_read2st64_b32 v[10:11], v13 offset1:1
	v_pk_fma_f32 v[4:5], v[6:7], v[4:5], 0 op_sel_hi:[0,1,0]
	v_pk_fma_f32 v[2:3], v[2:3], v[8:9], v[4:5] op_sel_hi:[0,1,1]
	ds_read2st64_b32 v[4:5], v7 offset0:2 offset1:35
	ds_read2st64_b32 v[6:7], v13 offset0:33 offset1:34
	s_waitcnt lgkmcnt(2)
	v_cvt_f32_f16_e32 v8, v10
	v_cvt_f32_f16_sdwa v9, v10 dst_sel:DWORD dst_unused:UNUSED_PAD src0_sel:WORD_1
	global_store_dwordx2 v1, v[2:3], s[2:3] offset:512
	v_cvt_f32_f16_e32 v10, v11
	v_cvt_f32_f16_sdwa v11, v11 dst_sel:DWORD dst_unused:UNUSED_PAD src0_sel:WORD_1
	s_waitcnt lgkmcnt(1)
	v_pk_fma_f32 v[2:3], v[4:5], v[8:9], 0 op_sel_hi:[0,1,0]
	s_waitcnt lgkmcnt(0)
	v_cvt_f32_f16_e32 v8, v6
	v_cvt_f32_f16_sdwa v9, v6 dst_sel:DWORD dst_unused:UNUSED_PAD src0_sel:WORD_1
	v_lshlrev_b32_e32 v1, 7, v12
	v_cvt_f32_f16_e32 v12, v7
	v_cvt_f32_f16_sdwa v13, v7 dst_sel:DWORD dst_unused:UNUSED_PAD src0_sel:WORD_1
	v_mov_b32_e32 v6, v5
	v_add_lshl_u32 v1, v64, v1, 3
	v_pk_fma_f32 v[2:3], v[6:7], v[8:9], v[2:3] op_sel_hi:[0,1,1]
	global_store_dwordx2 v1, v[2:3], s[2:3]
	v_pk_fma_f32 v[2:3], v[4:5], v[10:11], 0 op_sel_hi:[0,1,0]
	v_pk_fma_f32 v[2:3], v[6:7], v[12:13], v[2:3] op_sel_hi:[0,1,1]
	v_add_u32_e32 v6, 24, v0
	v_lshlrev_b32_e32 v4, 1, v6
	v_and_b32_e32 v5, 15, v6
	;; [unrolled: 58-line block ×3, first 2 shown]
	v_and_or_b32 v4, v4, s5, v5
	v_mad_u32_u24 v7, v4, s4, 0
	v_add_u32_e32 v8, v7, v65
	ds_read2st64_b32 v[4:5], v8 offset1:1
	global_store_dwordx2 v1, v[2:3], s[2:3] offset:512
	ds_read2st64_b32 v[2:3], v8 offset0:33 offset1:34
	v_lshlrev_b32_e32 v1, 7, v6
	ds_read2st64_b32 v[6:7], v7 offset0:2 offset1:35
	s_waitcnt lgkmcnt(2)
	v_cvt_f32_f16_e32 v8, v4
	v_cvt_f32_f16_sdwa v9, v4 dst_sel:DWORD dst_unused:UNUSED_PAD src0_sel:WORD_1
	s_waitcnt lgkmcnt(1)
	v_cvt_f32_f16_e32 v10, v2
	v_cvt_f32_f16_sdwa v11, v2 dst_sel:DWORD dst_unused:UNUSED_PAD src0_sel:WORD_1
	s_waitcnt lgkmcnt(0)
	v_mov_b32_e32 v2, v7
	v_pk_fma_f32 v[8:9], v[6:7], v[8:9], 0 op_sel_hi:[0,1,0]
	v_add_lshl_u32 v12, v64, v1, 3
	v_pk_fma_f32 v[8:9], v[2:3], v[10:11], v[8:9] op_sel_hi:[0,1,1]
	v_add_u32_e32 v10, 30, v0
	v_lshlrev_b32_e32 v0, 1, v10
	v_and_b32_e32 v1, 15, v10
	v_and_or_b32 v0, v0, s5, v1
	v_mad_u32_u24 v7, v0, s4, 0
	v_cvt_f32_f16_e32 v4, v5
	v_cvt_f32_f16_sdwa v5, v5 dst_sel:DWORD dst_unused:UNUSED_PAD src0_sel:WORD_1
	v_add_u32_e32 v11, v7, v65
	global_store_dwordx2 v12, v[8:9], s[2:3]
	v_cvt_f32_f16_e32 v8, v3
	v_cvt_f32_f16_sdwa v9, v3 dst_sel:DWORD dst_unused:UNUSED_PAD src0_sel:WORD_1
	ds_read2st64_b32 v[0:1], v11 offset1:1
	v_pk_fma_f32 v[4:5], v[6:7], v[4:5], 0 op_sel_hi:[0,1,0]
	v_pk_fma_f32 v[2:3], v[2:3], v[8:9], v[4:5] op_sel_hi:[0,1,1]
	ds_read2st64_b32 v[4:5], v7 offset0:2 offset1:35
	ds_read2st64_b32 v[6:7], v11 offset0:33 offset1:34
	s_waitcnt lgkmcnt(2)
	v_cvt_f32_f16_e32 v8, v0
	v_cvt_f32_f16_sdwa v9, v0 dst_sel:DWORD dst_unused:UNUSED_PAD src0_sel:WORD_1
	global_store_dwordx2 v12, v[2:3], s[2:3] offset:512
	v_lshlrev_b32_e32 v0, 7, v10
	v_cvt_f32_f16_e32 v10, v1
	s_waitcnt lgkmcnt(1)
	v_pk_fma_f32 v[2:3], v[4:5], v[8:9], 0 op_sel_hi:[0,1,0]
	s_waitcnt lgkmcnt(0)
	v_cvt_f32_f16_e32 v8, v6
	v_cvt_f32_f16_sdwa v9, v6 dst_sel:DWORD dst_unused:UNUSED_PAD src0_sel:WORD_1
	v_cvt_f32_f16_sdwa v11, v1 dst_sel:DWORD dst_unused:UNUSED_PAD src0_sel:WORD_1
	v_cvt_f32_f16_e32 v6, v7
	v_cvt_f32_f16_sdwa v7, v7 dst_sel:DWORD dst_unused:UNUSED_PAD src0_sel:WORD_1
	v_add_lshl_u32 v12, v64, v0, 3
	v_mov_b32_e32 v0, v5
	v_pk_fma_f32 v[2:3], v[0:1], v[8:9], v[2:3] op_sel_hi:[0,1,1]
	global_store_dwordx2 v12, v[2:3], s[2:3]
	v_pk_fma_f32 v[2:3], v[4:5], v[10:11], 0 op_sel_hi:[0,1,0]
	v_pk_fma_f32 v[0:1], v[0:1], v[6:7], v[2:3] op_sel_hi:[0,1,1]
	global_store_dwordx2 v12, v[0:1], s[2:3] offset:512
.LBB30_605:
	s_or_b64 exec, exec, s[0:1]
	s_barrier
	s_endpgm
	.section	.rodata,"a",@progbits
	.p2align	6, 0x0
	.amdhsa_kernel _ZL18flash_attn_ext_f16ILi256ELi256ELi32ELi1ELb1ELb0EEvPKcS1_S1_S1_S1_PKiPfP15HIP_vector_typeIfLj2EEffffjfiS5_IjLj3EEiiiiiiiiiiiliiliiiiil
		.amdhsa_group_segment_fixed_size 0
		.amdhsa_private_segment_fixed_size 32
		.amdhsa_kernarg_size 464
		.amdhsa_user_sgpr_count 2
		.amdhsa_user_sgpr_dispatch_ptr 0
		.amdhsa_user_sgpr_queue_ptr 0
		.amdhsa_user_sgpr_kernarg_segment_ptr 1
		.amdhsa_user_sgpr_dispatch_id 0
		.amdhsa_user_sgpr_kernarg_preload_length 0
		.amdhsa_user_sgpr_kernarg_preload_offset 0
		.amdhsa_user_sgpr_private_segment_size 0
		.amdhsa_uses_dynamic_stack 0
		.amdhsa_enable_private_segment 1
		.amdhsa_system_sgpr_workgroup_id_x 1
		.amdhsa_system_sgpr_workgroup_id_y 0
		.amdhsa_system_sgpr_workgroup_id_z 0
		.amdhsa_system_sgpr_workgroup_info 0
		.amdhsa_system_vgpr_workitem_id 1
		.amdhsa_next_free_vgpr 392
		.amdhsa_next_free_sgpr 100
		.amdhsa_accum_offset 256
		.amdhsa_reserve_vcc 1
		.amdhsa_float_round_mode_32 0
		.amdhsa_float_round_mode_16_64 0
		.amdhsa_float_denorm_mode_32 3
		.amdhsa_float_denorm_mode_16_64 3
		.amdhsa_dx10_clamp 1
		.amdhsa_ieee_mode 1
		.amdhsa_fp16_overflow 0
		.amdhsa_tg_split 0
		.amdhsa_exception_fp_ieee_invalid_op 0
		.amdhsa_exception_fp_denorm_src 0
		.amdhsa_exception_fp_ieee_div_zero 0
		.amdhsa_exception_fp_ieee_overflow 0
		.amdhsa_exception_fp_ieee_underflow 0
		.amdhsa_exception_fp_ieee_inexact 0
		.amdhsa_exception_int_div_zero 0
	.end_amdhsa_kernel
	.section	.text._ZL18flash_attn_ext_f16ILi256ELi256ELi32ELi1ELb1ELb0EEvPKcS1_S1_S1_S1_PKiPfP15HIP_vector_typeIfLj2EEffffjfiS5_IjLj3EEiiiiiiiiiiiliiliiiiil,"axG",@progbits,_ZL18flash_attn_ext_f16ILi256ELi256ELi32ELi1ELb1ELb0EEvPKcS1_S1_S1_S1_PKiPfP15HIP_vector_typeIfLj2EEffffjfiS5_IjLj3EEiiiiiiiiiiiliiliiiiil,comdat
.Lfunc_end30:
	.size	_ZL18flash_attn_ext_f16ILi256ELi256ELi32ELi1ELb1ELb0EEvPKcS1_S1_S1_S1_PKiPfP15HIP_vector_typeIfLj2EEffffjfiS5_IjLj3EEiiiiiiiiiiiliiliiiiil, .Lfunc_end30-_ZL18flash_attn_ext_f16ILi256ELi256ELi32ELi1ELb1ELb0EEvPKcS1_S1_S1_S1_PKiPfP15HIP_vector_typeIfLj2EEffffjfiS5_IjLj3EEiiiiiiiiiiiliiliiiiil
                                        ; -- End function
	.set _ZL18flash_attn_ext_f16ILi256ELi256ELi32ELi1ELb1ELb0EEvPKcS1_S1_S1_S1_PKiPfP15HIP_vector_typeIfLj2EEffffjfiS5_IjLj3EEiiiiiiiiiiiliiliiiiil.num_vgpr, 256
	.set _ZL18flash_attn_ext_f16ILi256ELi256ELi32ELi1ELb1ELb0EEvPKcS1_S1_S1_S1_PKiPfP15HIP_vector_typeIfLj2EEffffjfiS5_IjLj3EEiiiiiiiiiiiliiliiiiil.num_agpr, 136
	.set _ZL18flash_attn_ext_f16ILi256ELi256ELi32ELi1ELb1ELb0EEvPKcS1_S1_S1_S1_PKiPfP15HIP_vector_typeIfLj2EEffffjfiS5_IjLj3EEiiiiiiiiiiiliiliiiiil.numbered_sgpr, 100
	.set _ZL18flash_attn_ext_f16ILi256ELi256ELi32ELi1ELb1ELb0EEvPKcS1_S1_S1_S1_PKiPfP15HIP_vector_typeIfLj2EEffffjfiS5_IjLj3EEiiiiiiiiiiiliiliiiiil.num_named_barrier, 0
	.set _ZL18flash_attn_ext_f16ILi256ELi256ELi32ELi1ELb1ELb0EEvPKcS1_S1_S1_S1_PKiPfP15HIP_vector_typeIfLj2EEffffjfiS5_IjLj3EEiiiiiiiiiiiliiliiiiil.private_seg_size, 32
	.set _ZL18flash_attn_ext_f16ILi256ELi256ELi32ELi1ELb1ELb0EEvPKcS1_S1_S1_S1_PKiPfP15HIP_vector_typeIfLj2EEffffjfiS5_IjLj3EEiiiiiiiiiiiliiliiiiil.uses_vcc, 1
	.set _ZL18flash_attn_ext_f16ILi256ELi256ELi32ELi1ELb1ELb0EEvPKcS1_S1_S1_S1_PKiPfP15HIP_vector_typeIfLj2EEffffjfiS5_IjLj3EEiiiiiiiiiiiliiliiiiil.uses_flat_scratch, 0
	.set _ZL18flash_attn_ext_f16ILi256ELi256ELi32ELi1ELb1ELb0EEvPKcS1_S1_S1_S1_PKiPfP15HIP_vector_typeIfLj2EEffffjfiS5_IjLj3EEiiiiiiiiiiiliiliiiiil.has_dyn_sized_stack, 0
	.set _ZL18flash_attn_ext_f16ILi256ELi256ELi32ELi1ELb1ELb0EEvPKcS1_S1_S1_S1_PKiPfP15HIP_vector_typeIfLj2EEffffjfiS5_IjLj3EEiiiiiiiiiiiliiliiiiil.has_recursion, 0
	.set _ZL18flash_attn_ext_f16ILi256ELi256ELi32ELi1ELb1ELb0EEvPKcS1_S1_S1_S1_PKiPfP15HIP_vector_typeIfLj2EEffffjfiS5_IjLj3EEiiiiiiiiiiiliiliiiiil.has_indirect_call, 0
	.section	.AMDGPU.csdata,"",@progbits
; Kernel info:
; codeLenInByte = 101136
; TotalNumSgprs: 106
; NumVgprs: 256
; NumAgprs: 136
; TotalNumVgprs: 392
; ScratchSize: 32
; MemoryBound: 0
; FloatMode: 240
; IeeeMode: 1
; LDSByteSize: 0 bytes/workgroup (compile time only)
; SGPRBlocks: 13
; VGPRBlocks: 48
; NumSGPRsForWavesPerEU: 106
; NumVGPRsForWavesPerEU: 392
; AccumOffset: 256
; Occupancy: 1
; WaveLimiterHint : 1
; COMPUTE_PGM_RSRC2:SCRATCH_EN: 1
; COMPUTE_PGM_RSRC2:USER_SGPR: 2
; COMPUTE_PGM_RSRC2:TRAP_HANDLER: 0
; COMPUTE_PGM_RSRC2:TGID_X_EN: 1
; COMPUTE_PGM_RSRC2:TGID_Y_EN: 0
; COMPUTE_PGM_RSRC2:TGID_Z_EN: 0
; COMPUTE_PGM_RSRC2:TIDIG_COMP_CNT: 1
; COMPUTE_PGM_RSRC3_GFX90A:ACCUM_OFFSET: 63
; COMPUTE_PGM_RSRC3_GFX90A:TG_SPLIT: 0
	.section	.text._ZL33flash_attn_stream_k_fixup_uniformILi256ELi32ELi1EEvPfPK15HIP_vector_typeIfLj2EEiiiiiiS1_IjLj3EES5_S5_,"axG",@progbits,_ZL33flash_attn_stream_k_fixup_uniformILi256ELi32ELi1EEvPfPK15HIP_vector_typeIfLj2EEiiiiiiS1_IjLj3EES5_S5_,comdat
	.globl	_ZL33flash_attn_stream_k_fixup_uniformILi256ELi32ELi1EEvPfPK15HIP_vector_typeIfLj2EEiiiiiiS1_IjLj3EES5_S5_ ; -- Begin function _ZL33flash_attn_stream_k_fixup_uniformILi256ELi32ELi1EEvPfPK15HIP_vector_typeIfLj2EEiiiiiiS1_IjLj3EES5_S5_
	.p2align	8
	.type	_ZL33flash_attn_stream_k_fixup_uniformILi256ELi32ELi1EEvPfPK15HIP_vector_typeIfLj2EEiiiiiiS1_IjLj3EES5_S5_,@function
_ZL33flash_attn_stream_k_fixup_uniformILi256ELi32ELi1EEvPfPK15HIP_vector_typeIfLj2EEiiiiiiS1_IjLj3EES5_S5_: ; @_ZL33flash_attn_stream_k_fixup_uniformILi256ELi32ELi1EEvPfPK15HIP_vector_typeIfLj2EEiiiiiiS1_IjLj3EES5_S5_
; %bb.0:
	s_load_dwordx8 s[8:15], s[0:1], 0x1c
	s_load_dwordx2 s[6:7], s[0:1], 0x10
	s_load_dwordx4 s[20:23], s[0:1], 0x3c
	s_waitcnt lgkmcnt(0)
	s_mul_hi_u32 s5, s11, s2
	s_add_i32 s5, s2, s5
	s_lshr_b32 s5, s5, s12
	s_mul_i32 s11, s5, s13
	s_sub_i32 s11, s2, s11
	s_mul_hi_u32 s12, s11, s14
	s_add_i32 s12, s11, s12
	s_lshr_b32 s16, s12, s15
	s_mul_i32 s12, s16, s20
	s_sub_i32 s12, s11, s12
	;; [unrolled: 5-line block ×3, first 2 shown]
	s_lshl_b32 s12, s17, 5
	s_add_i32 s12, s12, s3
	s_cmp_lt_i32 s12, s6
	s_cselect_b64 s[12:13], -1, 0
	s_add_i32 s14, s11, s4
	s_cmp_lt_i32 s14, s9
	s_cselect_b64 s[14:15], -1, 0
	s_and_b64 s[12:13], s[12:13], s[14:15]
	s_andn2_b64 vcc, exec, s[12:13]
	s_cbranch_vccnz .LBB31_6
; %bb.1:
	s_load_dwordx4 s[12:15], s[0:1], 0x0
	s_mul_i32 s0, s5, s6
	s_add_i32 s0, s0, s3
	s_mul_i32 s0, s0, s7
	s_mul_i32 s16, s16, s9
	s_add_i32 s0, s0, s4
	s_add_i32 s0, s0, s16
	s_mul_i32 s1, s7, s17
	s_add_i32 s0, s0, s11
	s_lshl_b32 s1, s1, 13
	s_lshl_b32 s0, s0, 8
	s_add_i32 s1, s1, s0
	v_or_b32_e32 v4, s1, v0
	s_waitcnt lgkmcnt(0)
	v_mov_b32_e32 v2, s12
	v_mov_b32_e32 v3, s13
	v_ashrrev_i32_e32 v5, 31, v4
	v_lshl_add_u64 v[2:3], v[4:5], 2, v[2:3]
	global_load_dword v5, v[2:3], off
	s_mul_i32 s6, s10, s2
	s_add_i32 s7, s6, s10
	s_add_i32 s3, s3, s4
	s_lshl_b32 s0, s7, 5
	s_add_i32 s0, s3, s0
	s_sub_i32 s0, s0, 32
	s_ashr_i32 s1, s0, 31
	s_lshl_b64 s[0:1], s[0:1], 3
	s_add_u32 s0, s14, s0
	s_addc_u32 s1, s15, s1
	s_load_dword s9, s[0:1], 0x4
	s_add_i32 s4, s7, -2
	s_cmp_lt_i32 s4, s6
	s_cbranch_scc1 .LBB31_4
; %bb.2:
	s_lshl_b32 s4, s8, 7
	s_ashr_i32 s5, s4, 31
	s_lshl_b64 s[4:5], s[4:5], 2
	s_add_u32 s4, s14, s4
	s_addc_u32 s5, s15, s5
	s_add_i32 s2, s2, 1
	s_mul_i32 s2, s10, s2
	s_load_dword s0, s[0:1], 0x0
	s_lshl_b32 s1, s3, 8
	s_lshl_b32 s10, s2, 13
	s_add_i32 s1, s1, s10
	v_or_b32_e32 v0, s1, v0
	s_lshl_b32 s1, s2, 5
	s_add_i32 s1, s3, s1
	s_lshl_b32 s2, s8, 5
	s_add_i32 s1, s1, s2
	s_add_i32 s7, s7, -1
	v_add_u32_e32 v0, 0xffffc000, v0
	s_sub_i32 s2, s1, 64
	s_waitcnt lgkmcnt(0)
	v_mov_b32_e32 v7, s0
	v_mov_b32_e32 v4, s9
	s_mov_b32 s8, 0x3fb8aa3b
	s_mov_b32 s9, 0xc2ce8ed0
	;; [unrolled: 1-line block ×3, first 2 shown]
	v_mov_b32_e32 v6, 0x7f800000
	s_mov_b32 s11, 0xc1a00000
.LBB31_3:                               ; =>This Inner Loop Header: Depth=1
	v_ashrrev_i32_e32 v1, 31, v0
	v_lshl_add_u64 v[8:9], v[0:1], 2, s[4:5]
	global_load_dword v9, v[8:9], off
	s_ashr_i32 s3, s2, 31
	s_lshl_b64 s[0:1], s[2:3], 3
	s_add_u32 s0, s14, s0
	s_addc_u32 s1, s15, s1
	s_load_dwordx2 s[0:1], s[0:1], 0x0
	v_max_f32_e32 v1, v7, v7
	s_add_i32 s7, s7, -1
	s_sub_i32 s2, s2, 32
	v_add_u32_e32 v0, 0xffffe000, v0
	s_waitcnt lgkmcnt(0)
	v_max_f32_e64 v10, s0, s0
	v_max_f32_e32 v1, v1, v10
	v_sub_f32_e32 v11, s0, v1
	v_sub_f32_e32 v10, v7, v1
	v_mul_f32_e32 v12, 0x3fb8aa3b, v11
	v_mov_b32_e32 v7, v1
	v_mul_f32_e32 v1, 0x3fb8aa3b, v10
	v_fma_f32 v15, v11, s8, -v12
	v_rndne_f32_e32 v16, v12
	v_fma_f32 v13, v10, s8, -v1
	v_rndne_f32_e32 v14, v1
	v_fmac_f32_e32 v15, 0x32a5705f, v11
	v_sub_f32_e32 v12, v12, v16
	v_fmac_f32_e32 v13, 0x32a5705f, v10
	v_sub_f32_e32 v1, v1, v14
	v_add_f32_e32 v12, v12, v15
	v_cvt_i32_f32_e32 v16, v16
	v_add_f32_e32 v1, v1, v13
	v_exp_f32_e32 v12, v12
	v_cvt_i32_f32_e32 v14, v14
	v_exp_f32_e32 v1, v1
	v_cmp_ngt_f32_e32 vcc, s9, v11
	v_ldexp_f32 v12, v12, v16
	v_mov_b32_e32 v8, s1
	v_ldexp_f32 v1, v1, v14
	v_cmp_ngt_f32_e64 s[0:1], s9, v10
	v_cndmask_b32_e32 v12, 0, v12, vcc
	v_cmp_nlt_f32_e32 vcc, s10, v11
	v_cndmask_b32_e64 v1, 0, v1, s[0:1]
	v_cmp_nlt_f32_e64 s[0:1], s10, v10
	v_cndmask_b32_e32 v12, v6, v12, vcc
	v_cmp_le_f32_e32 vcc, s11, v11
	v_cndmask_b32_e64 v1, v6, v1, s[0:1]
	v_cmp_le_f32_e64 s[0:1], s11, v10
	v_cndmask_b32_e32 v12, 0, v12, vcc
	s_cmp_le_i32 s7, s6
	v_cndmask_b32_e64 v10, 0, v1, s[0:1]
	s_waitcnt vmcnt(0)
	v_pk_mul_f32 v[8:9], v[8:9], v[12:13] op_sel_hi:[1,0]
	s_nop 0
	v_pk_fma_f32 v[4:5], v[4:5], v[10:11], v[8:9] op_sel_hi:[1,0,1]
	s_cbranch_scc0 .LBB31_3
	s_branch .LBB31_5
.LBB31_4:
	s_waitcnt lgkmcnt(0)
	v_mov_b32_e32 v4, s9
.LBB31_5:
	s_waitcnt vmcnt(0)
	v_div_scale_f32 v0, s[0:1], v4, v4, v5
	v_rcp_f32_e32 v1, v0
	v_div_scale_f32 v6, vcc, v5, v4, v5
	v_fma_f32 v7, -v0, v1, 1.0
	v_fmac_f32_e32 v1, v7, v1
	v_mul_f32_e32 v7, v6, v1
	v_fma_f32 v8, -v0, v7, v6
	v_fmac_f32_e32 v7, v8, v1
	v_fma_f32 v0, -v0, v7, v6
	v_div_fmas_f32 v0, v0, v1, v7
	v_div_fixup_f32 v0, v0, v4, v5
	global_store_dword v[2:3], v0, off
.LBB31_6:
	s_endpgm
	.section	.rodata,"a",@progbits
	.p2align	6, 0x0
	.amdhsa_kernel _ZL33flash_attn_stream_k_fixup_uniformILi256ELi32ELi1EEvPfPK15HIP_vector_typeIfLj2EEiiiiiiS1_IjLj3EES5_S5_
		.amdhsa_group_segment_fixed_size 0
		.amdhsa_private_segment_fixed_size 0
		.amdhsa_kernarg_size 76
		.amdhsa_user_sgpr_count 2
		.amdhsa_user_sgpr_dispatch_ptr 0
		.amdhsa_user_sgpr_queue_ptr 0
		.amdhsa_user_sgpr_kernarg_segment_ptr 1
		.amdhsa_user_sgpr_dispatch_id 0
		.amdhsa_user_sgpr_kernarg_preload_length 0
		.amdhsa_user_sgpr_kernarg_preload_offset 0
		.amdhsa_user_sgpr_private_segment_size 0
		.amdhsa_uses_dynamic_stack 0
		.amdhsa_enable_private_segment 0
		.amdhsa_system_sgpr_workgroup_id_x 1
		.amdhsa_system_sgpr_workgroup_id_y 1
		.amdhsa_system_sgpr_workgroup_id_z 1
		.amdhsa_system_sgpr_workgroup_info 0
		.amdhsa_system_vgpr_workitem_id 0
		.amdhsa_next_free_vgpr 17
		.amdhsa_next_free_sgpr 24
		.amdhsa_accum_offset 20
		.amdhsa_reserve_vcc 1
		.amdhsa_float_round_mode_32 0
		.amdhsa_float_round_mode_16_64 0
		.amdhsa_float_denorm_mode_32 3
		.amdhsa_float_denorm_mode_16_64 3
		.amdhsa_dx10_clamp 1
		.amdhsa_ieee_mode 1
		.amdhsa_fp16_overflow 0
		.amdhsa_tg_split 0
		.amdhsa_exception_fp_ieee_invalid_op 0
		.amdhsa_exception_fp_denorm_src 0
		.amdhsa_exception_fp_ieee_div_zero 0
		.amdhsa_exception_fp_ieee_overflow 0
		.amdhsa_exception_fp_ieee_underflow 0
		.amdhsa_exception_fp_ieee_inexact 0
		.amdhsa_exception_int_div_zero 0
	.end_amdhsa_kernel
	.section	.text._ZL33flash_attn_stream_k_fixup_uniformILi256ELi32ELi1EEvPfPK15HIP_vector_typeIfLj2EEiiiiiiS1_IjLj3EES5_S5_,"axG",@progbits,_ZL33flash_attn_stream_k_fixup_uniformILi256ELi32ELi1EEvPfPK15HIP_vector_typeIfLj2EEiiiiiiS1_IjLj3EES5_S5_,comdat
.Lfunc_end31:
	.size	_ZL33flash_attn_stream_k_fixup_uniformILi256ELi32ELi1EEvPfPK15HIP_vector_typeIfLj2EEiiiiiiS1_IjLj3EES5_S5_, .Lfunc_end31-_ZL33flash_attn_stream_k_fixup_uniformILi256ELi32ELi1EEvPfPK15HIP_vector_typeIfLj2EEiiiiiiS1_IjLj3EES5_S5_
                                        ; -- End function
	.set _ZL33flash_attn_stream_k_fixup_uniformILi256ELi32ELi1EEvPfPK15HIP_vector_typeIfLj2EEiiiiiiS1_IjLj3EES5_S5_.num_vgpr, 17
	.set _ZL33flash_attn_stream_k_fixup_uniformILi256ELi32ELi1EEvPfPK15HIP_vector_typeIfLj2EEiiiiiiS1_IjLj3EES5_S5_.num_agpr, 0
	.set _ZL33flash_attn_stream_k_fixup_uniformILi256ELi32ELi1EEvPfPK15HIP_vector_typeIfLj2EEiiiiiiS1_IjLj3EES5_S5_.numbered_sgpr, 24
	.set _ZL33flash_attn_stream_k_fixup_uniformILi256ELi32ELi1EEvPfPK15HIP_vector_typeIfLj2EEiiiiiiS1_IjLj3EES5_S5_.num_named_barrier, 0
	.set _ZL33flash_attn_stream_k_fixup_uniformILi256ELi32ELi1EEvPfPK15HIP_vector_typeIfLj2EEiiiiiiS1_IjLj3EES5_S5_.private_seg_size, 0
	.set _ZL33flash_attn_stream_k_fixup_uniformILi256ELi32ELi1EEvPfPK15HIP_vector_typeIfLj2EEiiiiiiS1_IjLj3EES5_S5_.uses_vcc, 1
	.set _ZL33flash_attn_stream_k_fixup_uniformILi256ELi32ELi1EEvPfPK15HIP_vector_typeIfLj2EEiiiiiiS1_IjLj3EES5_S5_.uses_flat_scratch, 0
	.set _ZL33flash_attn_stream_k_fixup_uniformILi256ELi32ELi1EEvPfPK15HIP_vector_typeIfLj2EEiiiiiiS1_IjLj3EES5_S5_.has_dyn_sized_stack, 0
	.set _ZL33flash_attn_stream_k_fixup_uniformILi256ELi32ELi1EEvPfPK15HIP_vector_typeIfLj2EEiiiiiiS1_IjLj3EES5_S5_.has_recursion, 0
	.set _ZL33flash_attn_stream_k_fixup_uniformILi256ELi32ELi1EEvPfPK15HIP_vector_typeIfLj2EEiiiiiiS1_IjLj3EES5_S5_.has_indirect_call, 0
	.section	.AMDGPU.csdata,"",@progbits
; Kernel info:
; codeLenInByte = 816
; TotalNumSgprs: 30
; NumVgprs: 17
; NumAgprs: 0
; TotalNumVgprs: 17
; ScratchSize: 0
; MemoryBound: 0
; FloatMode: 240
; IeeeMode: 1
; LDSByteSize: 0 bytes/workgroup (compile time only)
; SGPRBlocks: 3
; VGPRBlocks: 2
; NumSGPRsForWavesPerEU: 30
; NumVGPRsForWavesPerEU: 17
; AccumOffset: 20
; Occupancy: 8
; WaveLimiterHint : 0
; COMPUTE_PGM_RSRC2:SCRATCH_EN: 0
; COMPUTE_PGM_RSRC2:USER_SGPR: 2
; COMPUTE_PGM_RSRC2:TRAP_HANDLER: 0
; COMPUTE_PGM_RSRC2:TGID_X_EN: 1
; COMPUTE_PGM_RSRC2:TGID_Y_EN: 1
; COMPUTE_PGM_RSRC2:TGID_Z_EN: 1
; COMPUTE_PGM_RSRC2:TIDIG_COMP_CNT: 0
; COMPUTE_PGM_RSRC3_GFX90A:ACCUM_OFFSET: 4
; COMPUTE_PGM_RSRC3_GFX90A:TG_SPLIT: 0
	.section	.text._ZL33flash_attn_stream_k_fixup_generalILi256ELi32ELi1EEvPfPK15HIP_vector_typeIfLj2EEiiiiS1_IjLj3EES5_S5_S5_,"axG",@progbits,_ZL33flash_attn_stream_k_fixup_generalILi256ELi32ELi1EEvPfPK15HIP_vector_typeIfLj2EEiiiiS1_IjLj3EES5_S5_S5_,comdat
	.globl	_ZL33flash_attn_stream_k_fixup_generalILi256ELi32ELi1EEvPfPK15HIP_vector_typeIfLj2EEiiiiS1_IjLj3EES5_S5_S5_ ; -- Begin function _ZL33flash_attn_stream_k_fixup_generalILi256ELi32ELi1EEvPfPK15HIP_vector_typeIfLj2EEiiiiS1_IjLj3EES5_S5_S5_
	.p2align	8
	.type	_ZL33flash_attn_stream_k_fixup_generalILi256ELi32ELi1EEvPfPK15HIP_vector_typeIfLj2EEiiiiS1_IjLj3EES5_S5_S5_,@function
_ZL33flash_attn_stream_k_fixup_generalILi256ELi32ELi1EEvPfPK15HIP_vector_typeIfLj2EEiiiiS1_IjLj3EES5_S5_S5_: ; @_ZL33flash_attn_stream_k_fixup_generalILi256ELi32ELi1EEvPfPK15HIP_vector_typeIfLj2EEiiiiS1_IjLj3EES5_S5_S5_
; %bb.0:
	s_load_dwordx4 s[8:11], s[0:1], 0x10
	s_load_dword s22, s[0:1], 0x50
	s_mov_b32 s12, 0
	s_waitcnt lgkmcnt(0)
	s_mul_hi_i32 s13, s11, s2
	s_cmp_lg_u64 s[12:13], 0
	s_mul_i32 s5, s11, s2
	s_cbranch_scc0 .LBB32_20
; %bb.1:
	s_add_u32 s6, s22, 0
	s_addc_u32 s7, 0, 0
	s_xor_b64 s[6:7], s[6:7], 0
	v_cvt_f32_u32_e32 v1, s6
	v_cvt_f32_u32_e32 v2, s7
	s_sub_u32 s12, 0, s6
	s_subb_u32 s18, 0, s7
	v_fmamk_f32 v1, v2, 0x4f800000, v1
	v_rcp_f32_e32 v1, v1
	s_nop 0
	v_mul_f32_e32 v1, 0x5f7ffffc, v1
	v_mul_f32_e32 v2, 0x2f800000, v1
	v_trunc_f32_e32 v2, v2
	v_fmamk_f32 v1, v2, 0xcf800000, v1
	v_cvt_u32_f32_e32 v2, v2
	v_cvt_u32_f32_e32 v1, v1
	v_readfirstlane_b32 s19, v2
	v_readfirstlane_b32 s14, v1
	s_mul_i32 s15, s12, s19
	s_mul_hi_u32 s21, s12, s14
	s_mul_i32 s20, s18, s14
	s_add_i32 s15, s21, s15
	s_add_i32 s15, s15, s20
	s_mul_i32 s23, s12, s14
	s_mul_i32 s21, s14, s15
	s_mul_hi_u32 s24, s14, s23
	s_mul_hi_u32 s20, s14, s15
	s_add_u32 s21, s24, s21
	s_addc_u32 s20, 0, s20
	s_mul_hi_u32 s25, s19, s23
	s_mul_i32 s23, s19, s23
	s_add_u32 s21, s21, s23
	s_mul_hi_u32 s24, s19, s15
	s_addc_u32 s20, s20, s25
	s_addc_u32 s21, s24, 0
	s_mul_i32 s15, s19, s15
	s_add_u32 s15, s20, s15
	s_addc_u32 s20, 0, s21
	s_add_u32 s21, s14, s15
	s_cselect_b64 s[14:15], -1, 0
	s_cmp_lg_u64 s[14:15], 0
	s_addc_u32 s19, s19, s20
	s_mul_i32 s14, s12, s19
	s_mul_hi_u32 s15, s12, s21
	s_add_i32 s14, s15, s14
	s_mul_i32 s18, s18, s21
	s_add_i32 s14, s14, s18
	s_mul_i32 s12, s12, s21
	s_mul_hi_u32 s18, s19, s12
	s_mul_i32 s20, s19, s12
	s_mul_i32 s24, s21, s14
	s_mul_hi_u32 s12, s21, s12
	s_mul_hi_u32 s23, s21, s14
	s_add_u32 s12, s12, s24
	s_addc_u32 s23, 0, s23
	s_add_u32 s12, s12, s20
	s_mul_hi_u32 s15, s19, s14
	s_addc_u32 s12, s23, s18
	s_addc_u32 s15, s15, 0
	s_mul_i32 s14, s19, s14
	s_add_u32 s12, s12, s14
	s_addc_u32 s18, 0, s15
	s_add_u32 s20, s21, s12
	s_cselect_b64 s[14:15], -1, 0
	s_cmp_lg_u64 s[14:15], 0
	s_addc_u32 s18, s19, s18
	s_ashr_i32 s14, s13, 31
	s_add_u32 s12, s5, s14
	s_mov_b32 s15, s14
	s_addc_u32 s13, s13, s14
	s_xor_b64 s[12:13], s[12:13], s[14:15]
	s_mul_i32 s21, s12, s18
	s_mul_hi_u32 s23, s12, s20
	s_mul_hi_u32 s19, s12, s18
	s_add_u32 s21, s23, s21
	s_addc_u32 s19, 0, s19
	s_mul_hi_u32 s24, s13, s20
	s_mul_i32 s20, s13, s20
	s_add_u32 s20, s21, s20
	s_mul_hi_u32 s23, s13, s18
	s_addc_u32 s19, s19, s24
	s_addc_u32 s20, s23, 0
	s_mul_i32 s18, s13, s18
	s_add_u32 s23, s19, s18
	s_addc_u32 s24, 0, s20
	s_mul_i32 s18, s6, s24
	s_mul_hi_u32 s19, s6, s23
	s_add_i32 s18, s19, s18
	s_mul_i32 s19, s7, s23
	s_add_i32 s25, s18, s19
	s_sub_i32 s20, s13, s25
	s_mul_i32 s18, s6, s23
	s_sub_u32 s12, s12, s18
	s_cselect_b64 s[18:19], -1, 0
	s_cmp_lg_u64 s[18:19], 0
	s_subb_u32 s26, s20, s7
	s_sub_u32 s27, s12, s6
	s_cselect_b64 s[20:21], -1, 0
	s_cmp_lg_u64 s[20:21], 0
	s_subb_u32 s20, s26, 0
	s_cmp_ge_u32 s20, s7
	s_cselect_b32 s21, -1, 0
	s_cmp_ge_u32 s27, s6
	s_cselect_b32 s26, -1, 0
	s_cmp_eq_u32 s20, s7
	s_cselect_b32 s20, s26, s21
	s_add_u32 s21, s23, 1
	s_addc_u32 s26, s24, 0
	s_add_u32 s27, s23, 2
	s_addc_u32 s28, s24, 0
	s_cmp_lg_u32 s20, 0
	s_cselect_b32 s20, s27, s21
	s_cselect_b32 s21, s28, s26
	s_cmp_lg_u64 s[18:19], 0
	s_subb_u32 s13, s13, s25
	s_cmp_ge_u32 s13, s7
	s_cselect_b32 s18, -1, 0
	s_cmp_ge_u32 s12, s6
	s_cselect_b32 s6, -1, 0
	s_cmp_eq_u32 s13, s7
	s_cselect_b32 s6, s6, s18
	s_cmp_lg_u32 s6, 0
	s_cselect_b32 s7, s21, s24
	s_cselect_b32 s6, s20, s23
	s_xor_b64 s[12:13], s[14:15], 0
	s_xor_b64 s[6:7], s[6:7], s[12:13]
	s_sub_u32 s6, s6, s12
	s_load_dwordx4 s[12:15], s[0:1], 0x44
	s_cbranch_execnz .LBB32_3
.LBB32_2:
	v_cvt_f32_u32_e32 v1, s22
	s_sub_i32 s6, 0, s22
	v_rcp_iflag_f32_e32 v1, v1
	s_nop 0
	v_mul_f32_e32 v1, 0x4f7ffffe, v1
	v_cvt_u32_f32_e32 v1, v1
	s_nop 0
	v_readfirstlane_b32 s7, v1
	s_mul_i32 s6, s6, s7
	s_mul_hi_u32 s6, s7, s6
	s_add_i32 s7, s7, s6
	s_mul_hi_u32 s6, s5, s7
	s_waitcnt lgkmcnt(0)
	s_mul_i32 s15, s6, s22
	s_sub_i32 s5, s5, s15
	s_add_i32 s7, s6, 1
	s_sub_i32 s15, s5, s22
	s_cmp_ge_u32 s5, s22
	s_cselect_b32 s6, s7, s6
	s_cselect_b32 s5, s15, s5
	s_add_i32 s7, s6, 1
	s_cmp_ge_u32 s5, s22
	s_cselect_b32 s6, s7, s6
.LBB32_3:
	s_add_i32 s5, s2, 1
	s_mul_hi_i32 s21, s11, s5
	s_mov_b32 s20, 0
	s_cmp_lg_u64 s[20:21], 0
	s_mul_i32 s5, s11, s5
	s_cbranch_scc0 .LBB32_21
; %bb.4:
	s_add_u32 s16, s22, 0
	s_addc_u32 s17, 0, 0
	s_xor_b64 s[18:19], s[16:17], 0
	v_cvt_f32_u32_e32 v1, s18
	v_cvt_f32_u32_e32 v2, s19
	s_sub_u32 s7, 0, s18
	s_waitcnt lgkmcnt(0)
	s_subb_u32 s15, 0, s19
	v_fmamk_f32 v1, v2, 0x4f800000, v1
	v_rcp_f32_e32 v1, v1
	s_nop 0
	v_mul_f32_e32 v1, 0x5f7ffffc, v1
	v_mul_f32_e32 v2, 0x2f800000, v1
	v_trunc_f32_e32 v2, v2
	v_fmamk_f32 v1, v2, 0xcf800000, v1
	v_cvt_u32_f32_e32 v2, v2
	v_cvt_u32_f32_e32 v1, v1
	v_readfirstlane_b32 s20, v2
	v_readfirstlane_b32 s23, v1
	s_mul_i32 s24, s7, s20
	s_mul_hi_u32 s26, s7, s23
	s_mul_i32 s25, s15, s23
	s_add_i32 s24, s26, s24
	s_add_i32 s24, s24, s25
	s_mul_i32 s27, s7, s23
	s_mul_i32 s26, s23, s24
	s_mul_hi_u32 s28, s23, s27
	s_mul_hi_u32 s25, s23, s24
	s_add_u32 s26, s28, s26
	s_addc_u32 s25, 0, s25
	s_mul_hi_u32 s29, s20, s27
	s_mul_i32 s27, s20, s27
	s_add_u32 s26, s26, s27
	s_mul_hi_u32 s28, s20, s24
	s_addc_u32 s25, s25, s29
	s_addc_u32 s26, s28, 0
	s_mul_i32 s24, s20, s24
	s_add_u32 s24, s25, s24
	s_addc_u32 s26, 0, s26
	s_add_u32 s23, s23, s24
	s_cselect_b64 s[24:25], -1, 0
	s_cmp_lg_u64 s[24:25], 0
	s_addc_u32 s20, s20, s26
	s_mul_i32 s24, s7, s20
	s_mul_hi_u32 s25, s7, s23
	s_add_i32 s24, s25, s24
	s_mul_i32 s15, s15, s23
	s_add_i32 s24, s24, s15
	s_mul_i32 s7, s7, s23
	s_mul_hi_u32 s25, s20, s7
	s_mul_i32 s26, s20, s7
	s_mul_i32 s28, s23, s24
	s_mul_hi_u32 s7, s23, s7
	s_mul_hi_u32 s27, s23, s24
	s_add_u32 s7, s7, s28
	s_addc_u32 s27, 0, s27
	s_add_u32 s7, s7, s26
	s_mul_hi_u32 s15, s20, s24
	s_addc_u32 s7, s27, s25
	s_addc_u32 s15, s15, 0
	s_mul_i32 s24, s20, s24
	s_add_u32 s7, s7, s24
	s_addc_u32 s15, 0, s15
	s_add_u32 s7, s23, s7
	s_cselect_b64 s[24:25], -1, 0
	s_cmp_lg_u64 s[24:25], 0
	s_addc_u32 s15, s20, s15
	s_ashr_i32 s24, s21, 31
	s_add_u32 s20, s5, s24
	s_mov_b32 s25, s24
	s_addc_u32 s21, s21, s24
	s_xor_b64 s[20:21], s[20:21], s[24:25]
	s_mul_i32 s26, s20, s15
	s_mul_hi_u32 s27, s20, s7
	s_mul_hi_u32 s23, s20, s15
	s_add_u32 s26, s27, s26
	s_addc_u32 s23, 0, s23
	s_mul_hi_u32 s28, s21, s7
	s_mul_i32 s7, s21, s7
	s_add_u32 s7, s26, s7
	s_mul_hi_u32 s27, s21, s15
	s_addc_u32 s7, s23, s28
	s_addc_u32 s23, s27, 0
	s_mul_i32 s15, s21, s15
	s_add_u32 s7, s7, s15
	s_addc_u32 s15, 0, s23
	s_mul_i32 s23, s18, s15
	s_mul_hi_u32 s26, s18, s7
	s_add_i32 s23, s26, s23
	s_mul_i32 s26, s19, s7
	s_add_i32 s23, s23, s26
	s_sub_i32 s28, s21, s23
	s_mul_i32 s26, s18, s7
	s_sub_u32 s20, s20, s26
	s_cselect_b64 s[26:27], -1, 0
	s_cmp_lg_u64 s[26:27], 0
	s_subb_u32 s30, s28, s19
	s_sub_u32 s31, s20, s18
	s_cselect_b64 s[28:29], -1, 0
	s_cmp_lg_u64 s[28:29], 0
	s_subb_u32 s28, s30, 0
	s_cmp_ge_u32 s28, s19
	s_cselect_b32 s29, -1, 0
	s_cmp_ge_u32 s31, s18
	s_cselect_b32 s30, -1, 0
	s_cmp_eq_u32 s28, s19
	s_cselect_b32 s28, s30, s29
	s_add_u32 s29, s7, 1
	s_addc_u32 s30, s15, 0
	s_add_u32 s31, s7, 2
	s_addc_u32 s33, s15, 0
	s_cmp_lg_u32 s28, 0
	s_cselect_b32 s28, s31, s29
	s_cselect_b32 s29, s33, s30
	s_cmp_lg_u64 s[26:27], 0
	s_subb_u32 s21, s21, s23
	s_cmp_ge_u32 s21, s19
	s_cselect_b32 s23, -1, 0
	s_cmp_ge_u32 s20, s18
	s_cselect_b32 s18, -1, 0
	s_cmp_eq_u32 s21, s19
	s_cselect_b32 s18, s18, s23
	s_cmp_lg_u32 s18, 0
	s_cselect_b32 s19, s29, s15
	s_cselect_b32 s18, s28, s7
	s_xor_b64 s[20:21], s[24:25], 0
	s_xor_b64 s[18:19], s[18:19], s[20:21]
	s_sub_u32 s18, s18, s20
	s_cbranch_execnz .LBB32_6
.LBB32_5:
	v_cvt_f32_u32_e32 v1, s22
	s_sub_i32 s7, 0, s22
	v_rcp_iflag_f32_e32 v1, v1
	s_nop 0
	v_mul_f32_e32 v1, 0x4f7ffffe, v1
	v_cvt_u32_f32_e32 v1, v1
	s_waitcnt lgkmcnt(0)
	v_readfirstlane_b32 s15, v1
	s_mul_i32 s7, s7, s15
	s_mul_hi_u32 s7, s15, s7
	s_add_i32 s15, s15, s7
	s_mul_hi_u32 s7, s5, s15
	s_mul_i32 s16, s7, s22
	s_sub_i32 s5, s5, s16
	s_add_i32 s15, s7, 1
	s_sub_i32 s16, s5, s22
	s_cmp_ge_u32 s5, s22
	s_cselect_b32 s7, s15, s7
	s_cselect_b32 s5, s16, s5
	s_add_i32 s15, s7, 1
	s_cmp_ge_u32 s5, s22
	s_cselect_b32 s18, s15, s7
.LBB32_6:
	s_cmp_eq_u32 s6, s18
	s_waitcnt lgkmcnt(0)
	s_mul_hi_u32 s5, s6, s12
	s_cselect_b64 s[16:17], -1, 0
	s_add_i32 s5, s5, s6
	s_lshr_b32 s7, s5, s13
	s_mul_i32 s5, s7, s14
	s_cmp_eq_u32 s5, s6
	s_mul_hi_u32 s5, s18, s12
	s_cselect_b64 s[20:21], -1, 0
	s_add_i32 s5, s5, s18
	s_lshr_b32 s5, s5, s13
	s_cmp_eq_u32 s7, s5
	s_mul_i32 s5, s5, s14
	s_cselect_b64 s[24:25], -1, 0
	s_cmp_lg_u32 s5, s18
	s_cselect_b64 s[18:19], -1, 0
	s_and_b64 s[18:19], s[24:25], s[18:19]
	s_or_b64 s[16:17], s[16:17], s[20:21]
	s_or_b64 s[16:17], s[16:17], s[18:19]
	s_and_b64 vcc, exec, s[16:17]
	s_cbranch_vccnz .LBB32_23
; %bb.7:
	s_load_dwordx8 s[24:31], s[0:1], 0x20
	s_load_dword s15, s[0:1], 0x40
	s_waitcnt lgkmcnt(0)
	s_mul_hi_u32 s5, s6, s24
	s_add_i32 s5, s5, s6
	s_lshr_b32 s5, s5, s25
	s_mul_i32 s16, s5, s26
	s_sub_i32 s16, s6, s16
	s_mul_hi_u32 s17, s16, s27
	s_add_i32 s17, s16, s17
	s_lshr_b32 s21, s17, s28
	s_mul_i32 s17, s21, s29
	s_sub_i32 s16, s16, s17
	;; [unrolled: 5-line block ×3, first 2 shown]
	s_mul_hi_u32 s16, s15, s12
	s_add_i32 s15, s15, s16
	s_lshr_b32 s23, s15, s13
	s_lshl_b32 s15, s23, 5
	s_add_i32 s15, s15, s3
	s_cmp_lt_i32 s15, s8
	s_cselect_b64 s[16:17], -1, 0
	s_add_i32 s15, s20, s4
	s_cmp_lt_i32 s15, s10
	s_cselect_b64 s[18:19], -1, 0
	s_and_b64 s[16:17], s[16:17], s[18:19]
	s_andn2_b64 vcc, exec, s[16:17]
	s_cbranch_vccnz .LBB32_23
; %bb.8:
	s_load_dwordx4 s[16:19], s[0:1], 0x0
	s_mov_b32 s0, 0
	s_lshl_b32 s24, s22, 7
	s_mov_b32 s25, s0
	s_add_i32 s15, s3, s4
	s_waitcnt lgkmcnt(0)
	v_mov_b32_e32 v2, s16
	v_mov_b32_e32 v3, s17
	s_lshl_b64 s[16:17], s[24:25], 2
	s_add_u32 s16, s18, s16
	s_mul_i32 s1, s5, s8
	s_addc_u32 s17, s19, s17
	s_add_i32 s1, s1, s3
	s_mul_i32 s1, s1, s9
	s_mul_i32 s21, s21, s10
	s_add_i32 s1, s1, s4
	s_add_i32 s1, s1, s21
	s_mul_i32 s5, s9, s23
	s_add_i32 s1, s1, s20
	s_lshl_b32 s5, s5, 13
	s_lshl_b32 s1, s1, 8
	s_add_i32 s5, s5, s1
	v_or_b32_e32 v4, s5, v0
	v_ashrrev_i32_e32 v5, 31, v4
	v_lshl_add_u64 v[2:3], v[4:5], 2, v[2:3]
	global_load_dword v1, v[2:3], off
	v_cvt_f32_u32_e32 v4, s22
	s_lshl_b32 s1, s2, 5
	s_add_i32 s4, s1, s15
	s_ashr_i32 s5, s4, 31
	s_lshl_b64 s[4:5], s[4:5], 3
	v_rcp_iflag_f32_e32 v4, v4
	s_add_u32 s4, s18, s4
	s_addc_u32 s5, s19, s5
	s_load_dwordx2 s[4:5], s[4:5], 0x0
	v_mul_f32_e32 v4, 0x4f7ffffe, v4
	v_cvt_u32_f32_e32 v7, v4
	s_add_i32 s24, s2, -1
	v_lshl_or_b32 v6, s15, 8, v0
	s_waitcnt lgkmcnt(0)
	v_mov_b32_e32 v0, s5
	v_mov_b32_e32 v9, s4
	s_mov_b32 s10, 0x3fb8aa3b
	s_mov_b32 s20, 0xc2ce8ed0
	;; [unrolled: 1-line block ×4, first 2 shown]
	v_mov_b32_e32 v8, 0x7f800000
	s_mul_hi_i32 s1, s24, s11
	s_cmp_lg_u64 s[0:1], 0
	s_mul_i32 s8, s24, s11
	s_cbranch_scc0 .LBB32_19
.LBB32_9:
	s_add_u32 s2, s22, 0
	s_addc_u32 s3, 0, 0
	s_xor_b64 s[2:3], s[2:3], 0
	v_cvt_f32_u32_e32 v4, s2
	v_cvt_f32_u32_e32 v5, s3
	s_sub_u32 s9, 0, s2
	s_subb_u32 s25, 0, s3
	v_fmac_f32_e32 v4, 0x4f800000, v5
	v_rcp_f32_e32 v4, v4
	s_nop 0
	v_mul_f32_e32 v4, 0x5f7ffffc, v4
	v_mul_f32_e32 v5, 0x2f800000, v4
	v_trunc_f32_e32 v5, v5
	v_fmac_f32_e32 v4, 0xcf800000, v5
	v_cvt_u32_f32_e32 v5, v5
	v_cvt_u32_f32_e32 v4, v4
	v_readfirstlane_b32 s26, v5
	v_readfirstlane_b32 s4, v4
	s_mul_i32 s5, s9, s26
	s_mul_hi_u32 s28, s9, s4
	s_mul_i32 s27, s25, s4
	s_add_i32 s5, s28, s5
	s_mul_i32 s29, s9, s4
	s_add_i32 s5, s5, s27
	s_mul_i32 s28, s4, s5
	s_mul_hi_u32 s30, s4, s29
	s_mul_hi_u32 s27, s4, s5
	s_add_u32 s28, s30, s28
	s_addc_u32 s27, 0, s27
	s_mul_hi_u32 s31, s26, s29
	s_mul_i32 s29, s26, s29
	s_add_u32 s28, s28, s29
	s_mul_hi_u32 s30, s26, s5
	s_addc_u32 s27, s27, s31
	s_addc_u32 s28, s30, 0
	s_mul_i32 s5, s26, s5
	s_add_u32 s5, s27, s5
	s_addc_u32 s27, 0, s28
	s_add_u32 s28, s4, s5
	s_cselect_b64 s[4:5], -1, 0
	s_cmp_lg_u64 s[4:5], 0
	s_addc_u32 s26, s26, s27
	s_mul_i32 s4, s9, s26
	s_mul_hi_u32 s5, s9, s28
	s_add_i32 s4, s5, s4
	s_mul_i32 s25, s25, s28
	s_add_i32 s4, s4, s25
	s_mul_i32 s9, s9, s28
	s_mul_hi_u32 s25, s26, s9
	s_mul_i32 s27, s26, s9
	s_mul_i32 s30, s28, s4
	s_mul_hi_u32 s9, s28, s9
	s_mul_hi_u32 s29, s28, s4
	s_add_u32 s9, s9, s30
	s_addc_u32 s29, 0, s29
	s_add_u32 s9, s9, s27
	s_mul_hi_u32 s5, s26, s4
	s_addc_u32 s9, s29, s25
	s_addc_u32 s5, s5, 0
	s_mul_i32 s4, s26, s4
	s_add_u32 s4, s9, s4
	s_addc_u32 s9, 0, s5
	s_add_u32 s25, s28, s4
	s_cselect_b64 s[4:5], -1, 0
	s_cmp_lg_u64 s[4:5], 0
	s_addc_u32 s9, s26, s9
	s_ashr_i32 s4, s1, 31
	s_add_u32 s26, s8, s4
	s_mov_b32 s5, s4
	s_addc_u32 s27, s1, s4
	s_xor_b64 s[26:27], s[26:27], s[4:5]
	s_mul_i32 s28, s26, s9
	s_mul_hi_u32 s29, s26, s25
	s_mul_hi_u32 s1, s26, s9
	s_add_u32 s28, s29, s28
	s_addc_u32 s1, 0, s1
	s_mul_hi_u32 s30, s27, s25
	s_mul_i32 s25, s27, s25
	s_add_u32 s25, s28, s25
	s_mul_hi_u32 s29, s27, s9
	s_addc_u32 s1, s1, s30
	s_addc_u32 s25, s29, 0
	s_mul_i32 s9, s27, s9
	s_add_u32 s1, s1, s9
	s_addc_u32 s9, 0, s25
	s_mul_i32 s25, s2, s9
	s_mul_hi_u32 s28, s2, s1
	s_add_i32 s25, s28, s25
	s_mul_i32 s28, s3, s1
	s_add_i32 s25, s25, s28
	s_sub_i32 s30, s27, s25
	s_mul_i32 s28, s2, s1
	s_sub_u32 s26, s26, s28
	s_cselect_b64 s[28:29], -1, 0
	s_cmp_lg_u64 s[28:29], 0
	s_subb_u32 s33, s30, s3
	s_sub_u32 s34, s26, s2
	s_cselect_b64 s[30:31], -1, 0
	s_cmp_lg_u64 s[30:31], 0
	s_subb_u32 s30, s33, 0
	s_cmp_ge_u32 s30, s3
	s_cselect_b32 s31, -1, 0
	s_cmp_ge_u32 s34, s2
	s_cselect_b32 s33, -1, 0
	s_cmp_eq_u32 s30, s3
	s_cselect_b32 s30, s33, s31
	s_add_u32 s31, s1, 1
	s_addc_u32 s33, s9, 0
	s_add_u32 s34, s1, 2
	s_addc_u32 s35, s9, 0
	s_cmp_lg_u32 s30, 0
	s_cselect_b32 s30, s34, s31
	s_cselect_b32 s31, s35, s33
	s_cmp_lg_u64 s[28:29], 0
	s_subb_u32 s25, s27, s25
	s_cmp_ge_u32 s25, s3
	s_cselect_b32 s27, -1, 0
	s_cmp_ge_u32 s26, s2
	s_cselect_b32 s2, -1, 0
	s_cmp_eq_u32 s25, s3
	s_cselect_b32 s2, s2, s27
	s_cmp_lg_u32 s2, 0
	s_cselect_b32 s3, s31, s9
	s_cselect_b32 s2, s30, s1
	s_xor_b64 s[4:5], s[4:5], 0
	s_xor_b64 s[2:3], s[2:3], s[4:5]
	s_sub_u32 s4, s2, s4
	s_cbranch_execnz .LBB32_11
.LBB32_10:
	s_sub_i32 s1, 0, s22
	v_readfirstlane_b32 s2, v7
	s_mul_i32 s1, s1, s2
	s_mul_hi_u32 s1, s2, s1
	s_add_i32 s2, s2, s1
	s_mul_hi_u32 s1, s8, s2
	s_mul_i32 s3, s1, s22
	s_sub_i32 s3, s8, s3
	s_add_i32 s2, s1, 1
	s_sub_i32 s4, s3, s22
	s_cmp_ge_u32 s3, s22
	s_cselect_b32 s1, s2, s1
	s_cselect_b32 s3, s4, s3
	s_add_i32 s2, s1, 1
	s_cmp_ge_u32 s3, s22
	s_cselect_b32 s4, s2, s1
.LBB32_11:
	s_cmp_lg_u32 s6, s4
	s_cbranch_scc0 .LBB32_15
; %bb.12:
	s_add_i32 s1, s24, s22
	s_lshl_b32 s1, s1, 5
	s_add_i32 s2, s1, s15
	s_mov_b32 s3, s0
	s_lshl_b64 s[2:3], s[2:3], 3
	s_add_u32 s8, s18, s2
	s_mul_hi_u32 s1, s4, s12
	s_addc_u32 s9, s19, s3
	s_add_i32 s1, s1, s4
	s_lshr_b32 s1, s1, s13
	s_mul_i32 s2, s1, s14
	s_cmp_eq_u32 s2, s4
	s_cselect_b64 s[2:3], -1, 0
	s_cmp_lt_u32 s1, s7
	s_cselect_b64 s[26:27], -1, 0
	s_or_b64 s[26:27], s[26:27], s[2:3]
	s_mov_b64 s[2:3], -1
	s_and_b64 vcc, exec, s[26:27]
	s_mov_b32 s1, s24
	s_mov_b32 s25, s6
	s_cbranch_vccnz .LBB32_14
; %bb.13:
	s_add_i32 s1, s24, -1
	s_mov_b64 s[2:3], 0
	s_mov_b32 s25, s4
.LBB32_14:
	v_lshl_add_u32 v4, s24, 13, v6
	v_ashrrev_i32_e32 v5, 31, v4
	v_lshl_add_u64 v[4:5], v[4:5], 2, s[16:17]
	global_load_dword v5, v[4:5], off
	s_load_dwordx2 s[4:5], s[8:9], 0x0
	v_max_f32_e32 v4, v9, v9
	s_waitcnt lgkmcnt(0)
	v_max_f32_e64 v10, s4, s4
	v_max_f32_e32 v10, v4, v10
	v_sub_f32_e32 v11, v9, v10
	v_sub_f32_e32 v13, s4, v10
	v_mul_f32_e32 v4, 0x3fb8aa3b, v11
	v_mul_f32_e32 v12, 0x3fb8aa3b, v13
	v_fma_f32 v14, v11, s10, -v4
	v_rndne_f32_e32 v15, v4
	v_fma_f32 v16, v13, s10, -v12
	v_rndne_f32_e32 v17, v12
	v_fmac_f32_e32 v14, 0x32a5705f, v11
	v_sub_f32_e32 v4, v4, v15
	v_fmac_f32_e32 v16, 0x32a5705f, v13
	v_sub_f32_e32 v12, v12, v17
	v_add_f32_e32 v4, v4, v14
	v_cvt_i32_f32_e32 v15, v15
	v_add_f32_e32 v12, v12, v16
	v_exp_f32_e32 v14, v4
	v_cvt_i32_f32_e32 v17, v17
	v_exp_f32_e32 v12, v12
	v_cmp_ngt_f32_e32 vcc, s20, v11
	v_ldexp_f32 v14, v14, v15
	v_mov_b32_e32 v4, s5
	v_ldexp_f32 v12, v12, v17
	v_cndmask_b32_e32 v14, 0, v14, vcc
	v_cmp_ngt_f32_e32 vcc, s20, v13
	s_nop 1
	v_cndmask_b32_e32 v12, 0, v12, vcc
	v_cmp_nlt_f32_e32 vcc, s21, v11
	s_nop 1
	v_cndmask_b32_e32 v14, v8, v14, vcc
	v_cmp_nlt_f32_e32 vcc, s21, v13
	s_nop 1
	v_cndmask_b32_e32 v15, v8, v12, vcc
	v_cmp_le_f32_e32 vcc, s23, v11
	s_nop 1
	v_cndmask_b32_e32 v12, 0, v14, vcc
	v_cmp_le_f32_e32 vcc, s23, v13
	s_nop 1
	v_cndmask_b32_e32 v14, 0, v15, vcc
	s_waitcnt vmcnt(0)
	v_pk_mul_f32 v[4:5], v[4:5], v[14:15] op_sel_hi:[1,0]
	s_nop 0
	v_pk_fma_f32 v[4:5], v[0:1], v[12:13], v[4:5] op_sel_hi:[1,0,1]
	s_cbranch_execz .LBB32_16
	s_branch .LBB32_17
.LBB32_15:
                                        ; implicit-def: $vgpr4_vgpr5
                                        ; implicit-def: $sgpr2_sgpr3
                                        ; implicit-def: $vgpr10
                                        ; implicit-def: $sgpr1
                                        ; implicit-def: $sgpr25
.LBB32_16:
	s_add_i32 s1, s24, -1
	s_mov_b64 s[2:3], 0
	s_mov_b32 s25, s6
	v_mov_b32_e32 v10, v9
	s_waitcnt vmcnt(0)
	v_mov_b64_e32 v[4:5], v[0:1]
.LBB32_17:
	s_andn2_b64 vcc, exec, s[2:3]
	s_cbranch_vccz .LBB32_22
; %bb.18:
	s_mov_b32 s6, s25
	s_mov_b32 s24, s1
	v_mov_b32_e32 v9, v10
	s_waitcnt vmcnt(0)
	v_mov_b64_e32 v[0:1], v[4:5]
	s_mul_hi_i32 s1, s24, s11
	s_cmp_lg_u64 s[0:1], 0
	s_mul_i32 s8, s24, s11
	s_cbranch_scc1 .LBB32_9
.LBB32_19:
                                        ; implicit-def: $sgpr4_sgpr5
	s_branch .LBB32_10
.LBB32_20:
                                        ; implicit-def: $sgpr6_sgpr7
	s_load_dwordx4 s[12:15], s[0:1], 0x44
	s_branch .LBB32_2
.LBB32_21:
                                        ; implicit-def: $sgpr18_sgpr19
	s_branch .LBB32_5
.LBB32_22:
	v_div_scale_f32 v0, s[0:1], v4, v4, v5
	s_waitcnt vmcnt(0)
	v_rcp_f32_e32 v1, v0
	v_div_scale_f32 v6, vcc, v5, v4, v5
	v_fma_f32 v7, -v0, v1, 1.0
	v_fmac_f32_e32 v1, v7, v1
	v_mul_f32_e32 v7, v6, v1
	v_fma_f32 v8, -v0, v7, v6
	v_fmac_f32_e32 v7, v8, v1
	v_fma_f32 v0, -v0, v7, v6
	v_div_fmas_f32 v0, v0, v1, v7
	v_div_fixup_f32 v0, v0, v4, v5
	global_store_dword v[2:3], v0, off
.LBB32_23:
	s_endpgm
	.section	.rodata,"a",@progbits
	.p2align	6, 0x0
	.amdhsa_kernel _ZL33flash_attn_stream_k_fixup_generalILi256ELi32ELi1EEvPfPK15HIP_vector_typeIfLj2EEiiiiS1_IjLj3EES5_S5_S5_
		.amdhsa_group_segment_fixed_size 0
		.amdhsa_private_segment_fixed_size 0
		.amdhsa_kernarg_size 336
		.amdhsa_user_sgpr_count 2
		.amdhsa_user_sgpr_dispatch_ptr 0
		.amdhsa_user_sgpr_queue_ptr 0
		.amdhsa_user_sgpr_kernarg_segment_ptr 1
		.amdhsa_user_sgpr_dispatch_id 0
		.amdhsa_user_sgpr_kernarg_preload_length 0
		.amdhsa_user_sgpr_kernarg_preload_offset 0
		.amdhsa_user_sgpr_private_segment_size 0
		.amdhsa_uses_dynamic_stack 0
		.amdhsa_enable_private_segment 0
		.amdhsa_system_sgpr_workgroup_id_x 1
		.amdhsa_system_sgpr_workgroup_id_y 1
		.amdhsa_system_sgpr_workgroup_id_z 1
		.amdhsa_system_sgpr_workgroup_info 0
		.amdhsa_system_vgpr_workitem_id 0
		.amdhsa_next_free_vgpr 18
		.amdhsa_next_free_sgpr 36
		.amdhsa_accum_offset 20
		.amdhsa_reserve_vcc 1
		.amdhsa_float_round_mode_32 0
		.amdhsa_float_round_mode_16_64 0
		.amdhsa_float_denorm_mode_32 3
		.amdhsa_float_denorm_mode_16_64 3
		.amdhsa_dx10_clamp 1
		.amdhsa_ieee_mode 1
		.amdhsa_fp16_overflow 0
		.amdhsa_tg_split 0
		.amdhsa_exception_fp_ieee_invalid_op 0
		.amdhsa_exception_fp_denorm_src 0
		.amdhsa_exception_fp_ieee_div_zero 0
		.amdhsa_exception_fp_ieee_overflow 0
		.amdhsa_exception_fp_ieee_underflow 0
		.amdhsa_exception_fp_ieee_inexact 0
		.amdhsa_exception_int_div_zero 0
	.end_amdhsa_kernel
	.section	.text._ZL33flash_attn_stream_k_fixup_generalILi256ELi32ELi1EEvPfPK15HIP_vector_typeIfLj2EEiiiiS1_IjLj3EES5_S5_S5_,"axG",@progbits,_ZL33flash_attn_stream_k_fixup_generalILi256ELi32ELi1EEvPfPK15HIP_vector_typeIfLj2EEiiiiS1_IjLj3EES5_S5_S5_,comdat
.Lfunc_end32:
	.size	_ZL33flash_attn_stream_k_fixup_generalILi256ELi32ELi1EEvPfPK15HIP_vector_typeIfLj2EEiiiiS1_IjLj3EES5_S5_S5_, .Lfunc_end32-_ZL33flash_attn_stream_k_fixup_generalILi256ELi32ELi1EEvPfPK15HIP_vector_typeIfLj2EEiiiiS1_IjLj3EES5_S5_S5_
                                        ; -- End function
	.set _ZL33flash_attn_stream_k_fixup_generalILi256ELi32ELi1EEvPfPK15HIP_vector_typeIfLj2EEiiiiS1_IjLj3EES5_S5_S5_.num_vgpr, 18
	.set _ZL33flash_attn_stream_k_fixup_generalILi256ELi32ELi1EEvPfPK15HIP_vector_typeIfLj2EEiiiiS1_IjLj3EES5_S5_S5_.num_agpr, 0
	.set _ZL33flash_attn_stream_k_fixup_generalILi256ELi32ELi1EEvPfPK15HIP_vector_typeIfLj2EEiiiiS1_IjLj3EES5_S5_S5_.numbered_sgpr, 36
	.set _ZL33flash_attn_stream_k_fixup_generalILi256ELi32ELi1EEvPfPK15HIP_vector_typeIfLj2EEiiiiS1_IjLj3EES5_S5_S5_.num_named_barrier, 0
	.set _ZL33flash_attn_stream_k_fixup_generalILi256ELi32ELi1EEvPfPK15HIP_vector_typeIfLj2EEiiiiS1_IjLj3EES5_S5_S5_.private_seg_size, 0
	.set _ZL33flash_attn_stream_k_fixup_generalILi256ELi32ELi1EEvPfPK15HIP_vector_typeIfLj2EEiiiiS1_IjLj3EES5_S5_S5_.uses_vcc, 1
	.set _ZL33flash_attn_stream_k_fixup_generalILi256ELi32ELi1EEvPfPK15HIP_vector_typeIfLj2EEiiiiS1_IjLj3EES5_S5_S5_.uses_flat_scratch, 0
	.set _ZL33flash_attn_stream_k_fixup_generalILi256ELi32ELi1EEvPfPK15HIP_vector_typeIfLj2EEiiiiS1_IjLj3EES5_S5_S5_.has_dyn_sized_stack, 0
	.set _ZL33flash_attn_stream_k_fixup_generalILi256ELi32ELi1EEvPfPK15HIP_vector_typeIfLj2EEiiiiS1_IjLj3EES5_S5_S5_.has_recursion, 0
	.set _ZL33flash_attn_stream_k_fixup_generalILi256ELi32ELi1EEvPfPK15HIP_vector_typeIfLj2EEiiiiS1_IjLj3EES5_S5_S5_.has_indirect_call, 0
	.section	.AMDGPU.csdata,"",@progbits
; Kernel info:
; codeLenInByte = 2932
; TotalNumSgprs: 42
; NumVgprs: 18
; NumAgprs: 0
; TotalNumVgprs: 18
; ScratchSize: 0
; MemoryBound: 0
; FloatMode: 240
; IeeeMode: 1
; LDSByteSize: 0 bytes/workgroup (compile time only)
; SGPRBlocks: 5
; VGPRBlocks: 2
; NumSGPRsForWavesPerEU: 42
; NumVGPRsForWavesPerEU: 18
; AccumOffset: 20
; Occupancy: 8
; WaveLimiterHint : 0
; COMPUTE_PGM_RSRC2:SCRATCH_EN: 0
; COMPUTE_PGM_RSRC2:USER_SGPR: 2
; COMPUTE_PGM_RSRC2:TRAP_HANDLER: 0
; COMPUTE_PGM_RSRC2:TGID_X_EN: 1
; COMPUTE_PGM_RSRC2:TGID_Y_EN: 1
; COMPUTE_PGM_RSRC2:TGID_Z_EN: 1
; COMPUTE_PGM_RSRC2:TIDIG_COMP_CNT: 0
; COMPUTE_PGM_RSRC3_GFX90A:ACCUM_OFFSET: 4
; COMPUTE_PGM_RSRC3_GFX90A:TG_SPLIT: 0
	.section	.text._ZL26flash_attn_combine_resultsILi256EEvPKfPK15HIP_vector_typeIfLj2EEPfi,"axG",@progbits,_ZL26flash_attn_combine_resultsILi256EEvPKfPK15HIP_vector_typeIfLj2EEPfi,comdat
	.globl	_ZL26flash_attn_combine_resultsILi256EEvPKfPK15HIP_vector_typeIfLj2EEPfi ; -- Begin function _ZL26flash_attn_combine_resultsILi256EEvPKfPK15HIP_vector_typeIfLj2EEPfi
	.p2align	8
	.type	_ZL26flash_attn_combine_resultsILi256EEvPKfPK15HIP_vector_typeIfLj2EEPfi,@function
_ZL26flash_attn_combine_resultsILi256EEvPKfPK15HIP_vector_typeIfLj2EEPfi: ; @_ZL26flash_attn_combine_resultsILi256EEvPKfPK15HIP_vector_typeIfLj2EEPfi
; %bb.0:
	s_load_dwordx2 s[6:7], s[0:1], 0x20
	s_load_dword s19, s[0:1], 0x18
	s_load_dwordx4 s[8:11], s[0:1], 0x0
	s_load_dwordx2 s[14:15], s[0:1], 0x10
	s_waitcnt lgkmcnt(0)
	s_mul_i32 s0, s6, s4
	s_add_i32 s0, s0, s2
	s_mul_i32 s18, s0, s7
	s_add_i32 s18, s18, s3
	s_lshl_b32 s20, s19, 1
	s_mul_i32 s2, s18, s19
	v_cmp_gt_i32_e32 vcc, s20, v0
	s_and_saveexec_b64 s[0:1], vcc
	s_cbranch_execz .LBB33_13
; %bb.1:
	v_xad_u32 v1, v0, -1, s20
	s_movk_i32 s4, 0xff
	s_ashr_i32 s3, s2, 31
	v_cmp_lt_u32_e32 vcc, s4, v1
	s_mov_b64 s[6:7], -1
	v_mov_b32_e32 v2, v0
	s_and_saveexec_b64 s[4:5], vcc
	s_cbranch_execz .LBB33_10
; %bb.2:
	v_lshrrev_b32_e32 v6, 8, v1
	s_lshl_b64 s[6:7], s[2:3], 3
	v_add_u32_e32 v2, -1, v6
	s_add_u32 s6, s10, s6
	v_or_b32_e32 v1, 0x100, v0
	v_lshrrev_b32_e32 v3, 1, v2
	s_addc_u32 s7, s11, s7
	s_mov_b32 s21, 0
	v_add_u32_e32 v7, 1, v3
	v_cmp_lt_u32_e32 vcc, 13, v2
	v_mov_b32_e32 v4, 0
	v_mov_b64_e32 v[2:3], v[0:1]
	s_and_saveexec_b64 s[12:13], vcc
	s_cbranch_execz .LBB33_6
; %bb.3:
	v_and_b32_e32 v8, -8, v7
	v_lshl_add_u32 v9, v0, 2, 0
	s_mov_b64 s[16:17], 0
	v_mov_b32_e32 v5, 0
	v_mov_b64_e32 v[2:3], v[0:1]
.LBB33_4:                               ; =>This Inner Loop Header: Depth=1
	v_mov_b32_e32 v4, v2
	v_lshl_add_u64 v[24:25], v[4:5], 2, s[6:7]
	v_mov_b32_e32 v4, v3
	v_add_u32_e32 v10, 0x200, v3
	v_mov_b32_e32 v11, v5
	v_lshl_add_u64 v[26:27], v[4:5], 2, s[6:7]
	v_add_u32_e32 v4, 0x200, v2
	v_lshl_add_u64 v[10:11], v[10:11], 2, s[6:7]
	global_load_dword v1, v[24:25], off
	v_lshl_add_u64 v[24:25], v[4:5], 2, s[6:7]
	v_add_u32_e32 v4, 0x400, v2
	global_load_dword v28, v[26:27], off
	global_load_dword v29, v[24:25], off
	;; [unrolled: 1-line block ×3, first 2 shown]
	v_lshl_add_u64 v[10:11], v[4:5], 2, s[6:7]
	v_add_u32_e32 v4, 0x600, v2
	v_add_u32_e32 v12, 0x400, v3
	v_mov_b32_e32 v13, v5
	v_add_u32_e32 v14, 0x600, v3
	v_mov_b32_e32 v15, v5
	v_lshl_add_u64 v[24:25], v[4:5], 2, s[6:7]
	v_add_u32_e32 v4, 0x800, v2
	v_lshl_add_u64 v[12:13], v[12:13], 2, s[6:7]
	v_lshl_add_u64 v[14:15], v[14:15], 2, s[6:7]
	global_load_dword v26, v[10:11], off
	global_load_dword v27, v[12:13], off
	;; [unrolled: 1-line block ×4, first 2 shown]
	v_lshl_add_u64 v[10:11], v[4:5], 2, s[6:7]
	v_add_u32_e32 v4, 0xa00, v2
	v_add_u32_e32 v16, 0x800, v3
	v_mov_b32_e32 v17, v5
	v_add_u32_e32 v18, 0xa00, v3
	v_mov_b32_e32 v19, v5
	v_lshl_add_u64 v[12:13], v[4:5], 2, s[6:7]
	v_add_u32_e32 v4, 0xc00, v2
	v_add_u32_e32 v20, 0xc00, v3
	v_mov_b32_e32 v21, v5
	v_add_u32_e32 v22, 0xe00, v3
	v_mov_b32_e32 v23, v5
	v_lshl_add_u64 v[16:17], v[16:17], 2, s[6:7]
	v_lshl_add_u64 v[18:19], v[18:19], 2, s[6:7]
	global_load_dword v14, v[10:11], off
	global_load_dword v15, v[16:17], off
	;; [unrolled: 1-line block ×4, first 2 shown]
	v_lshl_add_u64 v[10:11], v[4:5], 2, s[6:7]
	v_add_u32_e32 v4, 0xe00, v2
	v_lshl_add_u64 v[20:21], v[20:21], 2, s[6:7]
	v_lshl_add_u64 v[22:23], v[22:23], 2, s[6:7]
	;; [unrolled: 1-line block ×3, first 2 shown]
	global_load_dword v16, v[10:11], off
	global_load_dword v17, v[20:21], off
	;; [unrolled: 1-line block ×4, first 2 shown]
	v_add_u32_e32 v8, -8, v8
	s_add_i32 s21, s21, 16
	v_cmp_eq_u32_e32 vcc, 0, v8
	v_add_u32_e32 v3, 0x1000, v3
	v_mov_b32_e32 v4, s21
	s_or_b64 s[16:17], vcc, s[16:17]
	v_add_u32_e32 v2, 0x1000, v2
	s_waitcnt vmcnt(14)
	ds_write2st64_b32 v9, v1, v28 offset1:4
	s_waitcnt vmcnt(12)
	ds_write2st64_b32 v9, v29, v30 offset0:8 offset1:12
	s_waitcnt vmcnt(10)
	ds_write2st64_b32 v9, v26, v27 offset0:16 offset1:20
	;; [unrolled: 2-line block ×7, first 2 shown]
	v_add_u32_e32 v9, 0x4000, v9
	s_andn2_b64 exec, exec, s[16:17]
	s_cbranch_execnz .LBB33_4
; %bb.5:
	s_or_b64 exec, exec, s[16:17]
.LBB33_6:
	s_or_b64 exec, exec, s[12:13]
	v_and_b32_e32 v1, 7, v7
	v_cmp_ne_u32_e32 vcc, 0, v1
	s_and_saveexec_b64 s[12:13], vcc
	s_cbranch_execz .LBB33_9
; %bb.7:
	v_lshlrev_b32_e32 v5, 2, v0
	v_lshl_or_b32 v4, v4, 10, v5
	v_add_u32_e32 v7, 0, v4
	s_mov_b64 s[16:17], 0
	v_mov_b32_e32 v5, 0
.LBB33_8:                               ; =>This Inner Loop Header: Depth=1
	v_mov_b32_e32 v4, v2
	v_lshl_add_u64 v[8:9], v[4:5], 2, s[6:7]
	v_mov_b32_e32 v4, v3
	v_lshl_add_u64 v[10:11], v[4:5], 2, s[6:7]
	global_load_dword v4, v[8:9], off
	global_load_dword v12, v[10:11], off
	v_add_u32_e32 v1, -1, v1
	v_cmp_eq_u32_e32 vcc, 0, v1
	v_add_u32_e32 v2, 0x200, v2
	v_add_u32_e32 v3, 0x200, v3
	s_or_b64 s[16:17], vcc, s[16:17]
	s_waitcnt vmcnt(0)
	ds_write2st64_b32 v7, v4, v12 offset1:4
	v_add_u32_e32 v7, 0x800, v7
	s_andn2_b64 exec, exec, s[16:17]
	s_cbranch_execnz .LBB33_8
.LBB33_9:
	s_or_b64 exec, exec, s[12:13]
	v_add_u32_e32 v1, 1, v6
	v_and_b32_e32 v3, 0x1fffffe, v1
	v_cmp_ne_u32_e32 vcc, v1, v3
	v_lshl_or_b32 v2, v3, 8, v0
	s_orn2_b64 s[6:7], vcc, exec
.LBB33_10:
	s_or_b64 exec, exec, s[4:5]
	s_and_b64 exec, exec, s[6:7]
	s_cbranch_execz .LBB33_13
; %bb.11:
	s_lshl_b64 s[4:5], s[2:3], 3
	s_add_u32 s4, s10, s4
	v_mov_b32_e32 v3, 0
	s_addc_u32 s5, s11, s5
	v_lshl_add_u64 v[4:5], v[2:3], 2, s[4:5]
	v_lshl_add_u32 v1, v2, 2, 0
	s_mov_b64 s[4:5], 0
	s_mov_b64 s[6:7], 0x400
.LBB33_12:                              ; =>This Inner Loop Header: Depth=1
	global_load_dword v3, v[4:5], off
	v_add_u32_e32 v2, 0x100, v2
	v_cmp_le_i32_e32 vcc, s20, v2
	v_lshl_add_u64 v[4:5], v[4:5], 0, s[6:7]
	s_or_b64 s[4:5], vcc, s[4:5]
	s_waitcnt vmcnt(0)
	ds_write_b32 v1, v3
	v_add_u32_e32 v1, 0x400, v1
	s_andn2_b64 exec, exec, s[4:5]
	s_cbranch_execnz .LBB33_12
.LBB33_13:
	s_or_b64 exec, exec, s[0:1]
	v_mov_b32_e32 v1, 0
	s_waitcnt lgkmcnt(0)
	s_barrier
	ds_read_b32 v1, v1
	s_cmp_lt_i32 s19, 2
	s_cbranch_scc1 .LBB33_21
; %bb.14:
	s_cmp_eq_u32 s19, 2
	s_cbranch_scc1 .LBB33_18
; %bb.15:
	s_add_i32 s3, s19, -1
	s_and_b32 s4, s3, -2
	s_add_i32 s6, 0, 8
	s_mov_b32 s5, 2
	s_waitcnt lgkmcnt(0)
	v_mov_b32_e32 v4, v1
.LBB33_16:                              ; =>This Inner Loop Header: Depth=1
	v_mov_b32_e32 v2, v1
	v_mov_b32_e32 v1, s6
	;; [unrolled: 1-line block ×3, first 2 shown]
	ds_read2_b32 v[4:5], v1 offset1:2
	s_cmp_lg_u32 s4, s5
	s_cselect_b64 s[10:11], -1, 0
	v_max_f32_e32 v1, v3, v3
	v_max_f32_e32 v6, v2, v2
	s_waitcnt lgkmcnt(0)
	v_cmp_u_f32_e32 vcc, v5, v5
	v_max_f32_e32 v7, v5, v5
	v_max_f32_e32 v8, v4, v4
	v_cndmask_b32_e64 v5, 0, 1, vcc
	v_cmp_u_f32_e32 vcc, v4, v4
	v_readfirstlane_b32 s0, v5
	s_lshl_b32 s0, s0, 1
	v_cndmask_b32_e64 v9, 0, 1, vcc
	v_max_f32_e32 v4, v1, v7
	v_readfirstlane_b32 s1, v9
	s_or_b32 s0, s1, s0
	s_and_b32 s7, s0, 3
	s_cmp_lg_u32 s7, 0
	s_cselect_b64 s[0:1], -1, 0
	s_cmp_eq_u32 s7, 0
	s_cselect_b64 s[12:13], -1, 0
	s_and_b64 s[10:11], s[12:13], s[10:11]
	v_max_f32_e32 v1, v6, v8
	s_add_i32 s5, s5, 2
	s_add_i32 s6, s6, 16
	s_and_b64 vcc, exec, s[10:11]
	s_cbranch_vccnz .LBB33_16
; %bb.17:
	s_add_i32 s5, s5, -4
	s_and_b64 s[6:7], s[0:1], exec
	s_cselect_b32 s5, s5, s3
	s_or_b32 s5, s5, 1
	v_cndmask_b32_e64 v1, v1, v2, s[0:1]
	v_cndmask_b32_e64 v2, v4, v3, s[0:1]
	s_cmp_lg_u32 s3, s4
	v_max_f32_e32 v2, v2, v2
	v_max_f32_e32 v1, v1, v1
	s_cselect_b64 s[6:7], -1, 0
	v_max_f32_e32 v1, v1, v2
	s_or_b64 s[0:1], s[6:7], s[0:1]
	s_and_b64 vcc, exec, s[0:1]
	s_cbranch_vccnz .LBB33_19
	s_branch .LBB33_21
.LBB33_18:
	s_mov_b32 s5, 1
	s_cbranch_execz .LBB33_21
.LBB33_19:
	s_lshl_b32 s1, s5, 3
	s_sub_i32 s0, s19, s5
	s_add_i32 s1, s1, 0
.LBB33_20:                              ; =>This Inner Loop Header: Depth=1
	v_mov_b32_e32 v2, s1
	ds_read_b32 v2, v2
	s_waitcnt lgkmcnt(1)
	v_max_f32_e32 v1, v1, v1
	s_add_i32 s0, s0, -1
	s_add_i32 s1, s1, 8
	s_cmp_eq_u32 s0, 0
	s_waitcnt lgkmcnt(0)
	v_max_f32_e32 v2, v2, v2
	v_max_f32_e32 v1, v1, v2
	s_cbranch_scc0 .LBB33_20
.LBB33_21:
	s_cmp_lt_i32 s19, 1
	s_cbranch_scc1 .LBB33_26
; %bb.22:
	s_lshl_b32 s0, s2, 8
	s_ashr_i32 s1, s0, 31
	s_lshl_b64 s[0:1], s[0:1], 2
	s_add_u32 s16, s8, s0
	s_addc_u32 s17, s9, s1
	s_cmp_lt_u32 s19, 8
	s_cbranch_scc1 .LBB33_27
; %bb.23:
	v_mov_b32_e32 v7, 0
	s_and_b32 s20, s19, 0x7ffffff8
	v_or_b32_e32 v4, 0x700, v0
	s_mov_b32 s21, 0
	s_mov_b32 s22, 0x3fb8aa3b
	;; [unrolled: 1-line block ×4, first 2 shown]
	v_mov_b32_e32 v8, 0x7f800000
	s_mov_b32 s25, 0
	v_mov_b32_e32 v2, v7
	v_mov_b32_e32 v3, v7
.LBB33_24:                              ; =>This Inner Loop Header: Depth=1
	v_add_u32_e32 v6, 0xfffff900, v4
	v_lshl_add_u64 v[26:27], v[6:7], 2, s[16:17]
	v_add_u32_e32 v6, 0xfffffa00, v4
	v_mov_b32_e32 v9, s21
	v_lshl_add_u64 v[30:31], v[6:7], 2, s[16:17]
	v_add_u32_e32 v6, 0xfffffb00, v4
	ds_read2_b64 v[10:13], v9 offset1:1
	ds_read2_b64 v[14:17], v9 offset0:2 offset1:3
	ds_read2_b64 v[18:21], v9 offset0:4 offset1:5
	;; [unrolled: 1-line block ×3, first 2 shown]
	global_load_dword v33, v[26:27], off
	global_load_dword v35, v[30:31], off
	v_lshl_add_u64 v[26:27], v[6:7], 2, s[16:17]
	v_add_u32_e32 v6, 0xfffffc00, v4
	v_lshl_add_u64 v[30:31], v[6:7], 2, s[16:17]
	v_add_u32_e32 v6, 0xfffffd00, v4
	global_load_dword v37, v[26:27], off
	global_load_dword v39, v[30:31], off
	v_lshl_add_u64 v[26:27], v[6:7], 2, s[16:17]
	v_add_u32_e32 v6, 0xfffffe00, v4
	s_waitcnt lgkmcnt(3)
	v_mov_b32_e32 v32, v11
	v_sub_f32_e32 v9, v12, v1
	v_mov_b32_e32 v34, v13
	global_load_dword v11, v[26:27], off
	v_lshl_add_u64 v[12:13], v[6:7], 2, s[16:17]
	s_waitcnt lgkmcnt(2)
	v_mov_b32_e32 v36, v15
	v_add_u32_e32 v6, 0xffffff00, v4
	global_load_dword v15, v[12:13], off
	v_mov_b32_e32 v5, v7
	v_lshl_add_u64 v[12:13], v[6:7], 2, s[16:17]
	v_lshl_add_u64 v[28:29], v[4:5], 2, s[16:17]
	v_sub_f32_e32 v5, v10, v1
	v_mov_b32_e32 v38, v17
	s_waitcnt lgkmcnt(1)
	v_mov_b32_e32 v10, v19
	global_load_dword v17, v[12:13], off
	global_load_dword v19, v[28:29], off
	v_sub_f32_e32 v30, v14, v1
	v_sub_f32_e32 v31, v16, v1
	;; [unrolled: 1-line block ×3, first 2 shown]
	v_mov_b32_e32 v14, v21
	s_waitcnt lgkmcnt(0)
	v_sub_f32_e32 v21, v22, v1
	v_mov_b32_e32 v16, v23
	v_sub_f32_e32 v22, v24, v1
	v_mul_f32_e32 v23, 0x3fb8aa3b, v5
	v_mov_b32_e32 v18, v25
	v_mul_f32_e32 v24, 0x3fb8aa3b, v9
	v_mul_f32_e32 v25, 0x3fb8aa3b, v30
	;; [unrolled: 1-line block ×5, first 2 shown]
	v_fma_f32 v43, v5, s22, -v23
	v_rndne_f32_e32 v44, v23
	v_sub_f32_e32 v20, v20, v1
	v_fma_f32 v45, v9, s22, -v24
	v_rndne_f32_e32 v46, v24
	v_fma_f32 v47, v30, s22, -v25
	v_rndne_f32_e32 v48, v25
	;; [unrolled: 2-line block ×5, first 2 shown]
	v_fmac_f32_e32 v43, 0x32a5705f, v5
	v_sub_f32_e32 v12, v23, v44
	v_mul_f32_e32 v26, 0x3fb8aa3b, v31
	v_mul_f32_e32 v41, 0x3fb8aa3b, v20
	v_fmac_f32_e32 v45, 0x32a5705f, v9
	v_sub_f32_e32 v23, v24, v46
	v_fmac_f32_e32 v47, 0x32a5705f, v30
	v_sub_f32_e32 v25, v25, v48
	;; [unrolled: 2-line block ×5, first 2 shown]
	v_add_f32_e32 v12, v12, v43
	v_fma_f32 v49, v31, s22, -v26
	v_rndne_f32_e32 v50, v26
	v_fma_f32 v53, v20, s22, -v41
	v_rndne_f32_e32 v54, v41
	v_cvt_i32_f32_e32 v13, v44
	v_add_f32_e32 v23, v23, v45
	v_add_f32_e32 v25, v25, v47
	;; [unrolled: 1-line block ×5, first 2 shown]
	v_exp_f32_e32 v12, v12
	v_cvt_i32_f32_e32 v24, v46
	v_cvt_i32_f32_e32 v28, v48
	v_fmac_f32_e32 v49, 0x32a5705f, v31
	v_sub_f32_e32 v26, v26, v50
	v_cvt_i32_f32_e32 v29, v50
	v_cvt_i32_f32_e32 v44, v52
	v_fmac_f32_e32 v53, 0x32a5705f, v20
	v_sub_f32_e32 v41, v41, v54
	v_cvt_i32_f32_e32 v48, v56
	v_cvt_i32_f32_e32 v50, v58
	v_exp_f32_e32 v23, v23
	v_exp_f32_e32 v25, v25
	;; [unrolled: 1-line block ×5, first 2 shown]
	v_add_f32_e32 v26, v26, v49
	v_add_f32_e32 v41, v41, v53
	v_cvt_i32_f32_e32 v46, v54
	v_exp_f32_e32 v26, v26
	v_exp_f32_e32 v41, v41
	v_ldexp_f32 v12, v12, v13
	v_cmp_ngt_f32_e64 s[12:13], s23, v5
	v_ldexp_f32 v13, v23, v24
	v_cmp_ngt_f32_e32 vcc, s23, v9
	v_ldexp_f32 v23, v25, v28
	v_ldexp_f32 v25, v27, v44
	;; [unrolled: 1-line block ×3, first 2 shown]
	v_cmp_ngt_f32_e64 s[8:9], s23, v21
	v_ldexp_f32 v6, v6, v50
	v_cmp_ngt_f32_e64 s[10:11], s23, v22
	v_cndmask_b32_e64 v12, 0, v12, s[12:13]
	v_cmp_nlt_f32_e64 s[12:13], s24, v5
	v_cmp_ngt_f32_e64 s[0:1], s23, v30
	v_cndmask_b32_e32 v13, 0, v13, vcc
	v_cmp_nlt_f32_e32 vcc, s24, v9
	v_cndmask_b32_e64 v27, 0, v27, s[8:9]
	v_cmp_nlt_f32_e64 s[8:9], s24, v21
	v_cndmask_b32_e64 v21, 0, v6, s[10:11]
	v_cndmask_b32_e64 v6, v8, v12, s[12:13]
	v_ldexp_f32 v24, v26, v29
	v_cmp_ngt_f32_e64 s[2:3], s23, v31
	v_cmp_ngt_f32_e64 s[4:5], s23, v40
	v_ldexp_f32 v26, v41, v46
	v_cmp_ngt_f32_e64 s[6:7], s23, v20
	v_cndmask_b32_e64 v9, 0, v23, s[0:1]
	v_cmp_nlt_f32_e64 s[0:1], s24, v30
	v_cndmask_b32_e32 v12, v8, v13, vcc
	s_waitcnt vmcnt(7)
	v_pk_fma_f32 v[2:3], v[6:7], v[32:33], v[2:3] op_sel_hi:[0,1,1]
	v_cndmask_b32_e64 v23, 0, v24, s[2:3]
	v_cmp_nlt_f32_e64 s[2:3], s24, v31
	v_cndmask_b32_e64 v24, 0, v25, s[4:5]
	v_cndmask_b32_e64 v25, 0, v26, s[6:7]
	v_cmp_nlt_f32_e64 s[6:7], s24, v20
	v_cndmask_b32_e64 v20, v8, v9, s[0:1]
	s_waitcnt vmcnt(6)
	v_pk_fma_f32 v[2:3], v[12:13], v[34:35], v[2:3] op_sel_hi:[0,1,1]
	v_cmp_nlt_f32_e64 s[4:5], s24, v40
	v_cmp_nlt_f32_e64 s[10:11], s24, v22
	v_cndmask_b32_e64 v22, v8, v23, s[2:3]
	s_waitcnt vmcnt(5)
	v_pk_fma_f32 v[2:3], v[20:21], v[36:37], v[2:3] op_sel_hi:[0,1,1]
	v_cndmask_b32_e64 v24, v8, v24, s[4:5]
	s_waitcnt vmcnt(4)
	v_pk_fma_f32 v[2:3], v[22:23], v[38:39], v[2:3] op_sel_hi:[0,1,1]
	;; [unrolled: 3-line block ×4, first 2 shown]
	s_add_i32 s25, s25, 8
	s_add_i32 s21, s21, 64
	v_cndmask_b32_e64 v30, v8, v21, s[10:11]
	s_waitcnt vmcnt(1)
	v_pk_fma_f32 v[2:3], v[28:29], v[16:17], v[2:3] op_sel_hi:[0,1,1]
	s_cmp_eq_u32 s20, s25
	v_add_u32_e32 v4, 0x800, v4
	s_waitcnt vmcnt(0)
	v_pk_fma_f32 v[2:3], v[30:31], v[18:19], v[2:3] op_sel_hi:[0,1,1]
	s_cbranch_scc0 .LBB33_24
; %bb.25:
	s_and_b32 s0, s19, 7
	s_cmp_eq_u32 s0, 0
	s_cbranch_scc0 .LBB33_28
	s_branch .LBB33_30
.LBB33_26:
	s_waitcnt lgkmcnt(0)
	v_mov_b32_e32 v1, 0x7fc00000
	s_branch .LBB33_31
.LBB33_27:
	v_mov_b32_e32 v2, 0
	s_mov_b32 s20, 0
	v_mov_b32_e32 v3, v2
	s_and_b32 s0, s19, 7
	s_cmp_eq_u32 s0, 0
	s_cbranch_scc1 .LBB33_30
.LBB33_28:
	s_lshl_b32 s1, s20, 3
	v_lshl_or_b32 v4, s20, 8, v0
	s_add_i32 s1, s1, 0
	s_mov_b32 s2, 0x3fb8aa3b
	s_mov_b32 s3, 0xc2ce8ed0
	;; [unrolled: 1-line block ×3, first 2 shown]
	v_mov_b32_e32 v6, 0x7f800000
	v_mov_b32_e32 v5, 0
.LBB33_29:                              ; =>This Inner Loop Header: Depth=1
	v_lshl_add_u64 v[8:9], v[4:5], 2, s[16:17]
	global_load_dword v9, v[8:9], off
	v_mov_b32_e32 v7, s1
	ds_read_b64 v[10:11], v7
	s_add_i32 s1, s1, 8
	s_add_i32 s0, s0, -1
	v_add_u32_e32 v4, 0x100, v4
	s_cmp_lg_u32 s0, 0
	s_waitcnt lgkmcnt(0)
	v_sub_f32_e32 v7, v10, v1
	v_mul_f32_e32 v8, 0x3fb8aa3b, v7
	v_fma_f32 v10, v7, s2, -v8
	v_rndne_f32_e32 v12, v8
	v_fmac_f32_e32 v10, 0x32a5705f, v7
	v_sub_f32_e32 v8, v8, v12
	v_add_f32_e32 v8, v8, v10
	v_cvt_i32_f32_e32 v12, v12
	v_exp_f32_e32 v10, v8
	v_cmp_ngt_f32_e32 vcc, s3, v7
	v_mov_b32_e32 v8, v11
	v_ldexp_f32 v10, v10, v12
	v_cndmask_b32_e32 v10, 0, v10, vcc
	v_cmp_nlt_f32_e32 vcc, s4, v7
	s_nop 1
	v_cndmask_b32_e32 v10, v6, v10, vcc
	s_waitcnt vmcnt(0)
	v_pk_fma_f32 v[2:3], v[10:11], v[8:9], v[2:3] op_sel_hi:[0,1,1]
	s_cbranch_scc1 .LBB33_29
.LBB33_30:
	s_waitcnt lgkmcnt(0)
	v_div_scale_f32 v1, s[0:1], v2, v2, v3
	v_rcp_f32_e32 v4, v1
	v_div_scale_f32 v5, vcc, v3, v2, v3
	v_fma_f32 v6, -v1, v4, 1.0
	v_fmac_f32_e32 v4, v6, v4
	v_mul_f32_e32 v6, v5, v4
	v_fma_f32 v7, -v1, v6, v5
	v_fmac_f32_e32 v6, v7, v4
	v_fma_f32 v1, -v1, v6, v5
	v_div_fmas_f32 v1, v1, v4, v6
	v_div_fixup_f32 v1, v1, v2, v3
.LBB33_31:
	s_lshl_b32 s0, s18, 8
	s_ashr_i32 s1, s0, 31
	s_lshl_b64 s[0:1], s[0:1], 2
	s_add_u32 s0, s14, s0
	s_addc_u32 s1, s15, s1
	v_lshlrev_b32_e32 v0, 2, v0
	global_store_dword v0, v1, s[0:1]
	s_endpgm
	.section	.rodata,"a",@progbits
	.p2align	6, 0x0
	.amdhsa_kernel _ZL26flash_attn_combine_resultsILi256EEvPKfPK15HIP_vector_typeIfLj2EEPfi
		.amdhsa_group_segment_fixed_size 0
		.amdhsa_private_segment_fixed_size 0
		.amdhsa_kernarg_size 288
		.amdhsa_user_sgpr_count 2
		.amdhsa_user_sgpr_dispatch_ptr 0
		.amdhsa_user_sgpr_queue_ptr 0
		.amdhsa_user_sgpr_kernarg_segment_ptr 1
		.amdhsa_user_sgpr_dispatch_id 0
		.amdhsa_user_sgpr_kernarg_preload_length 0
		.amdhsa_user_sgpr_kernarg_preload_offset 0
		.amdhsa_user_sgpr_private_segment_size 0
		.amdhsa_uses_dynamic_stack 0
		.amdhsa_enable_private_segment 0
		.amdhsa_system_sgpr_workgroup_id_x 1
		.amdhsa_system_sgpr_workgroup_id_y 1
		.amdhsa_system_sgpr_workgroup_id_z 1
		.amdhsa_system_sgpr_workgroup_info 0
		.amdhsa_system_vgpr_workitem_id 0
		.amdhsa_next_free_vgpr 59
		.amdhsa_next_free_sgpr 26
		.amdhsa_accum_offset 60
		.amdhsa_reserve_vcc 1
		.amdhsa_float_round_mode_32 0
		.amdhsa_float_round_mode_16_64 0
		.amdhsa_float_denorm_mode_32 3
		.amdhsa_float_denorm_mode_16_64 3
		.amdhsa_dx10_clamp 1
		.amdhsa_ieee_mode 1
		.amdhsa_fp16_overflow 0
		.amdhsa_tg_split 0
		.amdhsa_exception_fp_ieee_invalid_op 0
		.amdhsa_exception_fp_denorm_src 0
		.amdhsa_exception_fp_ieee_div_zero 0
		.amdhsa_exception_fp_ieee_overflow 0
		.amdhsa_exception_fp_ieee_underflow 0
		.amdhsa_exception_fp_ieee_inexact 0
		.amdhsa_exception_int_div_zero 0
	.end_amdhsa_kernel
	.section	.text._ZL26flash_attn_combine_resultsILi256EEvPKfPK15HIP_vector_typeIfLj2EEPfi,"axG",@progbits,_ZL26flash_attn_combine_resultsILi256EEvPKfPK15HIP_vector_typeIfLj2EEPfi,comdat
.Lfunc_end33:
	.size	_ZL26flash_attn_combine_resultsILi256EEvPKfPK15HIP_vector_typeIfLj2EEPfi, .Lfunc_end33-_ZL26flash_attn_combine_resultsILi256EEvPKfPK15HIP_vector_typeIfLj2EEPfi
                                        ; -- End function
	.set _ZL26flash_attn_combine_resultsILi256EEvPKfPK15HIP_vector_typeIfLj2EEPfi.num_vgpr, 59
	.set _ZL26flash_attn_combine_resultsILi256EEvPKfPK15HIP_vector_typeIfLj2EEPfi.num_agpr, 0
	.set _ZL26flash_attn_combine_resultsILi256EEvPKfPK15HIP_vector_typeIfLj2EEPfi.numbered_sgpr, 26
	.set _ZL26flash_attn_combine_resultsILi256EEvPKfPK15HIP_vector_typeIfLj2EEPfi.num_named_barrier, 0
	.set _ZL26flash_attn_combine_resultsILi256EEvPKfPK15HIP_vector_typeIfLj2EEPfi.private_seg_size, 0
	.set _ZL26flash_attn_combine_resultsILi256EEvPKfPK15HIP_vector_typeIfLj2EEPfi.uses_vcc, 1
	.set _ZL26flash_attn_combine_resultsILi256EEvPKfPK15HIP_vector_typeIfLj2EEPfi.uses_flat_scratch, 0
	.set _ZL26flash_attn_combine_resultsILi256EEvPKfPK15HIP_vector_typeIfLj2EEPfi.has_dyn_sized_stack, 0
	.set _ZL26flash_attn_combine_resultsILi256EEvPKfPK15HIP_vector_typeIfLj2EEPfi.has_recursion, 0
	.set _ZL26flash_attn_combine_resultsILi256EEvPKfPK15HIP_vector_typeIfLj2EEPfi.has_indirect_call, 0
	.section	.AMDGPU.csdata,"",@progbits
; Kernel info:
; codeLenInByte = 2924
; TotalNumSgprs: 32
; NumVgprs: 59
; NumAgprs: 0
; TotalNumVgprs: 59
; ScratchSize: 0
; MemoryBound: 0
; FloatMode: 240
; IeeeMode: 1
; LDSByteSize: 0 bytes/workgroup (compile time only)
; SGPRBlocks: 3
; VGPRBlocks: 7
; NumSGPRsForWavesPerEU: 32
; NumVGPRsForWavesPerEU: 59
; AccumOffset: 60
; Occupancy: 8
; WaveLimiterHint : 0
; COMPUTE_PGM_RSRC2:SCRATCH_EN: 0
; COMPUTE_PGM_RSRC2:USER_SGPR: 2
; COMPUTE_PGM_RSRC2:TRAP_HANDLER: 0
; COMPUTE_PGM_RSRC2:TGID_X_EN: 1
; COMPUTE_PGM_RSRC2:TGID_Y_EN: 1
; COMPUTE_PGM_RSRC2:TGID_Z_EN: 1
; COMPUTE_PGM_RSRC2:TIDIG_COMP_CNT: 0
; COMPUTE_PGM_RSRC3_GFX90A:ACCUM_OFFSET: 14
; COMPUTE_PGM_RSRC3_GFX90A:TG_SPLIT: 0
	.text
	.p2alignl 6, 3212836864
	.fill 256, 4, 3212836864
	.section	.AMDGPU.gpr_maximums,"",@progbits
	.set amdgpu.max_num_vgpr, 50
	.set amdgpu.max_num_agpr, 0
	.set amdgpu.max_num_sgpr, 34
	.text
	.type	.str.3,@object                  ; @.str.3
	.section	.rodata.str1.1,"aMS",@progbits,1
.str.3:
	.asciz	"/root/src/amdgpu-assembly/repos/ggml-org__llama.cpp/ggml/src/ggml-cuda/template-instances/../fattn-mma-f16.cuh"
	.size	.str.3, 111

	.type	__FUNCTION__._ZL18flash_attn_ext_f16ILi64ELi64ELi32ELi1ELb1ELb0EEvPKcS1_S1_S1_S1_PKiPfP15HIP_vector_typeIfLj2EEffffjfiS5_IjLj3EEiiiiiiiiiiiliiliiiiil,@object ; @__FUNCTION__._ZL18flash_attn_ext_f16ILi64ELi64ELi32ELi1ELb1ELb0EEvPKcS1_S1_S1_S1_PKiPfP15HIP_vector_typeIfLj2EEffffjfiS5_IjLj3EEiiiiiiiiiiiliiliiiiil
__FUNCTION__._ZL18flash_attn_ext_f16ILi64ELi64ELi32ELi1ELb1ELb0EEvPKcS1_S1_S1_S1_PKiPfP15HIP_vector_typeIfLj2EEffffjfiS5_IjLj3EEiiiiiiiiiiiliiliiiiil:
	.asciz	"flash_attn_ext_f16"
	.size	__FUNCTION__._ZL18flash_attn_ext_f16ILi64ELi64ELi32ELi1ELb1ELb0EEvPKcS1_S1_S1_S1_PKiPfP15HIP_vector_typeIfLj2EEffffjfiS5_IjLj3EEiiiiiiiiiiiliiliiiiil, 19

	.type	.str.5,@object                  ; @.str.5
.str.5:
	.asciz	"%s:%d: ERROR: HIP kernel %s has no device code compatible with HIP arch %d.\n"
	.size	.str.5, 77

	.type	__hip_cuid_11d553e68901f353,@object ; @__hip_cuid_11d553e68901f353
	.section	.bss,"aw",@nobits
	.globl	__hip_cuid_11d553e68901f353
__hip_cuid_11d553e68901f353:
	.byte	0                               ; 0x0
	.size	__hip_cuid_11d553e68901f353, 1

	.ident	"AMD clang version 22.0.0git (https://github.com/RadeonOpenCompute/llvm-project roc-7.2.4 26084 f58b06dce1f9c15707c5f808fd002e18c2accf7e)"
	.section	".note.GNU-stack","",@progbits
	.addrsig
	.addrsig_sym __hip_cuid_11d553e68901f353
	.amdgpu_metadata
---
amdhsa.kernels:
  - .agpr_count:     0
    .args:
      - .address_space:  global
        .offset:         0
        .size:           8
        .value_kind:     global_buffer
      - .address_space:  global
        .offset:         8
        .size:           8
        .value_kind:     global_buffer
      - .address_space:  global
        .offset:         16
        .size:           8
        .value_kind:     global_buffer
      - .address_space:  global
        .offset:         24
        .size:           8
        .value_kind:     global_buffer
      - .address_space:  global
        .offset:         32
        .size:           8
        .value_kind:     global_buffer
      - .address_space:  global
        .offset:         40
        .size:           8
        .value_kind:     global_buffer
      - .address_space:  global
        .offset:         48
        .size:           8
        .value_kind:     global_buffer
      - .address_space:  global
        .offset:         56
        .size:           8
        .value_kind:     global_buffer
      - .offset:         64
        .size:           4
        .value_kind:     by_value
      - .offset:         68
        .size:           4
        .value_kind:     by_value
      - .offset:         72
        .size:           4
        .value_kind:     by_value
      - .offset:         76
        .size:           4
        .value_kind:     by_value
      - .offset:         80
        .size:           4
        .value_kind:     by_value
      - .offset:         84
        .size:           4
        .value_kind:     by_value
      - .offset:         88
        .size:           4
        .value_kind:     by_value
      - .offset:         92
        .size:           12
        .value_kind:     by_value
      - .offset:         104
        .size:           4
        .value_kind:     by_value
      - .offset:         108
        .size:           4
        .value_kind:     by_value
      - .offset:         112
        .size:           4
        .value_kind:     by_value
      - .offset:         116
        .size:           4
        .value_kind:     by_value
      - .offset:         120
        .size:           4
        .value_kind:     by_value
      - .offset:         124
        .size:           4
        .value_kind:     by_value
      - .offset:         128
        .size:           4
        .value_kind:     by_value
      - .offset:         132
        .size:           4
        .value_kind:     by_value
      - .offset:         136
        .size:           4
        .value_kind:     by_value
      - .offset:         140
        .size:           4
        .value_kind:     by_value
      - .offset:         144
        .size:           4
        .value_kind:     by_value
      - .offset:         152
        .size:           8
        .value_kind:     by_value
      - .offset:         160
        .size:           4
        .value_kind:     by_value
      - .offset:         164
        .size:           4
        .value_kind:     by_value
      - .offset:         168
        .size:           8
        .value_kind:     by_value
      - .offset:         176
        .size:           4
        .value_kind:     by_value
      - .offset:         180
        .size:           4
        .value_kind:     by_value
      - .offset:         184
        .size:           4
        .value_kind:     by_value
      - .offset:         188
        .size:           4
        .value_kind:     by_value
      - .offset:         192
        .size:           4
        .value_kind:     by_value
      - .offset:         200
        .size:           8
        .value_kind:     by_value
      - .offset:         208
        .size:           4
        .value_kind:     hidden_block_count_x
      - .offset:         212
        .size:           4
        .value_kind:     hidden_block_count_y
      - .offset:         216
        .size:           4
        .value_kind:     hidden_block_count_z
      - .offset:         220
        .size:           2
        .value_kind:     hidden_group_size_x
      - .offset:         222
        .size:           2
        .value_kind:     hidden_group_size_y
      - .offset:         224
        .size:           2
        .value_kind:     hidden_group_size_z
      - .offset:         226
        .size:           2
        .value_kind:     hidden_remainder_x
      - .offset:         228
        .size:           2
        .value_kind:     hidden_remainder_y
      - .offset:         230
        .size:           2
        .value_kind:     hidden_remainder_z
      - .offset:         248
        .size:           8
        .value_kind:     hidden_global_offset_x
      - .offset:         256
        .size:           8
        .value_kind:     hidden_global_offset_y
      - .offset:         264
        .size:           8
        .value_kind:     hidden_global_offset_z
      - .offset:         272
        .size:           2
        .value_kind:     hidden_grid_dims
      - .offset:         328
        .size:           4
        .value_kind:     hidden_dynamic_lds_size
    .group_segment_fixed_size: 0
    .kernarg_segment_align: 8
    .kernarg_segment_size: 464
    .language:       OpenCL C
    .language_version:
      - 2
      - 0
    .max_flat_workgroup_size: 256
    .name:           _ZL18flash_attn_ext_f16ILi64ELi64ELi32ELi1ELb0ELb0EEvPKcS1_S1_S1_S1_PKiPfP15HIP_vector_typeIfLj2EEffffjfiS5_IjLj3EEiiiiiiiiiiiliiliiiiil
    .private_segment_fixed_size: 32
    .sgpr_count:     106
    .sgpr_spill_count: 75
    .symbol:         _ZL18flash_attn_ext_f16ILi64ELi64ELi32ELi1ELb0ELb0EEvPKcS1_S1_S1_S1_PKiPfP15HIP_vector_typeIfLj2EEffffjfiS5_IjLj3EEiiiiiiiiiiiliiliiiiil.kd
    .uniform_work_group_size: 1
    .uses_dynamic_stack: false
    .vgpr_count:     174
    .vgpr_spill_count: 0
    .wavefront_size: 64
  - .agpr_count:     0
    .args:
      - .address_space:  global
        .offset:         0
        .size:           8
        .value_kind:     global_buffer
      - .address_space:  global
        .offset:         8
        .size:           8
        .value_kind:     global_buffer
      - .address_space:  global
        .offset:         16
        .size:           8
        .value_kind:     global_buffer
      - .address_space:  global
        .offset:         24
        .size:           8
        .value_kind:     global_buffer
      - .address_space:  global
        .offset:         32
        .size:           8
        .value_kind:     global_buffer
      - .address_space:  global
        .offset:         40
        .size:           8
        .value_kind:     global_buffer
      - .address_space:  global
        .offset:         48
        .size:           8
        .value_kind:     global_buffer
      - .address_space:  global
        .offset:         56
        .size:           8
        .value_kind:     global_buffer
      - .offset:         64
        .size:           4
        .value_kind:     by_value
      - .offset:         68
        .size:           4
        .value_kind:     by_value
      - .offset:         72
        .size:           4
        .value_kind:     by_value
      - .offset:         76
        .size:           4
        .value_kind:     by_value
      - .offset:         80
        .size:           4
        .value_kind:     by_value
      - .offset:         84
        .size:           4
        .value_kind:     by_value
      - .offset:         88
        .size:           4
        .value_kind:     by_value
      - .offset:         92
        .size:           12
        .value_kind:     by_value
      - .offset:         104
        .size:           4
        .value_kind:     by_value
      - .offset:         108
        .size:           4
        .value_kind:     by_value
      - .offset:         112
        .size:           4
        .value_kind:     by_value
      - .offset:         116
        .size:           4
        .value_kind:     by_value
      - .offset:         120
        .size:           4
        .value_kind:     by_value
      - .offset:         124
        .size:           4
        .value_kind:     by_value
      - .offset:         128
        .size:           4
        .value_kind:     by_value
      - .offset:         132
        .size:           4
        .value_kind:     by_value
      - .offset:         136
        .size:           4
        .value_kind:     by_value
      - .offset:         140
        .size:           4
        .value_kind:     by_value
      - .offset:         144
        .size:           4
        .value_kind:     by_value
      - .offset:         152
        .size:           8
        .value_kind:     by_value
      - .offset:         160
        .size:           4
        .value_kind:     by_value
      - .offset:         164
        .size:           4
        .value_kind:     by_value
      - .offset:         168
        .size:           8
        .value_kind:     by_value
      - .offset:         176
        .size:           4
        .value_kind:     by_value
      - .offset:         180
        .size:           4
        .value_kind:     by_value
      - .offset:         184
        .size:           4
        .value_kind:     by_value
      - .offset:         188
        .size:           4
        .value_kind:     by_value
      - .offset:         192
        .size:           4
        .value_kind:     by_value
      - .offset:         200
        .size:           8
        .value_kind:     by_value
      - .offset:         208
        .size:           4
        .value_kind:     hidden_block_count_x
      - .offset:         212
        .size:           4
        .value_kind:     hidden_block_count_y
      - .offset:         216
        .size:           4
        .value_kind:     hidden_block_count_z
      - .offset:         220
        .size:           2
        .value_kind:     hidden_group_size_x
      - .offset:         222
        .size:           2
        .value_kind:     hidden_group_size_y
      - .offset:         224
        .size:           2
        .value_kind:     hidden_group_size_z
      - .offset:         226
        .size:           2
        .value_kind:     hidden_remainder_x
      - .offset:         228
        .size:           2
        .value_kind:     hidden_remainder_y
      - .offset:         230
        .size:           2
        .value_kind:     hidden_remainder_z
      - .offset:         248
        .size:           8
        .value_kind:     hidden_global_offset_x
      - .offset:         256
        .size:           8
        .value_kind:     hidden_global_offset_y
      - .offset:         264
        .size:           8
        .value_kind:     hidden_global_offset_z
      - .offset:         272
        .size:           2
        .value_kind:     hidden_grid_dims
      - .offset:         288
        .size:           8
        .value_kind:     hidden_hostcall_buffer
    .group_segment_fixed_size: 0
    .kernarg_segment_align: 8
    .kernarg_segment_size: 464
    .language:       OpenCL C
    .language_version:
      - 2
      - 0
    .max_flat_workgroup_size: 256
    .name:           _ZL18flash_attn_ext_f16ILi64ELi64ELi32ELi1ELb1ELb0EEvPKcS1_S1_S1_S1_PKiPfP15HIP_vector_typeIfLj2EEffffjfiS5_IjLj3EEiiiiiiiiiiiliiliiiiil
    .private_segment_fixed_size: 16
    .sgpr_count:     40
    .sgpr_spill_count: 0
    .symbol:         _ZL18flash_attn_ext_f16ILi64ELi64ELi32ELi1ELb1ELb0EEvPKcS1_S1_S1_S1_PKiPfP15HIP_vector_typeIfLj2EEffffjfiS5_IjLj3EEiiiiiiiiiiiliiliiiiil.kd
    .uniform_work_group_size: 1
    .uses_dynamic_stack: false
    .vgpr_count:     50
    .vgpr_spill_count: 0
    .wavefront_size: 64
  - .agpr_count:     0
    .args:
      - .actual_access:  read_only
        .address_space:  global
        .offset:         0
        .size:           8
        .value_kind:     global_buffer
      - .actual_access:  write_only
        .address_space:  global
        .offset:         8
        .size:           8
        .value_kind:     global_buffer
      - .offset:         16
        .size:           4
        .value_kind:     by_value
      - .offset:         20
        .size:           4
        .value_kind:     by_value
      - .offset:         24
        .size:           4
        .value_kind:     by_value
      - .offset:         32
        .size:           4
        .value_kind:     hidden_block_count_x
      - .offset:         36
        .size:           4
        .value_kind:     hidden_block_count_y
      - .offset:         40
        .size:           4
        .value_kind:     hidden_block_count_z
      - .offset:         44
        .size:           2
        .value_kind:     hidden_group_size_x
      - .offset:         46
        .size:           2
        .value_kind:     hidden_group_size_y
      - .offset:         48
        .size:           2
        .value_kind:     hidden_group_size_z
      - .offset:         50
        .size:           2
        .value_kind:     hidden_remainder_x
      - .offset:         52
        .size:           2
        .value_kind:     hidden_remainder_y
      - .offset:         54
        .size:           2
        .value_kind:     hidden_remainder_z
      - .offset:         72
        .size:           8
        .value_kind:     hidden_global_offset_x
      - .offset:         80
        .size:           8
        .value_kind:     hidden_global_offset_y
      - .offset:         88
        .size:           8
        .value_kind:     hidden_global_offset_z
      - .offset:         96
        .size:           2
        .value_kind:     hidden_grid_dims
    .group_segment_fixed_size: 128
    .kernarg_segment_align: 8
    .kernarg_segment_size: 288
    .language:       OpenCL C
    .language_version:
      - 2
      - 0
    .max_flat_workgroup_size: 128
    .name:           _ZL25flash_attn_mask_to_KV_maxILi32EEvPK7__half2Piiii
    .private_segment_fixed_size: 0
    .sgpr_count:     106
    .sgpr_spill_count: 42
    .symbol:         _ZL25flash_attn_mask_to_KV_maxILi32EEvPK7__half2Piiii.kd
    .uniform_work_group_size: 1
    .uses_dynamic_stack: false
    .vgpr_count:     13
    .vgpr_spill_count: 0
    .wavefront_size: 64
  - .agpr_count:     0
    .args:
      - .address_space:  global
        .offset:         0
        .size:           8
        .value_kind:     global_buffer
      - .address_space:  global
        .offset:         8
        .size:           8
        .value_kind:     global_buffer
      - .offset:         16
        .size:           4
        .value_kind:     by_value
      - .offset:         20
        .size:           4
        .value_kind:     by_value
      - .offset:         24
        .size:           4
        .value_kind:     by_value
      - .offset:         28
        .size:           4
        .value_kind:     by_value
      - .offset:         32
        .size:           4
        .value_kind:     by_value
      - .offset:         36
        .size:           4
        .value_kind:     by_value
      - .offset:         40
        .size:           12
        .value_kind:     by_value
      - .offset:         52
        .size:           12
        .value_kind:     by_value
      - .offset:         64
        .size:           12
        .value_kind:     by_value
    .group_segment_fixed_size: 0
    .kernarg_segment_align: 8
    .kernarg_segment_size: 76
    .language:       OpenCL C
    .language_version:
      - 2
      - 0
    .max_flat_workgroup_size: 64
    .name:           _ZL33flash_attn_stream_k_fixup_uniformILi64ELi32ELi1EEvPfPK15HIP_vector_typeIfLj2EEiiiiiiS1_IjLj3EES5_S5_
    .private_segment_fixed_size: 0
    .sgpr_count:     30
    .sgpr_spill_count: 0
    .symbol:         _ZL33flash_attn_stream_k_fixup_uniformILi64ELi32ELi1EEvPfPK15HIP_vector_typeIfLj2EEiiiiiiS1_IjLj3EES5_S5_.kd
    .uniform_work_group_size: 1
    .uses_dynamic_stack: false
    .vgpr_count:     17
    .vgpr_spill_count: 0
    .wavefront_size: 64
  - .agpr_count:     0
    .args:
      - .address_space:  global
        .offset:         0
        .size:           8
        .value_kind:     global_buffer
      - .address_space:  global
        .offset:         8
        .size:           8
        .value_kind:     global_buffer
      - .offset:         16
        .size:           4
        .value_kind:     by_value
      - .offset:         20
        .size:           4
        .value_kind:     by_value
      - .offset:         24
        .size:           4
        .value_kind:     by_value
      - .offset:         28
        .size:           4
        .value_kind:     by_value
      - .offset:         32
        .size:           12
        .value_kind:     by_value
      - .offset:         44
        .size:           12
        .value_kind:     by_value
      - .offset:         56
        .size:           12
        .value_kind:     by_value
      - .offset:         68
        .size:           12
        .value_kind:     by_value
      - .offset:         80
        .size:           4
        .value_kind:     hidden_block_count_x
      - .offset:         84
        .size:           4
        .value_kind:     hidden_block_count_y
      - .offset:         88
        .size:           4
        .value_kind:     hidden_block_count_z
      - .offset:         92
        .size:           2
        .value_kind:     hidden_group_size_x
      - .offset:         94
        .size:           2
        .value_kind:     hidden_group_size_y
      - .offset:         96
        .size:           2
        .value_kind:     hidden_group_size_z
      - .offset:         98
        .size:           2
        .value_kind:     hidden_remainder_x
      - .offset:         100
        .size:           2
        .value_kind:     hidden_remainder_y
      - .offset:         102
        .size:           2
        .value_kind:     hidden_remainder_z
      - .offset:         120
        .size:           8
        .value_kind:     hidden_global_offset_x
      - .offset:         128
        .size:           8
        .value_kind:     hidden_global_offset_y
      - .offset:         136
        .size:           8
        .value_kind:     hidden_global_offset_z
      - .offset:         144
        .size:           2
        .value_kind:     hidden_grid_dims
    .group_segment_fixed_size: 0
    .kernarg_segment_align: 8
    .kernarg_segment_size: 336
    .language:       OpenCL C
    .language_version:
      - 2
      - 0
    .max_flat_workgroup_size: 64
    .name:           _ZL33flash_attn_stream_k_fixup_generalILi64ELi32ELi1EEvPfPK15HIP_vector_typeIfLj2EEiiiiS1_IjLj3EES5_S5_S5_
    .private_segment_fixed_size: 0
    .sgpr_count:     42
    .sgpr_spill_count: 0
    .symbol:         _ZL33flash_attn_stream_k_fixup_generalILi64ELi32ELi1EEvPfPK15HIP_vector_typeIfLj2EEiiiiS1_IjLj3EES5_S5_S5_.kd
    .uniform_work_group_size: 1
    .uses_dynamic_stack: false
    .vgpr_count:     18
    .vgpr_spill_count: 0
    .wavefront_size: 64
  - .agpr_count:     0
    .args:
      - .address_space:  global
        .offset:         0
        .size:           8
        .value_kind:     global_buffer
      - .address_space:  global
        .offset:         8
        .size:           8
        .value_kind:     global_buffer
      - .address_space:  global
        .offset:         16
        .size:           8
        .value_kind:     global_buffer
      - .offset:         24
        .size:           4
        .value_kind:     by_value
      - .offset:         32
        .size:           4
        .value_kind:     hidden_block_count_x
      - .offset:         36
        .size:           4
        .value_kind:     hidden_block_count_y
      - .offset:         40
        .size:           4
        .value_kind:     hidden_block_count_z
      - .offset:         44
        .size:           2
        .value_kind:     hidden_group_size_x
      - .offset:         46
        .size:           2
        .value_kind:     hidden_group_size_y
      - .offset:         48
        .size:           2
        .value_kind:     hidden_group_size_z
      - .offset:         50
        .size:           2
        .value_kind:     hidden_remainder_x
      - .offset:         52
        .size:           2
        .value_kind:     hidden_remainder_y
      - .offset:         54
        .size:           2
        .value_kind:     hidden_remainder_z
      - .offset:         72
        .size:           8
        .value_kind:     hidden_global_offset_x
      - .offset:         80
        .size:           8
        .value_kind:     hidden_global_offset_y
      - .offset:         88
        .size:           8
        .value_kind:     hidden_global_offset_z
      - .offset:         96
        .size:           2
        .value_kind:     hidden_grid_dims
      - .offset:         152
        .size:           4
        .value_kind:     hidden_dynamic_lds_size
    .group_segment_fixed_size: 0
    .kernarg_segment_align: 8
    .kernarg_segment_size: 288
    .language:       OpenCL C
    .language_version:
      - 2
      - 0
    .max_flat_workgroup_size: 64
    .name:           _ZL26flash_attn_combine_resultsILi64EEvPKfPK15HIP_vector_typeIfLj2EEPfi
    .private_segment_fixed_size: 0
    .sgpr_count:     32
    .sgpr_spill_count: 0
    .symbol:         _ZL26flash_attn_combine_resultsILi64EEvPKfPK15HIP_vector_typeIfLj2EEPfi.kd
    .uniform_work_group_size: 1
    .uses_dynamic_stack: false
    .vgpr_count:     59
    .vgpr_spill_count: 0
    .wavefront_size: 64
  - .agpr_count:     0
    .args:
      - .address_space:  global
        .offset:         0
        .size:           8
        .value_kind:     global_buffer
      - .address_space:  global
        .offset:         8
        .size:           8
        .value_kind:     global_buffer
      - .address_space:  global
        .offset:         16
        .size:           8
        .value_kind:     global_buffer
      - .address_space:  global
        .offset:         24
        .size:           8
        .value_kind:     global_buffer
      - .address_space:  global
        .offset:         32
        .size:           8
        .value_kind:     global_buffer
      - .address_space:  global
        .offset:         40
        .size:           8
        .value_kind:     global_buffer
      - .address_space:  global
        .offset:         48
        .size:           8
        .value_kind:     global_buffer
      - .address_space:  global
        .offset:         56
        .size:           8
        .value_kind:     global_buffer
      - .offset:         64
        .size:           4
        .value_kind:     by_value
      - .offset:         68
        .size:           4
        .value_kind:     by_value
      - .offset:         72
        .size:           4
        .value_kind:     by_value
      - .offset:         76
        .size:           4
        .value_kind:     by_value
      - .offset:         80
        .size:           4
        .value_kind:     by_value
      - .offset:         84
        .size:           4
        .value_kind:     by_value
      - .offset:         88
        .size:           4
        .value_kind:     by_value
      - .offset:         92
        .size:           12
        .value_kind:     by_value
      - .offset:         104
        .size:           4
        .value_kind:     by_value
      - .offset:         108
        .size:           4
        .value_kind:     by_value
      - .offset:         112
        .size:           4
        .value_kind:     by_value
      - .offset:         116
        .size:           4
        .value_kind:     by_value
      - .offset:         120
        .size:           4
        .value_kind:     by_value
      - .offset:         124
        .size:           4
        .value_kind:     by_value
      - .offset:         128
        .size:           4
        .value_kind:     by_value
      - .offset:         132
        .size:           4
        .value_kind:     by_value
      - .offset:         136
        .size:           4
        .value_kind:     by_value
      - .offset:         140
        .size:           4
        .value_kind:     by_value
      - .offset:         144
        .size:           4
        .value_kind:     by_value
      - .offset:         152
        .size:           8
        .value_kind:     by_value
      - .offset:         160
        .size:           4
        .value_kind:     by_value
      - .offset:         164
        .size:           4
        .value_kind:     by_value
      - .offset:         168
        .size:           8
        .value_kind:     by_value
      - .offset:         176
        .size:           4
        .value_kind:     by_value
      - .offset:         180
        .size:           4
        .value_kind:     by_value
      - .offset:         184
        .size:           4
        .value_kind:     by_value
      - .offset:         188
        .size:           4
        .value_kind:     by_value
      - .offset:         192
        .size:           4
        .value_kind:     by_value
      - .offset:         200
        .size:           8
        .value_kind:     by_value
      - .offset:         208
        .size:           4
        .value_kind:     hidden_block_count_x
      - .offset:         212
        .size:           4
        .value_kind:     hidden_block_count_y
      - .offset:         216
        .size:           4
        .value_kind:     hidden_block_count_z
      - .offset:         220
        .size:           2
        .value_kind:     hidden_group_size_x
      - .offset:         222
        .size:           2
        .value_kind:     hidden_group_size_y
      - .offset:         224
        .size:           2
        .value_kind:     hidden_group_size_z
      - .offset:         226
        .size:           2
        .value_kind:     hidden_remainder_x
      - .offset:         228
        .size:           2
        .value_kind:     hidden_remainder_y
      - .offset:         230
        .size:           2
        .value_kind:     hidden_remainder_z
      - .offset:         248
        .size:           8
        .value_kind:     hidden_global_offset_x
      - .offset:         256
        .size:           8
        .value_kind:     hidden_global_offset_y
      - .offset:         264
        .size:           8
        .value_kind:     hidden_global_offset_z
      - .offset:         272
        .size:           2
        .value_kind:     hidden_grid_dims
      - .offset:         328
        .size:           4
        .value_kind:     hidden_dynamic_lds_size
    .group_segment_fixed_size: 0
    .kernarg_segment_align: 8
    .kernarg_segment_size: 464
    .language:       OpenCL C
    .language_version:
      - 2
      - 0
    .max_flat_workgroup_size: 256
    .name:           _ZL18flash_attn_ext_f16ILi80ELi80ELi32ELi1ELb0ELb0EEvPKcS1_S1_S1_S1_PKiPfP15HIP_vector_typeIfLj2EEffffjfiS5_IjLj3EEiiiiiiiiiiiliiliiiiil
    .private_segment_fixed_size: 32
    .sgpr_count:     106
    .sgpr_spill_count: 80
    .symbol:         _ZL18flash_attn_ext_f16ILi80ELi80ELi32ELi1ELb0ELb0EEvPKcS1_S1_S1_S1_PKiPfP15HIP_vector_typeIfLj2EEffffjfiS5_IjLj3EEiiiiiiiiiiiliiliiiiil.kd
    .uniform_work_group_size: 1
    .uses_dynamic_stack: false
    .vgpr_count:     224
    .vgpr_spill_count: 0
    .wavefront_size: 64
  - .agpr_count:     0
    .args:
      - .address_space:  global
        .offset:         0
        .size:           8
        .value_kind:     global_buffer
      - .address_space:  global
        .offset:         8
        .size:           8
        .value_kind:     global_buffer
      - .address_space:  global
        .offset:         16
        .size:           8
        .value_kind:     global_buffer
      - .address_space:  global
        .offset:         24
        .size:           8
        .value_kind:     global_buffer
      - .address_space:  global
        .offset:         32
        .size:           8
        .value_kind:     global_buffer
      - .address_space:  global
        .offset:         40
        .size:           8
        .value_kind:     global_buffer
      - .address_space:  global
        .offset:         48
        .size:           8
        .value_kind:     global_buffer
      - .address_space:  global
        .offset:         56
        .size:           8
        .value_kind:     global_buffer
      - .offset:         64
        .size:           4
        .value_kind:     by_value
      - .offset:         68
        .size:           4
        .value_kind:     by_value
      - .offset:         72
        .size:           4
        .value_kind:     by_value
      - .offset:         76
        .size:           4
        .value_kind:     by_value
      - .offset:         80
        .size:           4
        .value_kind:     by_value
      - .offset:         84
        .size:           4
        .value_kind:     by_value
      - .offset:         88
        .size:           4
        .value_kind:     by_value
      - .offset:         92
        .size:           12
        .value_kind:     by_value
      - .offset:         104
        .size:           4
        .value_kind:     by_value
      - .offset:         108
        .size:           4
        .value_kind:     by_value
      - .offset:         112
        .size:           4
        .value_kind:     by_value
      - .offset:         116
        .size:           4
        .value_kind:     by_value
      - .offset:         120
        .size:           4
        .value_kind:     by_value
      - .offset:         124
        .size:           4
        .value_kind:     by_value
      - .offset:         128
        .size:           4
        .value_kind:     by_value
      - .offset:         132
        .size:           4
        .value_kind:     by_value
      - .offset:         136
        .size:           4
        .value_kind:     by_value
      - .offset:         140
        .size:           4
        .value_kind:     by_value
      - .offset:         144
        .size:           4
        .value_kind:     by_value
      - .offset:         152
        .size:           8
        .value_kind:     by_value
      - .offset:         160
        .size:           4
        .value_kind:     by_value
      - .offset:         164
        .size:           4
        .value_kind:     by_value
      - .offset:         168
        .size:           8
        .value_kind:     by_value
      - .offset:         176
        .size:           4
        .value_kind:     by_value
      - .offset:         180
        .size:           4
        .value_kind:     by_value
      - .offset:         184
        .size:           4
        .value_kind:     by_value
      - .offset:         188
        .size:           4
        .value_kind:     by_value
      - .offset:         192
        .size:           4
        .value_kind:     by_value
      - .offset:         200
        .size:           8
        .value_kind:     by_value
      - .offset:         208
        .size:           4
        .value_kind:     hidden_block_count_x
      - .offset:         212
        .size:           4
        .value_kind:     hidden_block_count_y
      - .offset:         216
        .size:           4
        .value_kind:     hidden_block_count_z
      - .offset:         220
        .size:           2
        .value_kind:     hidden_group_size_x
      - .offset:         222
        .size:           2
        .value_kind:     hidden_group_size_y
      - .offset:         224
        .size:           2
        .value_kind:     hidden_group_size_z
      - .offset:         226
        .size:           2
        .value_kind:     hidden_remainder_x
      - .offset:         228
        .size:           2
        .value_kind:     hidden_remainder_y
      - .offset:         230
        .size:           2
        .value_kind:     hidden_remainder_z
      - .offset:         248
        .size:           8
        .value_kind:     hidden_global_offset_x
      - .offset:         256
        .size:           8
        .value_kind:     hidden_global_offset_y
      - .offset:         264
        .size:           8
        .value_kind:     hidden_global_offset_z
      - .offset:         272
        .size:           2
        .value_kind:     hidden_grid_dims
      - .offset:         288
        .size:           8
        .value_kind:     hidden_hostcall_buffer
    .group_segment_fixed_size: 0
    .kernarg_segment_align: 8
    .kernarg_segment_size: 464
    .language:       OpenCL C
    .language_version:
      - 2
      - 0
    .max_flat_workgroup_size: 256
    .name:           _ZL18flash_attn_ext_f16ILi80ELi80ELi32ELi1ELb1ELb0EEvPKcS1_S1_S1_S1_PKiPfP15HIP_vector_typeIfLj2EEffffjfiS5_IjLj3EEiiiiiiiiiiiliiliiiiil
    .private_segment_fixed_size: 16
    .sgpr_count:     40
    .sgpr_spill_count: 0
    .symbol:         _ZL18flash_attn_ext_f16ILi80ELi80ELi32ELi1ELb1ELb0EEvPKcS1_S1_S1_S1_PKiPfP15HIP_vector_typeIfLj2EEffffjfiS5_IjLj3EEiiiiiiiiiiiliiliiiiil.kd
    .uniform_work_group_size: 1
    .uses_dynamic_stack: false
    .vgpr_count:     50
    .vgpr_spill_count: 0
    .wavefront_size: 64
  - .agpr_count:     0
    .args:
      - .address_space:  global
        .offset:         0
        .size:           8
        .value_kind:     global_buffer
      - .address_space:  global
        .offset:         8
        .size:           8
        .value_kind:     global_buffer
      - .offset:         16
        .size:           4
        .value_kind:     by_value
      - .offset:         20
        .size:           4
        .value_kind:     by_value
      - .offset:         24
        .size:           4
        .value_kind:     by_value
      - .offset:         28
        .size:           4
        .value_kind:     by_value
      - .offset:         32
        .size:           4
        .value_kind:     by_value
      - .offset:         36
        .size:           4
        .value_kind:     by_value
      - .offset:         40
        .size:           12
        .value_kind:     by_value
      - .offset:         52
        .size:           12
        .value_kind:     by_value
      - .offset:         64
        .size:           12
        .value_kind:     by_value
    .group_segment_fixed_size: 0
    .kernarg_segment_align: 8
    .kernarg_segment_size: 76
    .language:       OpenCL C
    .language_version:
      - 2
      - 0
    .max_flat_workgroup_size: 80
    .name:           _ZL33flash_attn_stream_k_fixup_uniformILi80ELi32ELi1EEvPfPK15HIP_vector_typeIfLj2EEiiiiiiS1_IjLj3EES5_S5_
    .private_segment_fixed_size: 0
    .sgpr_count:     26
    .sgpr_spill_count: 0
    .symbol:         _ZL33flash_attn_stream_k_fixup_uniformILi80ELi32ELi1EEvPfPK15HIP_vector_typeIfLj2EEiiiiiiS1_IjLj3EES5_S5_.kd
    .uniform_work_group_size: 1
    .uses_dynamic_stack: false
    .vgpr_count:     17
    .vgpr_spill_count: 0
    .wavefront_size: 64
  - .agpr_count:     0
    .args:
      - .address_space:  global
        .offset:         0
        .size:           8
        .value_kind:     global_buffer
      - .address_space:  global
        .offset:         8
        .size:           8
        .value_kind:     global_buffer
      - .offset:         16
        .size:           4
        .value_kind:     by_value
      - .offset:         20
        .size:           4
        .value_kind:     by_value
      - .offset:         24
        .size:           4
        .value_kind:     by_value
      - .offset:         28
        .size:           4
        .value_kind:     by_value
      - .offset:         32
        .size:           12
        .value_kind:     by_value
      - .offset:         44
        .size:           12
        .value_kind:     by_value
      - .offset:         56
        .size:           12
        .value_kind:     by_value
      - .offset:         68
        .size:           12
        .value_kind:     by_value
      - .offset:         80
        .size:           4
        .value_kind:     hidden_block_count_x
      - .offset:         84
        .size:           4
        .value_kind:     hidden_block_count_y
      - .offset:         88
        .size:           4
        .value_kind:     hidden_block_count_z
      - .offset:         92
        .size:           2
        .value_kind:     hidden_group_size_x
      - .offset:         94
        .size:           2
        .value_kind:     hidden_group_size_y
      - .offset:         96
        .size:           2
        .value_kind:     hidden_group_size_z
      - .offset:         98
        .size:           2
        .value_kind:     hidden_remainder_x
      - .offset:         100
        .size:           2
        .value_kind:     hidden_remainder_y
      - .offset:         102
        .size:           2
        .value_kind:     hidden_remainder_z
      - .offset:         120
        .size:           8
        .value_kind:     hidden_global_offset_x
      - .offset:         128
        .size:           8
        .value_kind:     hidden_global_offset_y
      - .offset:         136
        .size:           8
        .value_kind:     hidden_global_offset_z
      - .offset:         144
        .size:           2
        .value_kind:     hidden_grid_dims
    .group_segment_fixed_size: 0
    .kernarg_segment_align: 8
    .kernarg_segment_size: 336
    .language:       OpenCL C
    .language_version:
      - 2
      - 0
    .max_flat_workgroup_size: 80
    .name:           _ZL33flash_attn_stream_k_fixup_generalILi80ELi32ELi1EEvPfPK15HIP_vector_typeIfLj2EEiiiiS1_IjLj3EES5_S5_S5_
    .private_segment_fixed_size: 0
    .sgpr_count:     42
    .sgpr_spill_count: 0
    .symbol:         _ZL33flash_attn_stream_k_fixup_generalILi80ELi32ELi1EEvPfPK15HIP_vector_typeIfLj2EEiiiiS1_IjLj3EES5_S5_S5_.kd
    .uniform_work_group_size: 1
    .uses_dynamic_stack: false
    .vgpr_count:     18
    .vgpr_spill_count: 0
    .wavefront_size: 64
  - .agpr_count:     0
    .args:
      - .address_space:  global
        .offset:         0
        .size:           8
        .value_kind:     global_buffer
      - .address_space:  global
        .offset:         8
        .size:           8
        .value_kind:     global_buffer
      - .address_space:  global
        .offset:         16
        .size:           8
        .value_kind:     global_buffer
      - .offset:         24
        .size:           4
        .value_kind:     by_value
      - .offset:         32
        .size:           4
        .value_kind:     hidden_block_count_x
      - .offset:         36
        .size:           4
        .value_kind:     hidden_block_count_y
      - .offset:         40
        .size:           4
        .value_kind:     hidden_block_count_z
      - .offset:         44
        .size:           2
        .value_kind:     hidden_group_size_x
      - .offset:         46
        .size:           2
        .value_kind:     hidden_group_size_y
      - .offset:         48
        .size:           2
        .value_kind:     hidden_group_size_z
      - .offset:         50
        .size:           2
        .value_kind:     hidden_remainder_x
      - .offset:         52
        .size:           2
        .value_kind:     hidden_remainder_y
      - .offset:         54
        .size:           2
        .value_kind:     hidden_remainder_z
      - .offset:         72
        .size:           8
        .value_kind:     hidden_global_offset_x
      - .offset:         80
        .size:           8
        .value_kind:     hidden_global_offset_y
      - .offset:         88
        .size:           8
        .value_kind:     hidden_global_offset_z
      - .offset:         96
        .size:           2
        .value_kind:     hidden_grid_dims
      - .offset:         152
        .size:           4
        .value_kind:     hidden_dynamic_lds_size
    .group_segment_fixed_size: 0
    .kernarg_segment_align: 8
    .kernarg_segment_size: 288
    .language:       OpenCL C
    .language_version:
      - 2
      - 0
    .max_flat_workgroup_size: 80
    .name:           _ZL26flash_attn_combine_resultsILi80EEvPKfPK15HIP_vector_typeIfLj2EEPfi
    .private_segment_fixed_size: 0
    .sgpr_count:     36
    .sgpr_spill_count: 0
    .symbol:         _ZL26flash_attn_combine_resultsILi80EEvPKfPK15HIP_vector_typeIfLj2EEPfi.kd
    .uniform_work_group_size: 1
    .uses_dynamic_stack: false
    .vgpr_count:     57
    .vgpr_spill_count: 0
    .wavefront_size: 64
  - .agpr_count:     0
    .args:
      - .address_space:  global
        .offset:         0
        .size:           8
        .value_kind:     global_buffer
      - .address_space:  global
        .offset:         8
        .size:           8
        .value_kind:     global_buffer
      - .address_space:  global
        .offset:         16
        .size:           8
        .value_kind:     global_buffer
      - .address_space:  global
        .offset:         24
        .size:           8
        .value_kind:     global_buffer
      - .address_space:  global
        .offset:         32
        .size:           8
        .value_kind:     global_buffer
      - .address_space:  global
        .offset:         40
        .size:           8
        .value_kind:     global_buffer
      - .address_space:  global
        .offset:         48
        .size:           8
        .value_kind:     global_buffer
      - .address_space:  global
        .offset:         56
        .size:           8
        .value_kind:     global_buffer
      - .offset:         64
        .size:           4
        .value_kind:     by_value
      - .offset:         68
        .size:           4
        .value_kind:     by_value
      - .offset:         72
        .size:           4
        .value_kind:     by_value
      - .offset:         76
        .size:           4
        .value_kind:     by_value
      - .offset:         80
        .size:           4
        .value_kind:     by_value
      - .offset:         84
        .size:           4
        .value_kind:     by_value
      - .offset:         88
        .size:           4
        .value_kind:     by_value
      - .offset:         92
        .size:           12
        .value_kind:     by_value
      - .offset:         104
        .size:           4
        .value_kind:     by_value
      - .offset:         108
        .size:           4
        .value_kind:     by_value
      - .offset:         112
        .size:           4
        .value_kind:     by_value
      - .offset:         116
        .size:           4
        .value_kind:     by_value
      - .offset:         120
        .size:           4
        .value_kind:     by_value
      - .offset:         124
        .size:           4
        .value_kind:     by_value
      - .offset:         128
        .size:           4
        .value_kind:     by_value
      - .offset:         132
        .size:           4
        .value_kind:     by_value
      - .offset:         136
        .size:           4
        .value_kind:     by_value
      - .offset:         140
        .size:           4
        .value_kind:     by_value
      - .offset:         144
        .size:           4
        .value_kind:     by_value
      - .offset:         152
        .size:           8
        .value_kind:     by_value
      - .offset:         160
        .size:           4
        .value_kind:     by_value
      - .offset:         164
        .size:           4
        .value_kind:     by_value
      - .offset:         168
        .size:           8
        .value_kind:     by_value
      - .offset:         176
        .size:           4
        .value_kind:     by_value
      - .offset:         180
        .size:           4
        .value_kind:     by_value
      - .offset:         184
        .size:           4
        .value_kind:     by_value
      - .offset:         188
        .size:           4
        .value_kind:     by_value
      - .offset:         192
        .size:           4
        .value_kind:     by_value
      - .offset:         200
        .size:           8
        .value_kind:     by_value
      - .offset:         208
        .size:           4
        .value_kind:     hidden_block_count_x
      - .offset:         212
        .size:           4
        .value_kind:     hidden_block_count_y
      - .offset:         216
        .size:           4
        .value_kind:     hidden_block_count_z
      - .offset:         220
        .size:           2
        .value_kind:     hidden_group_size_x
      - .offset:         222
        .size:           2
        .value_kind:     hidden_group_size_y
      - .offset:         224
        .size:           2
        .value_kind:     hidden_group_size_z
      - .offset:         226
        .size:           2
        .value_kind:     hidden_remainder_x
      - .offset:         228
        .size:           2
        .value_kind:     hidden_remainder_y
      - .offset:         230
        .size:           2
        .value_kind:     hidden_remainder_z
      - .offset:         248
        .size:           8
        .value_kind:     hidden_global_offset_x
      - .offset:         256
        .size:           8
        .value_kind:     hidden_global_offset_y
      - .offset:         264
        .size:           8
        .value_kind:     hidden_global_offset_z
      - .offset:         272
        .size:           2
        .value_kind:     hidden_grid_dims
      - .offset:         328
        .size:           4
        .value_kind:     hidden_dynamic_lds_size
    .group_segment_fixed_size: 0
    .kernarg_segment_align: 8
    .kernarg_segment_size: 464
    .language:       OpenCL C
    .language_version:
      - 2
      - 0
    .max_flat_workgroup_size: 256
    .name:           _ZL18flash_attn_ext_f16ILi96ELi96ELi32ELi1ELb0ELb0EEvPKcS1_S1_S1_S1_PKiPfP15HIP_vector_typeIfLj2EEffffjfiS5_IjLj3EEiiiiiiiiiiiliiliiiiil
    .private_segment_fixed_size: 32
    .sgpr_count:     106
    .sgpr_spill_count: 75
    .symbol:         _ZL18flash_attn_ext_f16ILi96ELi96ELi32ELi1ELb0ELb0EEvPKcS1_S1_S1_S1_PKiPfP15HIP_vector_typeIfLj2EEffffjfiS5_IjLj3EEiiiiiiiiiiiliiliiiiil.kd
    .uniform_work_group_size: 1
    .uses_dynamic_stack: false
    .vgpr_count:     216
    .vgpr_spill_count: 0
    .wavefront_size: 64
  - .agpr_count:     0
    .args:
      - .address_space:  global
        .offset:         0
        .size:           8
        .value_kind:     global_buffer
      - .address_space:  global
        .offset:         8
        .size:           8
        .value_kind:     global_buffer
      - .address_space:  global
        .offset:         16
        .size:           8
        .value_kind:     global_buffer
      - .address_space:  global
        .offset:         24
        .size:           8
        .value_kind:     global_buffer
      - .address_space:  global
        .offset:         32
        .size:           8
        .value_kind:     global_buffer
      - .address_space:  global
        .offset:         40
        .size:           8
        .value_kind:     global_buffer
      - .address_space:  global
        .offset:         48
        .size:           8
        .value_kind:     global_buffer
      - .address_space:  global
        .offset:         56
        .size:           8
        .value_kind:     global_buffer
      - .offset:         64
        .size:           4
        .value_kind:     by_value
      - .offset:         68
        .size:           4
        .value_kind:     by_value
      - .offset:         72
        .size:           4
        .value_kind:     by_value
      - .offset:         76
        .size:           4
        .value_kind:     by_value
      - .offset:         80
        .size:           4
        .value_kind:     by_value
      - .offset:         84
        .size:           4
        .value_kind:     by_value
      - .offset:         88
        .size:           4
        .value_kind:     by_value
      - .offset:         92
        .size:           12
        .value_kind:     by_value
      - .offset:         104
        .size:           4
        .value_kind:     by_value
      - .offset:         108
        .size:           4
        .value_kind:     by_value
      - .offset:         112
        .size:           4
        .value_kind:     by_value
      - .offset:         116
        .size:           4
        .value_kind:     by_value
      - .offset:         120
        .size:           4
        .value_kind:     by_value
      - .offset:         124
        .size:           4
        .value_kind:     by_value
      - .offset:         128
        .size:           4
        .value_kind:     by_value
      - .offset:         132
        .size:           4
        .value_kind:     by_value
      - .offset:         136
        .size:           4
        .value_kind:     by_value
      - .offset:         140
        .size:           4
        .value_kind:     by_value
      - .offset:         144
        .size:           4
        .value_kind:     by_value
      - .offset:         152
        .size:           8
        .value_kind:     by_value
      - .offset:         160
        .size:           4
        .value_kind:     by_value
      - .offset:         164
        .size:           4
        .value_kind:     by_value
      - .offset:         168
        .size:           8
        .value_kind:     by_value
      - .offset:         176
        .size:           4
        .value_kind:     by_value
      - .offset:         180
        .size:           4
        .value_kind:     by_value
      - .offset:         184
        .size:           4
        .value_kind:     by_value
      - .offset:         188
        .size:           4
        .value_kind:     by_value
      - .offset:         192
        .size:           4
        .value_kind:     by_value
      - .offset:         200
        .size:           8
        .value_kind:     by_value
      - .offset:         208
        .size:           4
        .value_kind:     hidden_block_count_x
      - .offset:         212
        .size:           4
        .value_kind:     hidden_block_count_y
      - .offset:         216
        .size:           4
        .value_kind:     hidden_block_count_z
      - .offset:         220
        .size:           2
        .value_kind:     hidden_group_size_x
      - .offset:         222
        .size:           2
        .value_kind:     hidden_group_size_y
      - .offset:         224
        .size:           2
        .value_kind:     hidden_group_size_z
      - .offset:         226
        .size:           2
        .value_kind:     hidden_remainder_x
      - .offset:         228
        .size:           2
        .value_kind:     hidden_remainder_y
      - .offset:         230
        .size:           2
        .value_kind:     hidden_remainder_z
      - .offset:         248
        .size:           8
        .value_kind:     hidden_global_offset_x
      - .offset:         256
        .size:           8
        .value_kind:     hidden_global_offset_y
      - .offset:         264
        .size:           8
        .value_kind:     hidden_global_offset_z
      - .offset:         272
        .size:           2
        .value_kind:     hidden_grid_dims
      - .offset:         288
        .size:           8
        .value_kind:     hidden_hostcall_buffer
    .group_segment_fixed_size: 0
    .kernarg_segment_align: 8
    .kernarg_segment_size: 464
    .language:       OpenCL C
    .language_version:
      - 2
      - 0
    .max_flat_workgroup_size: 256
    .name:           _ZL18flash_attn_ext_f16ILi96ELi96ELi32ELi1ELb1ELb0EEvPKcS1_S1_S1_S1_PKiPfP15HIP_vector_typeIfLj2EEffffjfiS5_IjLj3EEiiiiiiiiiiiliiliiiiil
    .private_segment_fixed_size: 16
    .sgpr_count:     40
    .sgpr_spill_count: 0
    .symbol:         _ZL18flash_attn_ext_f16ILi96ELi96ELi32ELi1ELb1ELb0EEvPKcS1_S1_S1_S1_PKiPfP15HIP_vector_typeIfLj2EEffffjfiS5_IjLj3EEiiiiiiiiiiiliiliiiiil.kd
    .uniform_work_group_size: 1
    .uses_dynamic_stack: false
    .vgpr_count:     50
    .vgpr_spill_count: 0
    .wavefront_size: 64
  - .agpr_count:     0
    .args:
      - .address_space:  global
        .offset:         0
        .size:           8
        .value_kind:     global_buffer
      - .address_space:  global
        .offset:         8
        .size:           8
        .value_kind:     global_buffer
      - .offset:         16
        .size:           4
        .value_kind:     by_value
      - .offset:         20
        .size:           4
        .value_kind:     by_value
      - .offset:         24
        .size:           4
        .value_kind:     by_value
      - .offset:         28
        .size:           4
        .value_kind:     by_value
      - .offset:         32
        .size:           4
        .value_kind:     by_value
      - .offset:         36
        .size:           4
        .value_kind:     by_value
      - .offset:         40
        .size:           12
        .value_kind:     by_value
      - .offset:         52
        .size:           12
        .value_kind:     by_value
      - .offset:         64
        .size:           12
        .value_kind:     by_value
    .group_segment_fixed_size: 0
    .kernarg_segment_align: 8
    .kernarg_segment_size: 76
    .language:       OpenCL C
    .language_version:
      - 2
      - 0
    .max_flat_workgroup_size: 96
    .name:           _ZL33flash_attn_stream_k_fixup_uniformILi96ELi32ELi1EEvPfPK15HIP_vector_typeIfLj2EEiiiiiiS1_IjLj3EES5_S5_
    .private_segment_fixed_size: 0
    .sgpr_count:     26
    .sgpr_spill_count: 0
    .symbol:         _ZL33flash_attn_stream_k_fixup_uniformILi96ELi32ELi1EEvPfPK15HIP_vector_typeIfLj2EEiiiiiiS1_IjLj3EES5_S5_.kd
    .uniform_work_group_size: 1
    .uses_dynamic_stack: false
    .vgpr_count:     17
    .vgpr_spill_count: 0
    .wavefront_size: 64
  - .agpr_count:     0
    .args:
      - .address_space:  global
        .offset:         0
        .size:           8
        .value_kind:     global_buffer
      - .address_space:  global
        .offset:         8
        .size:           8
        .value_kind:     global_buffer
      - .offset:         16
        .size:           4
        .value_kind:     by_value
      - .offset:         20
        .size:           4
        .value_kind:     by_value
      - .offset:         24
        .size:           4
        .value_kind:     by_value
      - .offset:         28
        .size:           4
        .value_kind:     by_value
      - .offset:         32
        .size:           12
        .value_kind:     by_value
      - .offset:         44
        .size:           12
        .value_kind:     by_value
      - .offset:         56
        .size:           12
        .value_kind:     by_value
      - .offset:         68
        .size:           12
        .value_kind:     by_value
      - .offset:         80
        .size:           4
        .value_kind:     hidden_block_count_x
      - .offset:         84
        .size:           4
        .value_kind:     hidden_block_count_y
      - .offset:         88
        .size:           4
        .value_kind:     hidden_block_count_z
      - .offset:         92
        .size:           2
        .value_kind:     hidden_group_size_x
      - .offset:         94
        .size:           2
        .value_kind:     hidden_group_size_y
      - .offset:         96
        .size:           2
        .value_kind:     hidden_group_size_z
      - .offset:         98
        .size:           2
        .value_kind:     hidden_remainder_x
      - .offset:         100
        .size:           2
        .value_kind:     hidden_remainder_y
      - .offset:         102
        .size:           2
        .value_kind:     hidden_remainder_z
      - .offset:         120
        .size:           8
        .value_kind:     hidden_global_offset_x
      - .offset:         128
        .size:           8
        .value_kind:     hidden_global_offset_y
      - .offset:         136
        .size:           8
        .value_kind:     hidden_global_offset_z
      - .offset:         144
        .size:           2
        .value_kind:     hidden_grid_dims
    .group_segment_fixed_size: 0
    .kernarg_segment_align: 8
    .kernarg_segment_size: 336
    .language:       OpenCL C
    .language_version:
      - 2
      - 0
    .max_flat_workgroup_size: 96
    .name:           _ZL33flash_attn_stream_k_fixup_generalILi96ELi32ELi1EEvPfPK15HIP_vector_typeIfLj2EEiiiiS1_IjLj3EES5_S5_S5_
    .private_segment_fixed_size: 0
    .sgpr_count:     42
    .sgpr_spill_count: 0
    .symbol:         _ZL33flash_attn_stream_k_fixup_generalILi96ELi32ELi1EEvPfPK15HIP_vector_typeIfLj2EEiiiiS1_IjLj3EES5_S5_S5_.kd
    .uniform_work_group_size: 1
    .uses_dynamic_stack: false
    .vgpr_count:     18
    .vgpr_spill_count: 0
    .wavefront_size: 64
  - .agpr_count:     0
    .args:
      - .address_space:  global
        .offset:         0
        .size:           8
        .value_kind:     global_buffer
      - .address_space:  global
        .offset:         8
        .size:           8
        .value_kind:     global_buffer
      - .address_space:  global
        .offset:         16
        .size:           8
        .value_kind:     global_buffer
      - .offset:         24
        .size:           4
        .value_kind:     by_value
      - .offset:         32
        .size:           4
        .value_kind:     hidden_block_count_x
      - .offset:         36
        .size:           4
        .value_kind:     hidden_block_count_y
      - .offset:         40
        .size:           4
        .value_kind:     hidden_block_count_z
      - .offset:         44
        .size:           2
        .value_kind:     hidden_group_size_x
      - .offset:         46
        .size:           2
        .value_kind:     hidden_group_size_y
      - .offset:         48
        .size:           2
        .value_kind:     hidden_group_size_z
      - .offset:         50
        .size:           2
        .value_kind:     hidden_remainder_x
      - .offset:         52
        .size:           2
        .value_kind:     hidden_remainder_y
      - .offset:         54
        .size:           2
        .value_kind:     hidden_remainder_z
      - .offset:         72
        .size:           8
        .value_kind:     hidden_global_offset_x
      - .offset:         80
        .size:           8
        .value_kind:     hidden_global_offset_y
      - .offset:         88
        .size:           8
        .value_kind:     hidden_global_offset_z
      - .offset:         96
        .size:           2
        .value_kind:     hidden_grid_dims
      - .offset:         152
        .size:           4
        .value_kind:     hidden_dynamic_lds_size
    .group_segment_fixed_size: 0
    .kernarg_segment_align: 8
    .kernarg_segment_size: 288
    .language:       OpenCL C
    .language_version:
      - 2
      - 0
    .max_flat_workgroup_size: 96
    .name:           _ZL26flash_attn_combine_resultsILi96EEvPKfPK15HIP_vector_typeIfLj2EEPfi
    .private_segment_fixed_size: 0
    .sgpr_count:     38
    .sgpr_spill_count: 0
    .symbol:         _ZL26flash_attn_combine_resultsILi96EEvPKfPK15HIP_vector_typeIfLj2EEPfi.kd
    .uniform_work_group_size: 1
    .uses_dynamic_stack: false
    .vgpr_count:     57
    .vgpr_spill_count: 0
    .wavefront_size: 64
  - .agpr_count:     0
    .args:
      - .address_space:  global
        .offset:         0
        .size:           8
        .value_kind:     global_buffer
      - .address_space:  global
        .offset:         8
        .size:           8
        .value_kind:     global_buffer
      - .address_space:  global
        .offset:         16
        .size:           8
        .value_kind:     global_buffer
      - .address_space:  global
        .offset:         24
        .size:           8
        .value_kind:     global_buffer
      - .address_space:  global
        .offset:         32
        .size:           8
        .value_kind:     global_buffer
      - .address_space:  global
        .offset:         40
        .size:           8
        .value_kind:     global_buffer
      - .address_space:  global
        .offset:         48
        .size:           8
        .value_kind:     global_buffer
      - .address_space:  global
        .offset:         56
        .size:           8
        .value_kind:     global_buffer
      - .offset:         64
        .size:           4
        .value_kind:     by_value
      - .offset:         68
        .size:           4
        .value_kind:     by_value
      - .offset:         72
        .size:           4
        .value_kind:     by_value
      - .offset:         76
        .size:           4
        .value_kind:     by_value
      - .offset:         80
        .size:           4
        .value_kind:     by_value
      - .offset:         84
        .size:           4
        .value_kind:     by_value
      - .offset:         88
        .size:           4
        .value_kind:     by_value
      - .offset:         92
        .size:           12
        .value_kind:     by_value
      - .offset:         104
        .size:           4
        .value_kind:     by_value
      - .offset:         108
        .size:           4
        .value_kind:     by_value
      - .offset:         112
        .size:           4
        .value_kind:     by_value
      - .offset:         116
        .size:           4
        .value_kind:     by_value
      - .offset:         120
        .size:           4
        .value_kind:     by_value
      - .offset:         124
        .size:           4
        .value_kind:     by_value
      - .offset:         128
        .size:           4
        .value_kind:     by_value
      - .offset:         132
        .size:           4
        .value_kind:     by_value
      - .offset:         136
        .size:           4
        .value_kind:     by_value
      - .offset:         140
        .size:           4
        .value_kind:     by_value
      - .offset:         144
        .size:           4
        .value_kind:     by_value
      - .offset:         152
        .size:           8
        .value_kind:     by_value
      - .offset:         160
        .size:           4
        .value_kind:     by_value
      - .offset:         164
        .size:           4
        .value_kind:     by_value
      - .offset:         168
        .size:           8
        .value_kind:     by_value
      - .offset:         176
        .size:           4
        .value_kind:     by_value
      - .offset:         180
        .size:           4
        .value_kind:     by_value
      - .offset:         184
        .size:           4
        .value_kind:     by_value
      - .offset:         188
        .size:           4
        .value_kind:     by_value
      - .offset:         192
        .size:           4
        .value_kind:     by_value
      - .offset:         200
        .size:           8
        .value_kind:     by_value
      - .offset:         208
        .size:           4
        .value_kind:     hidden_block_count_x
      - .offset:         212
        .size:           4
        .value_kind:     hidden_block_count_y
      - .offset:         216
        .size:           4
        .value_kind:     hidden_block_count_z
      - .offset:         220
        .size:           2
        .value_kind:     hidden_group_size_x
      - .offset:         222
        .size:           2
        .value_kind:     hidden_group_size_y
      - .offset:         224
        .size:           2
        .value_kind:     hidden_group_size_z
      - .offset:         226
        .size:           2
        .value_kind:     hidden_remainder_x
      - .offset:         228
        .size:           2
        .value_kind:     hidden_remainder_y
      - .offset:         230
        .size:           2
        .value_kind:     hidden_remainder_z
      - .offset:         248
        .size:           8
        .value_kind:     hidden_global_offset_x
      - .offset:         256
        .size:           8
        .value_kind:     hidden_global_offset_y
      - .offset:         264
        .size:           8
        .value_kind:     hidden_global_offset_z
      - .offset:         272
        .size:           2
        .value_kind:     hidden_grid_dims
      - .offset:         328
        .size:           4
        .value_kind:     hidden_dynamic_lds_size
    .group_segment_fixed_size: 0
    .kernarg_segment_align: 8
    .kernarg_segment_size: 464
    .language:       OpenCL C
    .language_version:
      - 2
      - 0
    .max_flat_workgroup_size: 256
    .name:           _ZL18flash_attn_ext_f16ILi112ELi112ELi32ELi1ELb0ELb0EEvPKcS1_S1_S1_S1_PKiPfP15HIP_vector_typeIfLj2EEffffjfiS5_IjLj3EEiiiiiiiiiiiliiliiiiil
    .private_segment_fixed_size: 32
    .sgpr_count:     106
    .sgpr_spill_count: 91
    .symbol:         _ZL18flash_attn_ext_f16ILi112ELi112ELi32ELi1ELb0ELb0EEvPKcS1_S1_S1_S1_PKiPfP15HIP_vector_typeIfLj2EEffffjfiS5_IjLj3EEiiiiiiiiiiiliiliiiiil.kd
    .uniform_work_group_size: 1
    .uses_dynamic_stack: false
    .vgpr_count:     244
    .vgpr_spill_count: 0
    .wavefront_size: 64
  - .agpr_count:     0
    .args:
      - .address_space:  global
        .offset:         0
        .size:           8
        .value_kind:     global_buffer
      - .address_space:  global
        .offset:         8
        .size:           8
        .value_kind:     global_buffer
      - .address_space:  global
        .offset:         16
        .size:           8
        .value_kind:     global_buffer
      - .address_space:  global
        .offset:         24
        .size:           8
        .value_kind:     global_buffer
      - .address_space:  global
        .offset:         32
        .size:           8
        .value_kind:     global_buffer
      - .address_space:  global
        .offset:         40
        .size:           8
        .value_kind:     global_buffer
      - .address_space:  global
        .offset:         48
        .size:           8
        .value_kind:     global_buffer
      - .address_space:  global
        .offset:         56
        .size:           8
        .value_kind:     global_buffer
      - .offset:         64
        .size:           4
        .value_kind:     by_value
      - .offset:         68
        .size:           4
        .value_kind:     by_value
      - .offset:         72
        .size:           4
        .value_kind:     by_value
      - .offset:         76
        .size:           4
        .value_kind:     by_value
      - .offset:         80
        .size:           4
        .value_kind:     by_value
      - .offset:         84
        .size:           4
        .value_kind:     by_value
      - .offset:         88
        .size:           4
        .value_kind:     by_value
      - .offset:         92
        .size:           12
        .value_kind:     by_value
      - .offset:         104
        .size:           4
        .value_kind:     by_value
      - .offset:         108
        .size:           4
        .value_kind:     by_value
      - .offset:         112
        .size:           4
        .value_kind:     by_value
      - .offset:         116
        .size:           4
        .value_kind:     by_value
      - .offset:         120
        .size:           4
        .value_kind:     by_value
      - .offset:         124
        .size:           4
        .value_kind:     by_value
      - .offset:         128
        .size:           4
        .value_kind:     by_value
      - .offset:         132
        .size:           4
        .value_kind:     by_value
      - .offset:         136
        .size:           4
        .value_kind:     by_value
      - .offset:         140
        .size:           4
        .value_kind:     by_value
      - .offset:         144
        .size:           4
        .value_kind:     by_value
      - .offset:         152
        .size:           8
        .value_kind:     by_value
      - .offset:         160
        .size:           4
        .value_kind:     by_value
      - .offset:         164
        .size:           4
        .value_kind:     by_value
      - .offset:         168
        .size:           8
        .value_kind:     by_value
      - .offset:         176
        .size:           4
        .value_kind:     by_value
      - .offset:         180
        .size:           4
        .value_kind:     by_value
      - .offset:         184
        .size:           4
        .value_kind:     by_value
      - .offset:         188
        .size:           4
        .value_kind:     by_value
      - .offset:         192
        .size:           4
        .value_kind:     by_value
      - .offset:         200
        .size:           8
        .value_kind:     by_value
      - .offset:         208
        .size:           4
        .value_kind:     hidden_block_count_x
      - .offset:         212
        .size:           4
        .value_kind:     hidden_block_count_y
      - .offset:         216
        .size:           4
        .value_kind:     hidden_block_count_z
      - .offset:         220
        .size:           2
        .value_kind:     hidden_group_size_x
      - .offset:         222
        .size:           2
        .value_kind:     hidden_group_size_y
      - .offset:         224
        .size:           2
        .value_kind:     hidden_group_size_z
      - .offset:         226
        .size:           2
        .value_kind:     hidden_remainder_x
      - .offset:         228
        .size:           2
        .value_kind:     hidden_remainder_y
      - .offset:         230
        .size:           2
        .value_kind:     hidden_remainder_z
      - .offset:         248
        .size:           8
        .value_kind:     hidden_global_offset_x
      - .offset:         256
        .size:           8
        .value_kind:     hidden_global_offset_y
      - .offset:         264
        .size:           8
        .value_kind:     hidden_global_offset_z
      - .offset:         272
        .size:           2
        .value_kind:     hidden_grid_dims
      - .offset:         288
        .size:           8
        .value_kind:     hidden_hostcall_buffer
    .group_segment_fixed_size: 0
    .kernarg_segment_align: 8
    .kernarg_segment_size: 464
    .language:       OpenCL C
    .language_version:
      - 2
      - 0
    .max_flat_workgroup_size: 256
    .name:           _ZL18flash_attn_ext_f16ILi112ELi112ELi32ELi1ELb1ELb0EEvPKcS1_S1_S1_S1_PKiPfP15HIP_vector_typeIfLj2EEffffjfiS5_IjLj3EEiiiiiiiiiiiliiliiiiil
    .private_segment_fixed_size: 16
    .sgpr_count:     40
    .sgpr_spill_count: 0
    .symbol:         _ZL18flash_attn_ext_f16ILi112ELi112ELi32ELi1ELb1ELb0EEvPKcS1_S1_S1_S1_PKiPfP15HIP_vector_typeIfLj2EEffffjfiS5_IjLj3EEiiiiiiiiiiiliiliiiiil.kd
    .uniform_work_group_size: 1
    .uses_dynamic_stack: false
    .vgpr_count:     50
    .vgpr_spill_count: 0
    .wavefront_size: 64
  - .agpr_count:     0
    .args:
      - .address_space:  global
        .offset:         0
        .size:           8
        .value_kind:     global_buffer
      - .address_space:  global
        .offset:         8
        .size:           8
        .value_kind:     global_buffer
      - .offset:         16
        .size:           4
        .value_kind:     by_value
      - .offset:         20
        .size:           4
        .value_kind:     by_value
      - .offset:         24
        .size:           4
        .value_kind:     by_value
      - .offset:         28
        .size:           4
        .value_kind:     by_value
      - .offset:         32
        .size:           4
        .value_kind:     by_value
      - .offset:         36
        .size:           4
        .value_kind:     by_value
      - .offset:         40
        .size:           12
        .value_kind:     by_value
      - .offset:         52
        .size:           12
        .value_kind:     by_value
      - .offset:         64
        .size:           12
        .value_kind:     by_value
    .group_segment_fixed_size: 0
    .kernarg_segment_align: 8
    .kernarg_segment_size: 76
    .language:       OpenCL C
    .language_version:
      - 2
      - 0
    .max_flat_workgroup_size: 112
    .name:           _ZL33flash_attn_stream_k_fixup_uniformILi112ELi32ELi1EEvPfPK15HIP_vector_typeIfLj2EEiiiiiiS1_IjLj3EES5_S5_
    .private_segment_fixed_size: 0
    .sgpr_count:     26
    .sgpr_spill_count: 0
    .symbol:         _ZL33flash_attn_stream_k_fixup_uniformILi112ELi32ELi1EEvPfPK15HIP_vector_typeIfLj2EEiiiiiiS1_IjLj3EES5_S5_.kd
    .uniform_work_group_size: 1
    .uses_dynamic_stack: false
    .vgpr_count:     17
    .vgpr_spill_count: 0
    .wavefront_size: 64
  - .agpr_count:     0
    .args:
      - .address_space:  global
        .offset:         0
        .size:           8
        .value_kind:     global_buffer
      - .address_space:  global
        .offset:         8
        .size:           8
        .value_kind:     global_buffer
      - .offset:         16
        .size:           4
        .value_kind:     by_value
      - .offset:         20
        .size:           4
        .value_kind:     by_value
      - .offset:         24
        .size:           4
        .value_kind:     by_value
      - .offset:         28
        .size:           4
        .value_kind:     by_value
      - .offset:         32
        .size:           12
        .value_kind:     by_value
      - .offset:         44
        .size:           12
        .value_kind:     by_value
      - .offset:         56
        .size:           12
        .value_kind:     by_value
      - .offset:         68
        .size:           12
        .value_kind:     by_value
      - .offset:         80
        .size:           4
        .value_kind:     hidden_block_count_x
      - .offset:         84
        .size:           4
        .value_kind:     hidden_block_count_y
      - .offset:         88
        .size:           4
        .value_kind:     hidden_block_count_z
      - .offset:         92
        .size:           2
        .value_kind:     hidden_group_size_x
      - .offset:         94
        .size:           2
        .value_kind:     hidden_group_size_y
      - .offset:         96
        .size:           2
        .value_kind:     hidden_group_size_z
      - .offset:         98
        .size:           2
        .value_kind:     hidden_remainder_x
      - .offset:         100
        .size:           2
        .value_kind:     hidden_remainder_y
      - .offset:         102
        .size:           2
        .value_kind:     hidden_remainder_z
      - .offset:         120
        .size:           8
        .value_kind:     hidden_global_offset_x
      - .offset:         128
        .size:           8
        .value_kind:     hidden_global_offset_y
      - .offset:         136
        .size:           8
        .value_kind:     hidden_global_offset_z
      - .offset:         144
        .size:           2
        .value_kind:     hidden_grid_dims
    .group_segment_fixed_size: 0
    .kernarg_segment_align: 8
    .kernarg_segment_size: 336
    .language:       OpenCL C
    .language_version:
      - 2
      - 0
    .max_flat_workgroup_size: 112
    .name:           _ZL33flash_attn_stream_k_fixup_generalILi112ELi32ELi1EEvPfPK15HIP_vector_typeIfLj2EEiiiiS1_IjLj3EES5_S5_S5_
    .private_segment_fixed_size: 0
    .sgpr_count:     42
    .sgpr_spill_count: 0
    .symbol:         _ZL33flash_attn_stream_k_fixup_generalILi112ELi32ELi1EEvPfPK15HIP_vector_typeIfLj2EEiiiiS1_IjLj3EES5_S5_S5_.kd
    .uniform_work_group_size: 1
    .uses_dynamic_stack: false
    .vgpr_count:     18
    .vgpr_spill_count: 0
    .wavefront_size: 64
  - .agpr_count:     0
    .args:
      - .address_space:  global
        .offset:         0
        .size:           8
        .value_kind:     global_buffer
      - .address_space:  global
        .offset:         8
        .size:           8
        .value_kind:     global_buffer
      - .address_space:  global
        .offset:         16
        .size:           8
        .value_kind:     global_buffer
      - .offset:         24
        .size:           4
        .value_kind:     by_value
      - .offset:         32
        .size:           4
        .value_kind:     hidden_block_count_x
      - .offset:         36
        .size:           4
        .value_kind:     hidden_block_count_y
      - .offset:         40
        .size:           4
        .value_kind:     hidden_block_count_z
      - .offset:         44
        .size:           2
        .value_kind:     hidden_group_size_x
      - .offset:         46
        .size:           2
        .value_kind:     hidden_group_size_y
      - .offset:         48
        .size:           2
        .value_kind:     hidden_group_size_z
      - .offset:         50
        .size:           2
        .value_kind:     hidden_remainder_x
      - .offset:         52
        .size:           2
        .value_kind:     hidden_remainder_y
      - .offset:         54
        .size:           2
        .value_kind:     hidden_remainder_z
      - .offset:         72
        .size:           8
        .value_kind:     hidden_global_offset_x
      - .offset:         80
        .size:           8
        .value_kind:     hidden_global_offset_y
      - .offset:         88
        .size:           8
        .value_kind:     hidden_global_offset_z
      - .offset:         96
        .size:           2
        .value_kind:     hidden_grid_dims
      - .offset:         152
        .size:           4
        .value_kind:     hidden_dynamic_lds_size
    .group_segment_fixed_size: 0
    .kernarg_segment_align: 8
    .kernarg_segment_size: 288
    .language:       OpenCL C
    .language_version:
      - 2
      - 0
    .max_flat_workgroup_size: 112
    .name:           _ZL26flash_attn_combine_resultsILi112EEvPKfPK15HIP_vector_typeIfLj2EEPfi
    .private_segment_fixed_size: 0
    .sgpr_count:     36
    .sgpr_spill_count: 0
    .symbol:         _ZL26flash_attn_combine_resultsILi112EEvPKfPK15HIP_vector_typeIfLj2EEPfi.kd
    .uniform_work_group_size: 1
    .uses_dynamic_stack: false
    .vgpr_count:     57
    .vgpr_spill_count: 0
    .wavefront_size: 64
  - .agpr_count:     0
    .args:
      - .address_space:  global
        .offset:         0
        .size:           8
        .value_kind:     global_buffer
      - .address_space:  global
        .offset:         8
        .size:           8
        .value_kind:     global_buffer
      - .address_space:  global
        .offset:         16
        .size:           8
        .value_kind:     global_buffer
      - .address_space:  global
        .offset:         24
        .size:           8
        .value_kind:     global_buffer
      - .address_space:  global
        .offset:         32
        .size:           8
        .value_kind:     global_buffer
      - .address_space:  global
        .offset:         40
        .size:           8
        .value_kind:     global_buffer
      - .address_space:  global
        .offset:         48
        .size:           8
        .value_kind:     global_buffer
      - .address_space:  global
        .offset:         56
        .size:           8
        .value_kind:     global_buffer
      - .offset:         64
        .size:           4
        .value_kind:     by_value
      - .offset:         68
        .size:           4
        .value_kind:     by_value
      - .offset:         72
        .size:           4
        .value_kind:     by_value
      - .offset:         76
        .size:           4
        .value_kind:     by_value
      - .offset:         80
        .size:           4
        .value_kind:     by_value
      - .offset:         84
        .size:           4
        .value_kind:     by_value
      - .offset:         88
        .size:           4
        .value_kind:     by_value
      - .offset:         92
        .size:           12
        .value_kind:     by_value
      - .offset:         104
        .size:           4
        .value_kind:     by_value
      - .offset:         108
        .size:           4
        .value_kind:     by_value
      - .offset:         112
        .size:           4
        .value_kind:     by_value
      - .offset:         116
        .size:           4
        .value_kind:     by_value
      - .offset:         120
        .size:           4
        .value_kind:     by_value
      - .offset:         124
        .size:           4
        .value_kind:     by_value
      - .offset:         128
        .size:           4
        .value_kind:     by_value
      - .offset:         132
        .size:           4
        .value_kind:     by_value
      - .offset:         136
        .size:           4
        .value_kind:     by_value
      - .offset:         140
        .size:           4
        .value_kind:     by_value
      - .offset:         144
        .size:           4
        .value_kind:     by_value
      - .offset:         152
        .size:           8
        .value_kind:     by_value
      - .offset:         160
        .size:           4
        .value_kind:     by_value
      - .offset:         164
        .size:           4
        .value_kind:     by_value
      - .offset:         168
        .size:           8
        .value_kind:     by_value
      - .offset:         176
        .size:           4
        .value_kind:     by_value
      - .offset:         180
        .size:           4
        .value_kind:     by_value
      - .offset:         184
        .size:           4
        .value_kind:     by_value
      - .offset:         188
        .size:           4
        .value_kind:     by_value
      - .offset:         192
        .size:           4
        .value_kind:     by_value
      - .offset:         200
        .size:           8
        .value_kind:     by_value
      - .offset:         208
        .size:           4
        .value_kind:     hidden_block_count_x
      - .offset:         212
        .size:           4
        .value_kind:     hidden_block_count_y
      - .offset:         216
        .size:           4
        .value_kind:     hidden_block_count_z
      - .offset:         220
        .size:           2
        .value_kind:     hidden_group_size_x
      - .offset:         222
        .size:           2
        .value_kind:     hidden_group_size_y
      - .offset:         224
        .size:           2
        .value_kind:     hidden_group_size_z
      - .offset:         226
        .size:           2
        .value_kind:     hidden_remainder_x
      - .offset:         228
        .size:           2
        .value_kind:     hidden_remainder_y
      - .offset:         230
        .size:           2
        .value_kind:     hidden_remainder_z
      - .offset:         248
        .size:           8
        .value_kind:     hidden_global_offset_x
      - .offset:         256
        .size:           8
        .value_kind:     hidden_global_offset_y
      - .offset:         264
        .size:           8
        .value_kind:     hidden_global_offset_z
      - .offset:         272
        .size:           2
        .value_kind:     hidden_grid_dims
      - .offset:         328
        .size:           4
        .value_kind:     hidden_dynamic_lds_size
    .group_segment_fixed_size: 0
    .kernarg_segment_align: 8
    .kernarg_segment_size: 464
    .language:       OpenCL C
    .language_version:
      - 2
      - 0
    .max_flat_workgroup_size: 256
    .name:           _ZL18flash_attn_ext_f16ILi128ELi128ELi32ELi1ELb0ELb0EEvPKcS1_S1_S1_S1_PKiPfP15HIP_vector_typeIfLj2EEffffjfiS5_IjLj3EEiiiiiiiiiiiliiliiiiil
    .private_segment_fixed_size: 32
    .sgpr_count:     106
    .sgpr_spill_count: 89
    .symbol:         _ZL18flash_attn_ext_f16ILi128ELi128ELi32ELi1ELb0ELb0EEvPKcS1_S1_S1_S1_PKiPfP15HIP_vector_typeIfLj2EEffffjfiS5_IjLj3EEiiiiiiiiiiiliiliiiiil.kd
    .uniform_work_group_size: 1
    .uses_dynamic_stack: false
    .vgpr_count:     241
    .vgpr_spill_count: 0
    .wavefront_size: 64
  - .agpr_count:     0
    .args:
      - .address_space:  global
        .offset:         0
        .size:           8
        .value_kind:     global_buffer
      - .address_space:  global
        .offset:         8
        .size:           8
        .value_kind:     global_buffer
      - .address_space:  global
        .offset:         16
        .size:           8
        .value_kind:     global_buffer
      - .address_space:  global
        .offset:         24
        .size:           8
        .value_kind:     global_buffer
      - .address_space:  global
        .offset:         32
        .size:           8
        .value_kind:     global_buffer
      - .address_space:  global
        .offset:         40
        .size:           8
        .value_kind:     global_buffer
      - .address_space:  global
        .offset:         48
        .size:           8
        .value_kind:     global_buffer
      - .address_space:  global
        .offset:         56
        .size:           8
        .value_kind:     global_buffer
      - .offset:         64
        .size:           4
        .value_kind:     by_value
      - .offset:         68
        .size:           4
        .value_kind:     by_value
      - .offset:         72
        .size:           4
        .value_kind:     by_value
      - .offset:         76
        .size:           4
        .value_kind:     by_value
      - .offset:         80
        .size:           4
        .value_kind:     by_value
      - .offset:         84
        .size:           4
        .value_kind:     by_value
      - .offset:         88
        .size:           4
        .value_kind:     by_value
      - .offset:         92
        .size:           12
        .value_kind:     by_value
      - .offset:         104
        .size:           4
        .value_kind:     by_value
      - .offset:         108
        .size:           4
        .value_kind:     by_value
      - .offset:         112
        .size:           4
        .value_kind:     by_value
      - .offset:         116
        .size:           4
        .value_kind:     by_value
      - .offset:         120
        .size:           4
        .value_kind:     by_value
      - .offset:         124
        .size:           4
        .value_kind:     by_value
      - .offset:         128
        .size:           4
        .value_kind:     by_value
      - .offset:         132
        .size:           4
        .value_kind:     by_value
      - .offset:         136
        .size:           4
        .value_kind:     by_value
      - .offset:         140
        .size:           4
        .value_kind:     by_value
      - .offset:         144
        .size:           4
        .value_kind:     by_value
      - .offset:         152
        .size:           8
        .value_kind:     by_value
      - .offset:         160
        .size:           4
        .value_kind:     by_value
      - .offset:         164
        .size:           4
        .value_kind:     by_value
      - .offset:         168
        .size:           8
        .value_kind:     by_value
      - .offset:         176
        .size:           4
        .value_kind:     by_value
      - .offset:         180
        .size:           4
        .value_kind:     by_value
      - .offset:         184
        .size:           4
        .value_kind:     by_value
      - .offset:         188
        .size:           4
        .value_kind:     by_value
      - .offset:         192
        .size:           4
        .value_kind:     by_value
      - .offset:         200
        .size:           8
        .value_kind:     by_value
      - .offset:         208
        .size:           4
        .value_kind:     hidden_block_count_x
      - .offset:         212
        .size:           4
        .value_kind:     hidden_block_count_y
      - .offset:         216
        .size:           4
        .value_kind:     hidden_block_count_z
      - .offset:         220
        .size:           2
        .value_kind:     hidden_group_size_x
      - .offset:         222
        .size:           2
        .value_kind:     hidden_group_size_y
      - .offset:         224
        .size:           2
        .value_kind:     hidden_group_size_z
      - .offset:         226
        .size:           2
        .value_kind:     hidden_remainder_x
      - .offset:         228
        .size:           2
        .value_kind:     hidden_remainder_y
      - .offset:         230
        .size:           2
        .value_kind:     hidden_remainder_z
      - .offset:         248
        .size:           8
        .value_kind:     hidden_global_offset_x
      - .offset:         256
        .size:           8
        .value_kind:     hidden_global_offset_y
      - .offset:         264
        .size:           8
        .value_kind:     hidden_global_offset_z
      - .offset:         272
        .size:           2
        .value_kind:     hidden_grid_dims
      - .offset:         328
        .size:           4
        .value_kind:     hidden_dynamic_lds_size
    .group_segment_fixed_size: 0
    .kernarg_segment_align: 8
    .kernarg_segment_size: 464
    .language:       OpenCL C
    .language_version:
      - 2
      - 0
    .max_flat_workgroup_size: 256
    .name:           _ZL18flash_attn_ext_f16ILi128ELi128ELi32ELi1ELb1ELb0EEvPKcS1_S1_S1_S1_PKiPfP15HIP_vector_typeIfLj2EEffffjfiS5_IjLj3EEiiiiiiiiiiiliiliiiiil
    .private_segment_fixed_size: 32
    .sgpr_count:     106
    .sgpr_spill_count: 87
    .symbol:         _ZL18flash_attn_ext_f16ILi128ELi128ELi32ELi1ELb1ELb0EEvPKcS1_S1_S1_S1_PKiPfP15HIP_vector_typeIfLj2EEffffjfiS5_IjLj3EEiiiiiiiiiiiliiliiiiil.kd
    .uniform_work_group_size: 1
    .uses_dynamic_stack: false
    .vgpr_count:     244
    .vgpr_spill_count: 0
    .wavefront_size: 64
  - .agpr_count:     0
    .args:
      - .address_space:  global
        .offset:         0
        .size:           8
        .value_kind:     global_buffer
      - .address_space:  global
        .offset:         8
        .size:           8
        .value_kind:     global_buffer
      - .offset:         16
        .size:           4
        .value_kind:     by_value
      - .offset:         20
        .size:           4
        .value_kind:     by_value
      - .offset:         24
        .size:           4
        .value_kind:     by_value
      - .offset:         28
        .size:           4
        .value_kind:     by_value
      - .offset:         32
        .size:           4
        .value_kind:     by_value
      - .offset:         36
        .size:           4
        .value_kind:     by_value
      - .offset:         40
        .size:           12
        .value_kind:     by_value
      - .offset:         52
        .size:           12
        .value_kind:     by_value
      - .offset:         64
        .size:           12
        .value_kind:     by_value
    .group_segment_fixed_size: 0
    .kernarg_segment_align: 8
    .kernarg_segment_size: 76
    .language:       OpenCL C
    .language_version:
      - 2
      - 0
    .max_flat_workgroup_size: 128
    .name:           _ZL33flash_attn_stream_k_fixup_uniformILi128ELi32ELi1EEvPfPK15HIP_vector_typeIfLj2EEiiiiiiS1_IjLj3EES5_S5_
    .private_segment_fixed_size: 0
    .sgpr_count:     30
    .sgpr_spill_count: 0
    .symbol:         _ZL33flash_attn_stream_k_fixup_uniformILi128ELi32ELi1EEvPfPK15HIP_vector_typeIfLj2EEiiiiiiS1_IjLj3EES5_S5_.kd
    .uniform_work_group_size: 1
    .uses_dynamic_stack: false
    .vgpr_count:     17
    .vgpr_spill_count: 0
    .wavefront_size: 64
  - .agpr_count:     0
    .args:
      - .address_space:  global
        .offset:         0
        .size:           8
        .value_kind:     global_buffer
      - .address_space:  global
        .offset:         8
        .size:           8
        .value_kind:     global_buffer
      - .offset:         16
        .size:           4
        .value_kind:     by_value
      - .offset:         20
        .size:           4
        .value_kind:     by_value
      - .offset:         24
        .size:           4
        .value_kind:     by_value
      - .offset:         28
        .size:           4
        .value_kind:     by_value
      - .offset:         32
        .size:           12
        .value_kind:     by_value
      - .offset:         44
        .size:           12
        .value_kind:     by_value
      - .offset:         56
        .size:           12
        .value_kind:     by_value
      - .offset:         68
        .size:           12
        .value_kind:     by_value
      - .offset:         80
        .size:           4
        .value_kind:     hidden_block_count_x
      - .offset:         84
        .size:           4
        .value_kind:     hidden_block_count_y
      - .offset:         88
        .size:           4
        .value_kind:     hidden_block_count_z
      - .offset:         92
        .size:           2
        .value_kind:     hidden_group_size_x
      - .offset:         94
        .size:           2
        .value_kind:     hidden_group_size_y
      - .offset:         96
        .size:           2
        .value_kind:     hidden_group_size_z
      - .offset:         98
        .size:           2
        .value_kind:     hidden_remainder_x
      - .offset:         100
        .size:           2
        .value_kind:     hidden_remainder_y
      - .offset:         102
        .size:           2
        .value_kind:     hidden_remainder_z
      - .offset:         120
        .size:           8
        .value_kind:     hidden_global_offset_x
      - .offset:         128
        .size:           8
        .value_kind:     hidden_global_offset_y
      - .offset:         136
        .size:           8
        .value_kind:     hidden_global_offset_z
      - .offset:         144
        .size:           2
        .value_kind:     hidden_grid_dims
    .group_segment_fixed_size: 0
    .kernarg_segment_align: 8
    .kernarg_segment_size: 336
    .language:       OpenCL C
    .language_version:
      - 2
      - 0
    .max_flat_workgroup_size: 128
    .name:           _ZL33flash_attn_stream_k_fixup_generalILi128ELi32ELi1EEvPfPK15HIP_vector_typeIfLj2EEiiiiS1_IjLj3EES5_S5_S5_
    .private_segment_fixed_size: 0
    .sgpr_count:     42
    .sgpr_spill_count: 0
    .symbol:         _ZL33flash_attn_stream_k_fixup_generalILi128ELi32ELi1EEvPfPK15HIP_vector_typeIfLj2EEiiiiS1_IjLj3EES5_S5_S5_.kd
    .uniform_work_group_size: 1
    .uses_dynamic_stack: false
    .vgpr_count:     18
    .vgpr_spill_count: 0
    .wavefront_size: 64
  - .agpr_count:     0
    .args:
      - .address_space:  global
        .offset:         0
        .size:           8
        .value_kind:     global_buffer
      - .address_space:  global
        .offset:         8
        .size:           8
        .value_kind:     global_buffer
      - .address_space:  global
        .offset:         16
        .size:           8
        .value_kind:     global_buffer
      - .offset:         24
        .size:           4
        .value_kind:     by_value
      - .offset:         32
        .size:           4
        .value_kind:     hidden_block_count_x
      - .offset:         36
        .size:           4
        .value_kind:     hidden_block_count_y
      - .offset:         40
        .size:           4
        .value_kind:     hidden_block_count_z
      - .offset:         44
        .size:           2
        .value_kind:     hidden_group_size_x
      - .offset:         46
        .size:           2
        .value_kind:     hidden_group_size_y
      - .offset:         48
        .size:           2
        .value_kind:     hidden_group_size_z
      - .offset:         50
        .size:           2
        .value_kind:     hidden_remainder_x
      - .offset:         52
        .size:           2
        .value_kind:     hidden_remainder_y
      - .offset:         54
        .size:           2
        .value_kind:     hidden_remainder_z
      - .offset:         72
        .size:           8
        .value_kind:     hidden_global_offset_x
      - .offset:         80
        .size:           8
        .value_kind:     hidden_global_offset_y
      - .offset:         88
        .size:           8
        .value_kind:     hidden_global_offset_z
      - .offset:         96
        .size:           2
        .value_kind:     hidden_grid_dims
      - .offset:         152
        .size:           4
        .value_kind:     hidden_dynamic_lds_size
    .group_segment_fixed_size: 0
    .kernarg_segment_align: 8
    .kernarg_segment_size: 288
    .language:       OpenCL C
    .language_version:
      - 2
      - 0
    .max_flat_workgroup_size: 128
    .name:           _ZL26flash_attn_combine_resultsILi128EEvPKfPK15HIP_vector_typeIfLj2EEPfi
    .private_segment_fixed_size: 0
    .sgpr_count:     32
    .sgpr_spill_count: 0
    .symbol:         _ZL26flash_attn_combine_resultsILi128EEvPKfPK15HIP_vector_typeIfLj2EEPfi.kd
    .uniform_work_group_size: 1
    .uses_dynamic_stack: false
    .vgpr_count:     59
    .vgpr_spill_count: 0
    .wavefront_size: 64
  - .agpr_count:     132
    .args:
      - .address_space:  global
        .offset:         0
        .size:           8
        .value_kind:     global_buffer
      - .address_space:  global
        .offset:         8
        .size:           8
        .value_kind:     global_buffer
      - .address_space:  global
        .offset:         16
        .size:           8
        .value_kind:     global_buffer
      - .address_space:  global
        .offset:         24
        .size:           8
        .value_kind:     global_buffer
      - .address_space:  global
        .offset:         32
        .size:           8
        .value_kind:     global_buffer
      - .address_space:  global
        .offset:         40
        .size:           8
        .value_kind:     global_buffer
      - .address_space:  global
        .offset:         48
        .size:           8
        .value_kind:     global_buffer
      - .address_space:  global
        .offset:         56
        .size:           8
        .value_kind:     global_buffer
      - .offset:         64
        .size:           4
        .value_kind:     by_value
      - .offset:         68
        .size:           4
        .value_kind:     by_value
      - .offset:         72
        .size:           4
        .value_kind:     by_value
      - .offset:         76
        .size:           4
        .value_kind:     by_value
      - .offset:         80
        .size:           4
        .value_kind:     by_value
      - .offset:         84
        .size:           4
        .value_kind:     by_value
      - .offset:         88
        .size:           4
        .value_kind:     by_value
      - .offset:         92
        .size:           12
        .value_kind:     by_value
      - .offset:         104
        .size:           4
        .value_kind:     by_value
      - .offset:         108
        .size:           4
        .value_kind:     by_value
      - .offset:         112
        .size:           4
        .value_kind:     by_value
      - .offset:         116
        .size:           4
        .value_kind:     by_value
      - .offset:         120
        .size:           4
        .value_kind:     by_value
      - .offset:         124
        .size:           4
        .value_kind:     by_value
      - .offset:         128
        .size:           4
        .value_kind:     by_value
      - .offset:         132
        .size:           4
        .value_kind:     by_value
      - .offset:         136
        .size:           4
        .value_kind:     by_value
      - .offset:         140
        .size:           4
        .value_kind:     by_value
      - .offset:         144
        .size:           4
        .value_kind:     by_value
      - .offset:         152
        .size:           8
        .value_kind:     by_value
      - .offset:         160
        .size:           4
        .value_kind:     by_value
      - .offset:         164
        .size:           4
        .value_kind:     by_value
      - .offset:         168
        .size:           8
        .value_kind:     by_value
      - .offset:         176
        .size:           4
        .value_kind:     by_value
      - .offset:         180
        .size:           4
        .value_kind:     by_value
      - .offset:         184
        .size:           4
        .value_kind:     by_value
      - .offset:         188
        .size:           4
        .value_kind:     by_value
      - .offset:         192
        .size:           4
        .value_kind:     by_value
      - .offset:         200
        .size:           8
        .value_kind:     by_value
      - .offset:         208
        .size:           4
        .value_kind:     hidden_block_count_x
      - .offset:         212
        .size:           4
        .value_kind:     hidden_block_count_y
      - .offset:         216
        .size:           4
        .value_kind:     hidden_block_count_z
      - .offset:         220
        .size:           2
        .value_kind:     hidden_group_size_x
      - .offset:         222
        .size:           2
        .value_kind:     hidden_group_size_y
      - .offset:         224
        .size:           2
        .value_kind:     hidden_group_size_z
      - .offset:         226
        .size:           2
        .value_kind:     hidden_remainder_x
      - .offset:         228
        .size:           2
        .value_kind:     hidden_remainder_y
      - .offset:         230
        .size:           2
        .value_kind:     hidden_remainder_z
      - .offset:         248
        .size:           8
        .value_kind:     hidden_global_offset_x
      - .offset:         256
        .size:           8
        .value_kind:     hidden_global_offset_y
      - .offset:         264
        .size:           8
        .value_kind:     hidden_global_offset_z
      - .offset:         272
        .size:           2
        .value_kind:     hidden_grid_dims
      - .offset:         328
        .size:           4
        .value_kind:     hidden_dynamic_lds_size
    .group_segment_fixed_size: 0
    .kernarg_segment_align: 8
    .kernarg_segment_size: 464
    .language:       OpenCL C
    .language_version:
      - 2
      - 0
    .max_flat_workgroup_size: 256
    .name:           _ZL18flash_attn_ext_f16ILi256ELi256ELi32ELi1ELb0ELb0EEvPKcS1_S1_S1_S1_PKiPfP15HIP_vector_typeIfLj2EEffffjfiS5_IjLj3EEiiiiiiiiiiiliiliiiiil
    .private_segment_fixed_size: 32
    .sgpr_count:     106
    .sgpr_spill_count: 78
    .symbol:         _ZL18flash_attn_ext_f16ILi256ELi256ELi32ELi1ELb0ELb0EEvPKcS1_S1_S1_S1_PKiPfP15HIP_vector_typeIfLj2EEffffjfiS5_IjLj3EEiiiiiiiiiiiliiliiiiil.kd
    .uniform_work_group_size: 1
    .uses_dynamic_stack: false
    .vgpr_count:     388
    .vgpr_spill_count: 0
    .wavefront_size: 64
  - .agpr_count:     136
    .args:
      - .address_space:  global
        .offset:         0
        .size:           8
        .value_kind:     global_buffer
      - .address_space:  global
        .offset:         8
        .size:           8
        .value_kind:     global_buffer
      - .address_space:  global
        .offset:         16
        .size:           8
        .value_kind:     global_buffer
      - .address_space:  global
        .offset:         24
        .size:           8
        .value_kind:     global_buffer
      - .address_space:  global
        .offset:         32
        .size:           8
        .value_kind:     global_buffer
      - .address_space:  global
        .offset:         40
        .size:           8
        .value_kind:     global_buffer
      - .address_space:  global
        .offset:         48
        .size:           8
        .value_kind:     global_buffer
      - .address_space:  global
        .offset:         56
        .size:           8
        .value_kind:     global_buffer
      - .offset:         64
        .size:           4
        .value_kind:     by_value
      - .offset:         68
        .size:           4
        .value_kind:     by_value
      - .offset:         72
        .size:           4
        .value_kind:     by_value
      - .offset:         76
        .size:           4
        .value_kind:     by_value
      - .offset:         80
        .size:           4
        .value_kind:     by_value
      - .offset:         84
        .size:           4
        .value_kind:     by_value
      - .offset:         88
        .size:           4
        .value_kind:     by_value
      - .offset:         92
        .size:           12
        .value_kind:     by_value
      - .offset:         104
        .size:           4
        .value_kind:     by_value
      - .offset:         108
        .size:           4
        .value_kind:     by_value
      - .offset:         112
        .size:           4
        .value_kind:     by_value
      - .offset:         116
        .size:           4
        .value_kind:     by_value
      - .offset:         120
        .size:           4
        .value_kind:     by_value
      - .offset:         124
        .size:           4
        .value_kind:     by_value
      - .offset:         128
        .size:           4
        .value_kind:     by_value
      - .offset:         132
        .size:           4
        .value_kind:     by_value
      - .offset:         136
        .size:           4
        .value_kind:     by_value
      - .offset:         140
        .size:           4
        .value_kind:     by_value
      - .offset:         144
        .size:           4
        .value_kind:     by_value
      - .offset:         152
        .size:           8
        .value_kind:     by_value
      - .offset:         160
        .size:           4
        .value_kind:     by_value
      - .offset:         164
        .size:           4
        .value_kind:     by_value
      - .offset:         168
        .size:           8
        .value_kind:     by_value
      - .offset:         176
        .size:           4
        .value_kind:     by_value
      - .offset:         180
        .size:           4
        .value_kind:     by_value
      - .offset:         184
        .size:           4
        .value_kind:     by_value
      - .offset:         188
        .size:           4
        .value_kind:     by_value
      - .offset:         192
        .size:           4
        .value_kind:     by_value
      - .offset:         200
        .size:           8
        .value_kind:     by_value
      - .offset:         208
        .size:           4
        .value_kind:     hidden_block_count_x
      - .offset:         212
        .size:           4
        .value_kind:     hidden_block_count_y
      - .offset:         216
        .size:           4
        .value_kind:     hidden_block_count_z
      - .offset:         220
        .size:           2
        .value_kind:     hidden_group_size_x
      - .offset:         222
        .size:           2
        .value_kind:     hidden_group_size_y
      - .offset:         224
        .size:           2
        .value_kind:     hidden_group_size_z
      - .offset:         226
        .size:           2
        .value_kind:     hidden_remainder_x
      - .offset:         228
        .size:           2
        .value_kind:     hidden_remainder_y
      - .offset:         230
        .size:           2
        .value_kind:     hidden_remainder_z
      - .offset:         248
        .size:           8
        .value_kind:     hidden_global_offset_x
      - .offset:         256
        .size:           8
        .value_kind:     hidden_global_offset_y
      - .offset:         264
        .size:           8
        .value_kind:     hidden_global_offset_z
      - .offset:         272
        .size:           2
        .value_kind:     hidden_grid_dims
      - .offset:         328
        .size:           4
        .value_kind:     hidden_dynamic_lds_size
    .group_segment_fixed_size: 0
    .kernarg_segment_align: 8
    .kernarg_segment_size: 464
    .language:       OpenCL C
    .language_version:
      - 2
      - 0
    .max_flat_workgroup_size: 256
    .name:           _ZL18flash_attn_ext_f16ILi256ELi256ELi32ELi1ELb1ELb0EEvPKcS1_S1_S1_S1_PKiPfP15HIP_vector_typeIfLj2EEffffjfiS5_IjLj3EEiiiiiiiiiiiliiliiiiil
    .private_segment_fixed_size: 32
    .sgpr_count:     106
    .sgpr_spill_count: 72
    .symbol:         _ZL18flash_attn_ext_f16ILi256ELi256ELi32ELi1ELb1ELb0EEvPKcS1_S1_S1_S1_PKiPfP15HIP_vector_typeIfLj2EEffffjfiS5_IjLj3EEiiiiiiiiiiiliiliiiiil.kd
    .uniform_work_group_size: 1
    .uses_dynamic_stack: false
    .vgpr_count:     392
    .vgpr_spill_count: 0
    .wavefront_size: 64
  - .agpr_count:     0
    .args:
      - .address_space:  global
        .offset:         0
        .size:           8
        .value_kind:     global_buffer
      - .address_space:  global
        .offset:         8
        .size:           8
        .value_kind:     global_buffer
      - .offset:         16
        .size:           4
        .value_kind:     by_value
      - .offset:         20
        .size:           4
        .value_kind:     by_value
      - .offset:         24
        .size:           4
        .value_kind:     by_value
      - .offset:         28
        .size:           4
        .value_kind:     by_value
      - .offset:         32
        .size:           4
        .value_kind:     by_value
      - .offset:         36
        .size:           4
        .value_kind:     by_value
      - .offset:         40
        .size:           12
        .value_kind:     by_value
      - .offset:         52
        .size:           12
        .value_kind:     by_value
      - .offset:         64
        .size:           12
        .value_kind:     by_value
    .group_segment_fixed_size: 0
    .kernarg_segment_align: 8
    .kernarg_segment_size: 76
    .language:       OpenCL C
    .language_version:
      - 2
      - 0
    .max_flat_workgroup_size: 256
    .name:           _ZL33flash_attn_stream_k_fixup_uniformILi256ELi32ELi1EEvPfPK15HIP_vector_typeIfLj2EEiiiiiiS1_IjLj3EES5_S5_
    .private_segment_fixed_size: 0
    .sgpr_count:     30
    .sgpr_spill_count: 0
    .symbol:         _ZL33flash_attn_stream_k_fixup_uniformILi256ELi32ELi1EEvPfPK15HIP_vector_typeIfLj2EEiiiiiiS1_IjLj3EES5_S5_.kd
    .uniform_work_group_size: 1
    .uses_dynamic_stack: false
    .vgpr_count:     17
    .vgpr_spill_count: 0
    .wavefront_size: 64
  - .agpr_count:     0
    .args:
      - .address_space:  global
        .offset:         0
        .size:           8
        .value_kind:     global_buffer
      - .address_space:  global
        .offset:         8
        .size:           8
        .value_kind:     global_buffer
      - .offset:         16
        .size:           4
        .value_kind:     by_value
      - .offset:         20
        .size:           4
        .value_kind:     by_value
      - .offset:         24
        .size:           4
        .value_kind:     by_value
      - .offset:         28
        .size:           4
        .value_kind:     by_value
      - .offset:         32
        .size:           12
        .value_kind:     by_value
      - .offset:         44
        .size:           12
        .value_kind:     by_value
      - .offset:         56
        .size:           12
        .value_kind:     by_value
      - .offset:         68
        .size:           12
        .value_kind:     by_value
      - .offset:         80
        .size:           4
        .value_kind:     hidden_block_count_x
      - .offset:         84
        .size:           4
        .value_kind:     hidden_block_count_y
      - .offset:         88
        .size:           4
        .value_kind:     hidden_block_count_z
      - .offset:         92
        .size:           2
        .value_kind:     hidden_group_size_x
      - .offset:         94
        .size:           2
        .value_kind:     hidden_group_size_y
      - .offset:         96
        .size:           2
        .value_kind:     hidden_group_size_z
      - .offset:         98
        .size:           2
        .value_kind:     hidden_remainder_x
      - .offset:         100
        .size:           2
        .value_kind:     hidden_remainder_y
      - .offset:         102
        .size:           2
        .value_kind:     hidden_remainder_z
      - .offset:         120
        .size:           8
        .value_kind:     hidden_global_offset_x
      - .offset:         128
        .size:           8
        .value_kind:     hidden_global_offset_y
      - .offset:         136
        .size:           8
        .value_kind:     hidden_global_offset_z
      - .offset:         144
        .size:           2
        .value_kind:     hidden_grid_dims
    .group_segment_fixed_size: 0
    .kernarg_segment_align: 8
    .kernarg_segment_size: 336
    .language:       OpenCL C
    .language_version:
      - 2
      - 0
    .max_flat_workgroup_size: 256
    .name:           _ZL33flash_attn_stream_k_fixup_generalILi256ELi32ELi1EEvPfPK15HIP_vector_typeIfLj2EEiiiiS1_IjLj3EES5_S5_S5_
    .private_segment_fixed_size: 0
    .sgpr_count:     42
    .sgpr_spill_count: 0
    .symbol:         _ZL33flash_attn_stream_k_fixup_generalILi256ELi32ELi1EEvPfPK15HIP_vector_typeIfLj2EEiiiiS1_IjLj3EES5_S5_S5_.kd
    .uniform_work_group_size: 1
    .uses_dynamic_stack: false
    .vgpr_count:     18
    .vgpr_spill_count: 0
    .wavefront_size: 64
  - .agpr_count:     0
    .args:
      - .address_space:  global
        .offset:         0
        .size:           8
        .value_kind:     global_buffer
      - .address_space:  global
        .offset:         8
        .size:           8
        .value_kind:     global_buffer
      - .address_space:  global
        .offset:         16
        .size:           8
        .value_kind:     global_buffer
      - .offset:         24
        .size:           4
        .value_kind:     by_value
      - .offset:         32
        .size:           4
        .value_kind:     hidden_block_count_x
      - .offset:         36
        .size:           4
        .value_kind:     hidden_block_count_y
      - .offset:         40
        .size:           4
        .value_kind:     hidden_block_count_z
      - .offset:         44
        .size:           2
        .value_kind:     hidden_group_size_x
      - .offset:         46
        .size:           2
        .value_kind:     hidden_group_size_y
      - .offset:         48
        .size:           2
        .value_kind:     hidden_group_size_z
      - .offset:         50
        .size:           2
        .value_kind:     hidden_remainder_x
      - .offset:         52
        .size:           2
        .value_kind:     hidden_remainder_y
      - .offset:         54
        .size:           2
        .value_kind:     hidden_remainder_z
      - .offset:         72
        .size:           8
        .value_kind:     hidden_global_offset_x
      - .offset:         80
        .size:           8
        .value_kind:     hidden_global_offset_y
      - .offset:         88
        .size:           8
        .value_kind:     hidden_global_offset_z
      - .offset:         96
        .size:           2
        .value_kind:     hidden_grid_dims
      - .offset:         152
        .size:           4
        .value_kind:     hidden_dynamic_lds_size
    .group_segment_fixed_size: 0
    .kernarg_segment_align: 8
    .kernarg_segment_size: 288
    .language:       OpenCL C
    .language_version:
      - 2
      - 0
    .max_flat_workgroup_size: 256
    .name:           _ZL26flash_attn_combine_resultsILi256EEvPKfPK15HIP_vector_typeIfLj2EEPfi
    .private_segment_fixed_size: 0
    .sgpr_count:     32
    .sgpr_spill_count: 0
    .symbol:         _ZL26flash_attn_combine_resultsILi256EEvPKfPK15HIP_vector_typeIfLj2EEPfi.kd
    .uniform_work_group_size: 1
    .uses_dynamic_stack: false
    .vgpr_count:     59
    .vgpr_spill_count: 0
    .wavefront_size: 64
amdhsa.target:   amdgcn-amd-amdhsa--gfx950
amdhsa.version:
  - 1
  - 2
...

	.end_amdgpu_metadata
